;; amdgpu-corpus repo=pytorch/pytorch kind=compiled arch=gfx1100 opt=O3
	.text
	.amdgcn_target "amdgcn-amd-amdhsa--gfx1100"
	.amdhsa_code_object_version 6
	.section	.text._ZN2at6native12_GLOBAL__N_130segment_reduce_backward_kernelIdiEEvNS0_13ReductionTypeEPT_PKS4_S7_S7_PKT0_SA_llS4_lllllll,"axG",@progbits,_ZN2at6native12_GLOBAL__N_130segment_reduce_backward_kernelIdiEEvNS0_13ReductionTypeEPT_PKS4_S7_S7_PKT0_SA_llS4_lllllll,comdat
	.globl	_ZN2at6native12_GLOBAL__N_130segment_reduce_backward_kernelIdiEEvNS0_13ReductionTypeEPT_PKS4_S7_S7_PKT0_SA_llS4_lllllll ; -- Begin function _ZN2at6native12_GLOBAL__N_130segment_reduce_backward_kernelIdiEEvNS0_13ReductionTypeEPT_PKS4_S7_S7_PKT0_SA_llS4_lllllll
	.p2align	8
	.type	_ZN2at6native12_GLOBAL__N_130segment_reduce_backward_kernelIdiEEvNS0_13ReductionTypeEPT_PKS4_S7_S7_PKT0_SA_llS4_lllllll,@function
_ZN2at6native12_GLOBAL__N_130segment_reduce_backward_kernelIdiEEvNS0_13ReductionTypeEPT_PKS4_S7_S7_PKT0_SA_llS4_lllllll: ; @_ZN2at6native12_GLOBAL__N_130segment_reduce_backward_kernelIdiEEvNS0_13ReductionTypeEPT_PKS4_S7_S7_PKT0_SA_llS4_lllllll
; %bb.0:
	s_clause 0x2
	s_load_b512 s[16:31], s[0:1], 0x8
	s_load_b32 s2, s[0:1], 0x94
	s_load_b512 s[36:51], s[0:1], 0x48
	v_mov_b32_e32 v4, 0
	s_delay_alu instid0(VALU_DEP_1)
	v_mov_b32_e32 v1, v4
	s_waitcnt lgkmcnt(0)
	s_and_b32 s2, s2, 0xffff
	s_mul_i32 s3, s38, s29
	s_mul_hi_u32 s4, s38, s28
	s_mul_i32 s5, s39, s28
	s_mul_i32 s6, s38, s28
	v_mad_u64_u32 v[2:3], null, s2, s15, v[0:1]
	s_add_i32 s2, s4, s3
	s_mul_i32 s3, s6, s41
	s_mul_hi_u32 s4, s6, s40
	s_add_i32 s2, s2, s5
	s_add_i32 s3, s4, s3
	s_mul_i32 s2, s2, s40
	s_delay_alu instid0(SALU_CYCLE_1) | instskip(SKIP_1) | instid1(SALU_CYCLE_1)
	s_add_i32 s3, s3, s2
	s_mul_i32 s2, s6, s40
	v_cmp_gt_i64_e32 vcc_lo, s[2:3], v[2:3]
	s_and_saveexec_b32 s2, vcc_lo
	s_cbranch_execz .LBB0_54
; %bb.1:
	v_or_b32_e32 v5, s41, v3
                                        ; implicit-def: $vgpr6_vgpr7
	s_mov_b32 s2, exec_lo
	s_delay_alu instid0(VALU_DEP_1)
	v_cmpx_ne_u64_e32 0, v[4:5]
	s_xor_b32 s3, exec_lo, s2
	s_cbranch_execz .LBB0_3
; %bb.2:
	s_ashr_i32 s4, s41, 31
	s_delay_alu instid0(SALU_CYCLE_1) | instskip(SKIP_2) | instid1(SALU_CYCLE_1)
	s_add_u32 s6, s40, s4
	s_mov_b32 s5, s4
	s_addc_u32 s7, s41, s4
	s_xor_b64 s[6:7], s[6:7], s[4:5]
	s_delay_alu instid0(SALU_CYCLE_1) | instskip(SKIP_3) | instid1(VALU_DEP_1)
	v_cvt_f32_u32_e32 v0, s6
	v_cvt_f32_u32_e32 v1, s7
	s_sub_u32 s2, 0, s6
	s_subb_u32 s5, 0, s7
	v_fmamk_f32 v0, v1, 0x4f800000, v0
	s_delay_alu instid0(VALU_DEP_1) | instskip(SKIP_2) | instid1(VALU_DEP_1)
	v_rcp_f32_e32 v0, v0
	s_waitcnt_depctr 0xfff
	v_mul_f32_e32 v0, 0x5f7ffffc, v0
	v_mul_f32_e32 v1, 0x2f800000, v0
	s_delay_alu instid0(VALU_DEP_1) | instskip(NEXT) | instid1(VALU_DEP_1)
	v_trunc_f32_e32 v1, v1
	v_fmamk_f32 v0, v1, 0xcf800000, v0
	v_cvt_u32_f32_e32 v1, v1
	s_delay_alu instid0(VALU_DEP_2) | instskip(NEXT) | instid1(VALU_DEP_2)
	v_cvt_u32_f32_e32 v0, v0
	v_mul_lo_u32 v4, s2, v1
	s_delay_alu instid0(VALU_DEP_2) | instskip(SKIP_1) | instid1(VALU_DEP_2)
	v_mul_hi_u32 v5, s2, v0
	v_mul_lo_u32 v6, s5, v0
	v_add_nc_u32_e32 v4, v5, v4
	v_mul_lo_u32 v5, s2, v0
	s_delay_alu instid0(VALU_DEP_2) | instskip(NEXT) | instid1(VALU_DEP_2)
	v_add_nc_u32_e32 v4, v4, v6
	v_mul_hi_u32 v6, v0, v5
	s_delay_alu instid0(VALU_DEP_2)
	v_mul_lo_u32 v7, v0, v4
	v_mul_hi_u32 v8, v0, v4
	v_mul_hi_u32 v9, v1, v5
	v_mul_lo_u32 v5, v1, v5
	v_mul_hi_u32 v10, v1, v4
	v_mul_lo_u32 v4, v1, v4
	v_add_co_u32 v6, vcc_lo, v6, v7
	v_add_co_ci_u32_e32 v7, vcc_lo, 0, v8, vcc_lo
	s_delay_alu instid0(VALU_DEP_2) | instskip(NEXT) | instid1(VALU_DEP_2)
	v_add_co_u32 v5, vcc_lo, v6, v5
	v_add_co_ci_u32_e32 v5, vcc_lo, v7, v9, vcc_lo
	v_add_co_ci_u32_e32 v6, vcc_lo, 0, v10, vcc_lo
	v_ashrrev_i32_e32 v9, 31, v3
	s_delay_alu instid0(VALU_DEP_3) | instskip(NEXT) | instid1(VALU_DEP_3)
	v_add_co_u32 v4, vcc_lo, v5, v4
	v_add_co_ci_u32_e32 v5, vcc_lo, 0, v6, vcc_lo
	s_delay_alu instid0(VALU_DEP_2) | instskip(NEXT) | instid1(VALU_DEP_2)
	v_add_co_u32 v0, vcc_lo, v0, v4
	v_add_co_ci_u32_e32 v1, vcc_lo, v1, v5, vcc_lo
	s_delay_alu instid0(VALU_DEP_2) | instskip(SKIP_1) | instid1(VALU_DEP_3)
	v_mul_hi_u32 v4, s2, v0
	v_mul_lo_u32 v6, s5, v0
	v_mul_lo_u32 v5, s2, v1
	s_delay_alu instid0(VALU_DEP_1) | instskip(SKIP_1) | instid1(VALU_DEP_2)
	v_add_nc_u32_e32 v4, v4, v5
	v_mul_lo_u32 v5, s2, v0
	v_add_nc_u32_e32 v4, v4, v6
	s_delay_alu instid0(VALU_DEP_2) | instskip(NEXT) | instid1(VALU_DEP_2)
	v_mul_hi_u32 v6, v0, v5
	v_mul_lo_u32 v7, v0, v4
	v_mul_hi_u32 v8, v0, v4
	v_mul_hi_u32 v10, v1, v5
	v_mul_lo_u32 v5, v1, v5
	v_mul_hi_u32 v11, v1, v4
	v_mul_lo_u32 v4, v1, v4
	v_add_co_u32 v6, vcc_lo, v6, v7
	v_add_co_ci_u32_e32 v7, vcc_lo, 0, v8, vcc_lo
	s_delay_alu instid0(VALU_DEP_2) | instskip(NEXT) | instid1(VALU_DEP_2)
	v_add_co_u32 v5, vcc_lo, v6, v5
	v_add_co_ci_u32_e32 v5, vcc_lo, v7, v10, vcc_lo
	v_add_co_ci_u32_e32 v6, vcc_lo, 0, v11, vcc_lo
	v_add_co_u32 v7, vcc_lo, v2, v9
	v_add_co_ci_u32_e32 v8, vcc_lo, v3, v9, vcc_lo
	s_delay_alu instid0(VALU_DEP_4) | instskip(NEXT) | instid1(VALU_DEP_4)
	v_add_co_u32 v4, vcc_lo, v5, v4
	v_add_co_ci_u32_e32 v5, vcc_lo, 0, v6, vcc_lo
	s_delay_alu instid0(VALU_DEP_4) | instskip(NEXT) | instid1(VALU_DEP_3)
	v_xor_b32_e32 v10, v7, v9
	v_add_co_u32 v6, vcc_lo, v0, v4
	s_delay_alu instid0(VALU_DEP_3) | instskip(SKIP_1) | instid1(VALU_DEP_3)
	v_add_co_ci_u32_e32 v11, vcc_lo, v1, v5, vcc_lo
	v_xor_b32_e32 v8, v8, v9
	v_mul_hi_u32 v12, v10, v6
	s_delay_alu instid0(VALU_DEP_3) | instskip(NEXT) | instid1(VALU_DEP_3)
	v_mad_u64_u32 v[0:1], null, v10, v11, 0
	v_mad_u64_u32 v[4:5], null, v8, v6, 0
	;; [unrolled: 1-line block ×3, first 2 shown]
	s_delay_alu instid0(VALU_DEP_3) | instskip(NEXT) | instid1(VALU_DEP_4)
	v_add_co_u32 v0, vcc_lo, v12, v0
	v_add_co_ci_u32_e32 v1, vcc_lo, 0, v1, vcc_lo
	s_delay_alu instid0(VALU_DEP_2) | instskip(NEXT) | instid1(VALU_DEP_2)
	v_add_co_u32 v0, vcc_lo, v0, v4
	v_add_co_ci_u32_e32 v0, vcc_lo, v1, v5, vcc_lo
	v_add_co_ci_u32_e32 v1, vcc_lo, 0, v7, vcc_lo
	s_delay_alu instid0(VALU_DEP_2) | instskip(NEXT) | instid1(VALU_DEP_2)
	v_add_co_u32 v4, vcc_lo, v0, v6
	v_add_co_ci_u32_e32 v5, vcc_lo, 0, v1, vcc_lo
	s_delay_alu instid0(VALU_DEP_2) | instskip(SKIP_1) | instid1(VALU_DEP_3)
	v_mul_lo_u32 v6, s7, v4
	v_mad_u64_u32 v[0:1], null, s6, v4, 0
	v_mul_lo_u32 v7, s6, v5
	s_delay_alu instid0(VALU_DEP_2) | instskip(NEXT) | instid1(VALU_DEP_2)
	v_sub_co_u32 v0, vcc_lo, v10, v0
	v_add3_u32 v1, v1, v7, v6
	s_delay_alu instid0(VALU_DEP_1) | instskip(NEXT) | instid1(VALU_DEP_1)
	v_sub_nc_u32_e32 v6, v8, v1
	v_subrev_co_ci_u32_e64 v6, s2, s7, v6, vcc_lo
	v_add_co_u32 v7, s2, v4, 2
	s_delay_alu instid0(VALU_DEP_1) | instskip(SKIP_3) | instid1(VALU_DEP_3)
	v_add_co_ci_u32_e64 v10, s2, 0, v5, s2
	v_sub_co_u32 v11, s2, v0, s6
	v_sub_co_ci_u32_e32 v1, vcc_lo, v8, v1, vcc_lo
	v_subrev_co_ci_u32_e64 v6, s2, 0, v6, s2
	v_cmp_le_u32_e32 vcc_lo, s6, v11
	s_delay_alu instid0(VALU_DEP_3) | instskip(SKIP_1) | instid1(VALU_DEP_4)
	v_cmp_eq_u32_e64 s2, s7, v1
	v_cndmask_b32_e64 v8, 0, -1, vcc_lo
	v_cmp_le_u32_e32 vcc_lo, s7, v6
	v_cndmask_b32_e64 v11, 0, -1, vcc_lo
	v_cmp_le_u32_e32 vcc_lo, s6, v0
	;; [unrolled: 2-line block ×3, first 2 shown]
	v_cndmask_b32_e64 v12, 0, -1, vcc_lo
	v_cmp_eq_u32_e32 vcc_lo, s7, v6
	s_delay_alu instid0(VALU_DEP_2) | instskip(SKIP_3) | instid1(VALU_DEP_3)
	v_cndmask_b32_e64 v0, v12, v0, s2
	v_cndmask_b32_e32 v6, v11, v8, vcc_lo
	v_add_co_u32 v8, vcc_lo, v4, 1
	v_add_co_ci_u32_e32 v11, vcc_lo, 0, v5, vcc_lo
	v_cmp_ne_u32_e32 vcc_lo, 0, v6
	s_delay_alu instid0(VALU_DEP_2) | instskip(SKIP_2) | instid1(VALU_DEP_3)
	v_dual_cndmask_b32 v1, v11, v10 :: v_dual_cndmask_b32 v6, v8, v7
	v_cmp_ne_u32_e32 vcc_lo, 0, v0
	v_xor_b32_e32 v0, s4, v9
	v_dual_cndmask_b32 v4, v4, v6 :: v_dual_cndmask_b32 v1, v5, v1
	s_delay_alu instid0(VALU_DEP_1) | instskip(NEXT) | instid1(VALU_DEP_2)
	v_xor_b32_e32 v4, v4, v0
	v_xor_b32_e32 v1, v1, v0
	s_delay_alu instid0(VALU_DEP_2) | instskip(NEXT) | instid1(VALU_DEP_2)
	v_sub_co_u32 v6, vcc_lo, v4, v0
	v_sub_co_ci_u32_e32 v7, vcc_lo, v1, v0, vcc_lo
.LBB0_3:
	s_and_not1_saveexec_b32 s2, s3
	s_cbranch_execz .LBB0_5
; %bb.4:
	v_cvt_f32_u32_e32 v0, s40
	s_sub_i32 s3, 0, s40
	v_mov_b32_e32 v7, 0
	s_delay_alu instid0(VALU_DEP_2) | instskip(SKIP_2) | instid1(VALU_DEP_1)
	v_rcp_iflag_f32_e32 v0, v0
	s_waitcnt_depctr 0xfff
	v_mul_f32_e32 v0, 0x4f7ffffe, v0
	v_cvt_u32_f32_e32 v0, v0
	s_delay_alu instid0(VALU_DEP_1) | instskip(NEXT) | instid1(VALU_DEP_1)
	v_mul_lo_u32 v1, s3, v0
	v_mul_hi_u32 v1, v0, v1
	s_delay_alu instid0(VALU_DEP_1) | instskip(NEXT) | instid1(VALU_DEP_1)
	v_add_nc_u32_e32 v0, v0, v1
	v_mul_hi_u32 v0, v2, v0
	s_delay_alu instid0(VALU_DEP_1) | instskip(SKIP_1) | instid1(VALU_DEP_2)
	v_mul_lo_u32 v1, v0, s40
	v_add_nc_u32_e32 v4, 1, v0
	v_sub_nc_u32_e32 v1, v2, v1
	s_delay_alu instid0(VALU_DEP_1) | instskip(SKIP_1) | instid1(VALU_DEP_2)
	v_subrev_nc_u32_e32 v5, s40, v1
	v_cmp_le_u32_e32 vcc_lo, s40, v1
	v_dual_cndmask_b32 v1, v1, v5 :: v_dual_cndmask_b32 v0, v0, v4
	s_delay_alu instid0(VALU_DEP_1) | instskip(NEXT) | instid1(VALU_DEP_2)
	v_cmp_le_u32_e32 vcc_lo, s40, v1
	v_add_nc_u32_e32 v4, 1, v0
	s_delay_alu instid0(VALU_DEP_1)
	v_cndmask_b32_e32 v6, v0, v4, vcc_lo
.LBB0_5:
	s_or_b32 exec_lo, exec_lo, s2
	s_delay_alu instid0(VALU_DEP_1) | instskip(SKIP_1) | instid1(VALU_DEP_1)
	v_or_b32_e32 v1, s29, v7
	v_mov_b32_e32 v0, 0
	v_cmp_ne_u64_e32 vcc_lo, 0, v[0:1]
                                        ; implicit-def: $vgpr0_vgpr1
	s_and_saveexec_b32 s2, vcc_lo
	s_delay_alu instid0(SALU_CYCLE_1)
	s_xor_b32 s3, exec_lo, s2
	s_cbranch_execz .LBB0_7
; %bb.6:
	s_ashr_i32 s4, s29, 31
	s_delay_alu instid0(SALU_CYCLE_1) | instskip(SKIP_2) | instid1(SALU_CYCLE_1)
	s_add_u32 s6, s28, s4
	s_mov_b32 s5, s4
	s_addc_u32 s7, s29, s4
	s_xor_b64 s[6:7], s[6:7], s[4:5]
	s_delay_alu instid0(SALU_CYCLE_1) | instskip(SKIP_3) | instid1(VALU_DEP_1)
	v_cvt_f32_u32_e32 v0, s6
	v_cvt_f32_u32_e32 v1, s7
	s_sub_u32 s2, 0, s6
	s_subb_u32 s5, 0, s7
	v_fmamk_f32 v0, v1, 0x4f800000, v0
	s_delay_alu instid0(VALU_DEP_1) | instskip(SKIP_2) | instid1(VALU_DEP_1)
	v_rcp_f32_e32 v0, v0
	s_waitcnt_depctr 0xfff
	v_mul_f32_e32 v0, 0x5f7ffffc, v0
	v_mul_f32_e32 v1, 0x2f800000, v0
	s_delay_alu instid0(VALU_DEP_1) | instskip(NEXT) | instid1(VALU_DEP_1)
	v_trunc_f32_e32 v1, v1
	v_fmamk_f32 v0, v1, 0xcf800000, v0
	v_cvt_u32_f32_e32 v1, v1
	s_delay_alu instid0(VALU_DEP_2) | instskip(NEXT) | instid1(VALU_DEP_2)
	v_cvt_u32_f32_e32 v0, v0
	v_mul_lo_u32 v4, s2, v1
	s_delay_alu instid0(VALU_DEP_2) | instskip(SKIP_1) | instid1(VALU_DEP_2)
	v_mul_hi_u32 v5, s2, v0
	v_mul_lo_u32 v8, s5, v0
	v_add_nc_u32_e32 v4, v5, v4
	v_mul_lo_u32 v5, s2, v0
	s_delay_alu instid0(VALU_DEP_2) | instskip(NEXT) | instid1(VALU_DEP_2)
	v_add_nc_u32_e32 v4, v4, v8
	v_mul_hi_u32 v8, v0, v5
	s_delay_alu instid0(VALU_DEP_2)
	v_mul_lo_u32 v9, v0, v4
	v_mul_hi_u32 v10, v0, v4
	v_mul_hi_u32 v11, v1, v5
	v_mul_lo_u32 v5, v1, v5
	v_mul_hi_u32 v12, v1, v4
	v_mul_lo_u32 v4, v1, v4
	v_add_co_u32 v8, vcc_lo, v8, v9
	v_add_co_ci_u32_e32 v9, vcc_lo, 0, v10, vcc_lo
	s_delay_alu instid0(VALU_DEP_2) | instskip(NEXT) | instid1(VALU_DEP_2)
	v_add_co_u32 v5, vcc_lo, v8, v5
	v_add_co_ci_u32_e32 v5, vcc_lo, v9, v11, vcc_lo
	v_add_co_ci_u32_e32 v8, vcc_lo, 0, v12, vcc_lo
	v_ashrrev_i32_e32 v11, 31, v7
	s_delay_alu instid0(VALU_DEP_3) | instskip(NEXT) | instid1(VALU_DEP_3)
	v_add_co_u32 v4, vcc_lo, v5, v4
	v_add_co_ci_u32_e32 v5, vcc_lo, 0, v8, vcc_lo
	s_delay_alu instid0(VALU_DEP_2) | instskip(NEXT) | instid1(VALU_DEP_2)
	v_add_co_u32 v0, vcc_lo, v0, v4
	v_add_co_ci_u32_e32 v1, vcc_lo, v1, v5, vcc_lo
	s_delay_alu instid0(VALU_DEP_2) | instskip(SKIP_1) | instid1(VALU_DEP_3)
	v_mul_hi_u32 v4, s2, v0
	v_mul_lo_u32 v8, s5, v0
	v_mul_lo_u32 v5, s2, v1
	s_delay_alu instid0(VALU_DEP_1) | instskip(SKIP_1) | instid1(VALU_DEP_2)
	v_add_nc_u32_e32 v4, v4, v5
	v_mul_lo_u32 v5, s2, v0
	v_add_nc_u32_e32 v4, v4, v8
	s_delay_alu instid0(VALU_DEP_2) | instskip(NEXT) | instid1(VALU_DEP_2)
	v_mul_hi_u32 v8, v0, v5
	v_mul_lo_u32 v9, v0, v4
	v_mul_hi_u32 v10, v0, v4
	v_mul_hi_u32 v12, v1, v5
	v_mul_lo_u32 v5, v1, v5
	v_mul_hi_u32 v13, v1, v4
	v_mul_lo_u32 v4, v1, v4
	v_add_co_u32 v8, vcc_lo, v8, v9
	v_add_co_ci_u32_e32 v9, vcc_lo, 0, v10, vcc_lo
	s_delay_alu instid0(VALU_DEP_2) | instskip(NEXT) | instid1(VALU_DEP_2)
	v_add_co_u32 v5, vcc_lo, v8, v5
	v_add_co_ci_u32_e32 v5, vcc_lo, v9, v12, vcc_lo
	v_add_co_ci_u32_e32 v8, vcc_lo, 0, v13, vcc_lo
	v_add_co_u32 v9, vcc_lo, v6, v11
	v_add_co_ci_u32_e32 v10, vcc_lo, v7, v11, vcc_lo
	s_delay_alu instid0(VALU_DEP_4) | instskip(NEXT) | instid1(VALU_DEP_4)
	v_add_co_u32 v4, vcc_lo, v5, v4
	v_add_co_ci_u32_e32 v5, vcc_lo, 0, v8, vcc_lo
	s_delay_alu instid0(VALU_DEP_4) | instskip(NEXT) | instid1(VALU_DEP_3)
	v_xor_b32_e32 v12, v9, v11
	v_add_co_u32 v8, vcc_lo, v0, v4
	s_delay_alu instid0(VALU_DEP_3) | instskip(SKIP_1) | instid1(VALU_DEP_3)
	v_add_co_ci_u32_e32 v13, vcc_lo, v1, v5, vcc_lo
	v_xor_b32_e32 v10, v10, v11
	v_mul_hi_u32 v14, v12, v8
	s_delay_alu instid0(VALU_DEP_3) | instskip(NEXT) | instid1(VALU_DEP_3)
	v_mad_u64_u32 v[0:1], null, v12, v13, 0
	v_mad_u64_u32 v[4:5], null, v10, v8, 0
	;; [unrolled: 1-line block ×3, first 2 shown]
	s_delay_alu instid0(VALU_DEP_3) | instskip(NEXT) | instid1(VALU_DEP_4)
	v_add_co_u32 v0, vcc_lo, v14, v0
	v_add_co_ci_u32_e32 v1, vcc_lo, 0, v1, vcc_lo
	s_delay_alu instid0(VALU_DEP_2) | instskip(NEXT) | instid1(VALU_DEP_2)
	v_add_co_u32 v0, vcc_lo, v0, v4
	v_add_co_ci_u32_e32 v0, vcc_lo, v1, v5, vcc_lo
	v_add_co_ci_u32_e32 v1, vcc_lo, 0, v9, vcc_lo
	s_delay_alu instid0(VALU_DEP_2) | instskip(NEXT) | instid1(VALU_DEP_2)
	v_add_co_u32 v4, vcc_lo, v0, v8
	v_add_co_ci_u32_e32 v5, vcc_lo, 0, v1, vcc_lo
	s_delay_alu instid0(VALU_DEP_2) | instskip(SKIP_1) | instid1(VALU_DEP_3)
	v_mul_lo_u32 v8, s7, v4
	v_mad_u64_u32 v[0:1], null, s6, v4, 0
	v_mul_lo_u32 v9, s6, v5
	s_delay_alu instid0(VALU_DEP_2) | instskip(NEXT) | instid1(VALU_DEP_2)
	v_sub_co_u32 v0, vcc_lo, v12, v0
	v_add3_u32 v1, v1, v9, v8
	s_delay_alu instid0(VALU_DEP_1) | instskip(NEXT) | instid1(VALU_DEP_1)
	v_sub_nc_u32_e32 v8, v10, v1
	v_subrev_co_ci_u32_e64 v8, s2, s7, v8, vcc_lo
	v_add_co_u32 v9, s2, v4, 2
	s_delay_alu instid0(VALU_DEP_1) | instskip(SKIP_3) | instid1(VALU_DEP_3)
	v_add_co_ci_u32_e64 v12, s2, 0, v5, s2
	v_sub_co_u32 v13, s2, v0, s6
	v_sub_co_ci_u32_e32 v1, vcc_lo, v10, v1, vcc_lo
	v_subrev_co_ci_u32_e64 v8, s2, 0, v8, s2
	v_cmp_le_u32_e32 vcc_lo, s6, v13
	s_delay_alu instid0(VALU_DEP_3) | instskip(SKIP_1) | instid1(VALU_DEP_4)
	v_cmp_eq_u32_e64 s2, s7, v1
	v_cndmask_b32_e64 v10, 0, -1, vcc_lo
	v_cmp_le_u32_e32 vcc_lo, s7, v8
	v_cndmask_b32_e64 v13, 0, -1, vcc_lo
	v_cmp_le_u32_e32 vcc_lo, s6, v0
	;; [unrolled: 2-line block ×3, first 2 shown]
	v_cndmask_b32_e64 v14, 0, -1, vcc_lo
	v_cmp_eq_u32_e32 vcc_lo, s7, v8
	s_delay_alu instid0(VALU_DEP_2) | instskip(SKIP_3) | instid1(VALU_DEP_3)
	v_cndmask_b32_e64 v0, v14, v0, s2
	v_cndmask_b32_e32 v8, v13, v10, vcc_lo
	v_add_co_u32 v10, vcc_lo, v4, 1
	v_add_co_ci_u32_e32 v13, vcc_lo, 0, v5, vcc_lo
	v_cmp_ne_u32_e32 vcc_lo, 0, v8
	s_delay_alu instid0(VALU_DEP_2) | instskip(SKIP_2) | instid1(VALU_DEP_3)
	v_dual_cndmask_b32 v1, v13, v12 :: v_dual_cndmask_b32 v8, v10, v9
	v_cmp_ne_u32_e32 vcc_lo, 0, v0
	v_xor_b32_e32 v9, s4, v11
	v_dual_cndmask_b32 v0, v5, v1 :: v_dual_cndmask_b32 v1, v4, v8
	s_delay_alu instid0(VALU_DEP_1) | instskip(NEXT) | instid1(VALU_DEP_2)
	v_xor_b32_e32 v4, v0, v9
	v_xor_b32_e32 v1, v1, v9
	s_delay_alu instid0(VALU_DEP_1) | instskip(NEXT) | instid1(VALU_DEP_3)
	v_sub_co_u32 v0, vcc_lo, v1, v9
	v_sub_co_ci_u32_e32 v1, vcc_lo, v4, v9, vcc_lo
.LBB0_7:
	s_and_not1_saveexec_b32 s2, s3
	s_cbranch_execz .LBB0_9
; %bb.8:
	v_cvt_f32_u32_e32 v0, s28
	s_sub_i32 s3, 0, s28
	s_delay_alu instid0(VALU_DEP_1) | instskip(SKIP_2) | instid1(VALU_DEP_1)
	v_rcp_iflag_f32_e32 v0, v0
	s_waitcnt_depctr 0xfff
	v_mul_f32_e32 v0, 0x4f7ffffe, v0
	v_cvt_u32_f32_e32 v0, v0
	s_delay_alu instid0(VALU_DEP_1) | instskip(NEXT) | instid1(VALU_DEP_1)
	v_mul_lo_u32 v1, s3, v0
	v_mul_hi_u32 v1, v0, v1
	s_delay_alu instid0(VALU_DEP_1) | instskip(NEXT) | instid1(VALU_DEP_1)
	v_add_nc_u32_e32 v0, v0, v1
	v_mul_hi_u32 v0, v6, v0
	s_delay_alu instid0(VALU_DEP_1) | instskip(SKIP_1) | instid1(VALU_DEP_2)
	v_mul_lo_u32 v1, v0, s28
	v_add_nc_u32_e32 v4, 1, v0
	v_sub_nc_u32_e32 v1, v6, v1
	s_delay_alu instid0(VALU_DEP_1) | instskip(SKIP_1) | instid1(VALU_DEP_2)
	v_subrev_nc_u32_e32 v5, s28, v1
	v_cmp_le_u32_e32 vcc_lo, s28, v1
	v_dual_cndmask_b32 v1, v1, v5 :: v_dual_cndmask_b32 v0, v0, v4
	s_delay_alu instid0(VALU_DEP_1) | instskip(NEXT) | instid1(VALU_DEP_2)
	v_cmp_le_u32_e32 vcc_lo, s28, v1
	v_dual_mov_b32 v1, 0 :: v_dual_add_nc_u32 v4, 1, v0
	s_delay_alu instid0(VALU_DEP_1)
	v_cndmask_b32_e32 v0, v0, v4, vcc_lo
.LBB0_9:
	s_or_b32 exec_lo, exec_lo, s2
	s_delay_alu instid0(VALU_DEP_1) | instskip(NEXT) | instid1(VALU_DEP_2)
	v_mul_lo_u32 v8, v1, s28
	v_mul_lo_u32 v9, v0, s29
	v_mad_u64_u32 v[4:5], null, v0, s28, 0
	s_delay_alu instid0(VALU_DEP_1) | instskip(NEXT) | instid1(VALU_DEP_2)
	v_add3_u32 v5, v5, v9, v8
	v_mul_lo_u32 v10, v4, s31
	v_mad_u64_u32 v[8:9], null, v4, s30, 0
	s_delay_alu instid0(VALU_DEP_3) | instskip(NEXT) | instid1(VALU_DEP_1)
	v_mul_lo_u32 v11, v5, s30
	v_add3_u32 v9, v9, v10, v11
	v_sub_co_u32 v10, vcc_lo, v6, v4
	v_sub_co_ci_u32_e32 v11, vcc_lo, v7, v5, vcc_lo
	s_delay_alu instid0(VALU_DEP_3) | instskip(NEXT) | instid1(VALU_DEP_2)
	v_lshlrev_b64 v[8:9], 2, v[8:9]
	v_lshlrev_b64 v[4:5], 2, v[10:11]
	s_delay_alu instid0(VALU_DEP_2) | instskip(NEXT) | instid1(VALU_DEP_3)
	v_add_co_u32 v8, vcc_lo, s24, v8
	v_add_co_ci_u32_e32 v9, vcc_lo, s25, v9, vcc_lo
	s_delay_alu instid0(VALU_DEP_2) | instskip(NEXT) | instid1(VALU_DEP_2)
	v_add_co_u32 v8, vcc_lo, v8, v4
	v_add_co_ci_u32_e32 v9, vcc_lo, v9, v5, vcc_lo
	global_load_b32 v32, v[8:9], off
	s_waitcnt vmcnt(0)
	v_cmp_ne_u32_e32 vcc_lo, 0, v32
	s_and_b32 exec_lo, exec_lo, vcc_lo
	s_cbranch_execz .LBB0_54
; %bb.10:
	s_add_u32 s2, s28, 1
	s_addc_u32 s5, s29, 0
	s_mul_i32 s3, s2, s51
	s_mul_hi_u32 s4, s2, s50
	s_mul_i32 s5, s5, s50
	s_add_i32 s3, s4, s3
	s_mul_i32 s2, s2, s50
	s_add_i32 s3, s3, s5
	v_mul_lo_u32 v12, s2, v1
	v_mad_u64_u32 v[8:9], null, s2, v0, 0
	v_mul_lo_u32 v13, s3, v0
	v_mul_lo_u32 v7, v7, s40
	;; [unrolled: 1-line block ×3, first 2 shown]
	s_load_b32 s1, s[0:1], 0x0
	s_delay_alu instid0(VALU_DEP_3) | instskip(SKIP_2) | instid1(VALU_DEP_3)
	v_add3_u32 v9, v9, v12, v13
	v_mad_u64_u32 v[12:13], null, v0, s48, v[10:11]
	v_mul_lo_u32 v10, v1, s48
	v_lshlrev_b64 v[8:9], 2, v[8:9]
	s_delay_alu instid0(VALU_DEP_3) | instskip(NEXT) | instid1(VALU_DEP_2)
	v_mul_lo_u32 v11, v12, s47
	v_add_co_u32 v8, vcc_lo, s26, v8
	s_delay_alu instid0(VALU_DEP_3) | instskip(SKIP_2) | instid1(VALU_DEP_2)
	v_add_co_ci_u32_e32 v9, vcc_lo, s27, v9, vcc_lo
	s_waitcnt lgkmcnt(0)
	s_and_b32 s0, s1, -3
	v_add_co_u32 v4, vcc_lo, v8, v4
	s_delay_alu instid0(VALU_DEP_2) | instskip(SKIP_4) | instid1(VALU_DEP_2)
	v_add_co_ci_u32_e32 v5, vcc_lo, v9, v5, vcc_lo
	s_cmp_lg_u32 s0, 0
	global_load_b64 v[8:9], v[4:5], off
	v_mad_u64_u32 v[4:5], null, v6, s40, 0
	v_mul_lo_u32 v6, v0, s49
	v_add3_u32 v5, v5, v14, v7
	s_delay_alu instid0(VALU_DEP_3) | instskip(NEXT) | instid1(VALU_DEP_3)
	v_sub_co_u32 v18, vcc_lo, v2, v4
	v_add3_u32 v10, v10, v13, v6
	s_delay_alu instid0(VALU_DEP_3) | instskip(NEXT) | instid1(VALU_DEP_2)
	v_sub_co_ci_u32_e32 v19, vcc_lo, v3, v5, vcc_lo
	v_mul_lo_u32 v10, v10, s46
	s_delay_alu instid0(VALU_DEP_2) | instskip(NEXT) | instid1(VALU_DEP_1)
	v_mad_u64_u32 v[6:7], null, v12, s46, v[18:19]
	v_add3_u32 v7, v10, v7, v11
	s_cbranch_scc0 .LBB0_25
; %bb.11:
	s_cmp_lt_i32 s1, 3
	s_mov_b32 s0, -1
	s_cbranch_scc1 .LBB0_34
; %bb.12:
	s_cmp_lt_i32 s1, 4
	s_cbranch_scc1 .LBB0_28
; %bb.13:
	s_cmp_eq_u32 s1, 4
	s_cbranch_scc0 .LBB0_27
; %bb.14:
	s_mov_b32 s8, exec_lo
	s_waitcnt vmcnt(0)
	v_cmpx_lt_i32_e64 v8, v9
	s_cbranch_execz .LBB0_26
; %bb.15:
	v_lshlrev_b64 v[12:13], 3, v[6:7]
	v_mul_lo_u32 v22, v0, s45
	v_mad_u64_u32 v[20:21], null, v0, s44, 0
	s_lshl_b64 s[2:3], s[42:43], 3
	s_mov_b64 s[4:5], 0
	s_delay_alu instid0(VALU_DEP_3)
	v_add_co_u32 v10, vcc_lo, s18, v12
	v_add_co_ci_u32_e32 v11, vcc_lo, s19, v13, vcc_lo
	v_add_co_u32 v12, vcc_lo, s20, v12
	v_add_co_ci_u32_e32 v13, vcc_lo, s21, v13, vcc_lo
	v_mul_lo_u32 v28, v20, s43
	global_load_b64 v[14:15], v[10:11], off
	global_load_b64 v[16:17], v[12:13], off
	v_mul_lo_u32 v12, v1, s44
	v_ashrrev_i32_e32 v13, 31, v8
	s_mov_b32 s9, 0
	s_delay_alu instid0(VALU_DEP_2) | instskip(SKIP_1) | instid1(VALU_DEP_2)
	v_add3_u32 v21, v21, v22, v12
	v_mov_b32_e32 v12, v8
	v_lshlrev_b64 v[22:23], 3, v[20:21]
	s_delay_alu instid0(VALU_DEP_2) | instskip(SKIP_1) | instid1(VALU_DEP_2)
	v_lshlrev_b64 v[24:25], 3, v[12:13]
	v_mul_lo_u32 v21, v21, s42
	v_add_co_u32 v24, vcc_lo, v22, v24
	s_delay_alu instid0(VALU_DEP_3) | instskip(NEXT) | instid1(VALU_DEP_2)
	v_add_co_ci_u32_e32 v22, vcc_lo, v23, v25, vcc_lo
	v_mul_lo_u32 v27, s43, v24
	s_delay_alu instid0(VALU_DEP_2) | instskip(SKIP_3) | instid1(VALU_DEP_1)
	v_mul_lo_u32 v26, s42, v22
	s_waitcnt vmcnt(0)
	v_mul_f64 v[14:15], v[14:15], v[16:17]
	v_lshlrev_b64 v[16:17], 3, v[2:3]
	v_mad_u64_u32 v[22:23], null, s42, v24, v[16:17]
	v_lshlrev_b64 v[24:25], 3, v[4:5]
	v_mad_u64_u32 v[16:17], null, v20, s42, v[18:19]
	v_ashrrev_i32_e32 v19, 31, v9
	v_mov_b32_e32 v18, v9
	v_add3_u32 v20, v27, v23, v26
	v_sub_co_u32 v22, vcc_lo, v22, v24
	v_add3_u32 v17, v21, v17, v28
	s_delay_alu instid0(VALU_DEP_3) | instskip(NEXT) | instid1(VALU_DEP_3)
	v_sub_co_ci_u32_e32 v23, vcc_lo, v20, v25, vcc_lo
	v_add_co_u32 v20, vcc_lo, s22, v22
	s_delay_alu instid0(VALU_DEP_2)
	v_add_co_ci_u32_e32 v21, vcc_lo, s23, v23, vcc_lo
	v_dual_mov_b32 v23, v13 :: v_dual_mov_b32 v22, v12
	s_branch .LBB0_18
.LBB0_16:                               ;   in Loop: Header=BB0_18 Depth=1
	s_or_b32 exec_lo, exec_lo, s11
	global_load_b64 v[28:29], v[10:11], off
	s_waitcnt vmcnt(0)
	v_mul_f64 v[26:27], v[26:27], v[28:29]
.LBB0_17:                               ;   in Loop: Header=BB0_18 Depth=1
	s_or_b32 exec_lo, exec_lo, s10
	v_add_co_u32 v22, vcc_lo, v22, 1
	v_add_co_ci_u32_e32 v23, vcc_lo, 0, v23, vcc_lo
	v_add_co_u32 v24, s0, s16, v24
	s_delay_alu instid0(VALU_DEP_1) | instskip(NEXT) | instid1(VALU_DEP_3)
	v_add_co_ci_u32_e64 v25, s0, s17, v25, s0
	v_cmp_ge_i64_e32 vcc_lo, v[22:23], v[18:19]
	s_add_u32 s4, s4, 1
	s_addc_u32 s5, s5, 0
	global_store_b64 v[24:25], v[26:27], off
	s_or_b32 s9, vcc_lo, s9
	s_delay_alu instid0(SALU_CYCLE_1)
	s_and_not1_b32 exec_lo, exec_lo, s9
	s_cbranch_execz .LBB0_26
.LBB0_18:                               ; =>This Loop Header: Depth=1
                                        ;     Child Loop BB0_23 Depth 2
	s_delay_alu instid0(VALU_DEP_1) | instskip(SKIP_1) | instid1(VALU_DEP_3)
	v_mad_u64_u32 v[24:25], null, v22, s42, v[16:17]
	v_mul_lo_u32 v26, v22, s43
	v_mul_lo_u32 v27, v23, s42
	s_mov_b32 s0, exec_lo
	s_delay_alu instid0(VALU_DEP_1) | instskip(NEXT) | instid1(VALU_DEP_1)
	v_add3_u32 v25, v27, v25, v26
	v_lshlrev_b64 v[24:25], 3, v[24:25]
	s_delay_alu instid0(VALU_DEP_1) | instskip(NEXT) | instid1(VALU_DEP_2)
	v_add_co_u32 v26, vcc_lo, s22, v24
	v_add_co_ci_u32_e32 v27, vcc_lo, s23, v25, vcc_lo
	global_load_b64 v[28:29], v[26:27], off
                                        ; implicit-def: $vgpr26_vgpr27
	s_waitcnt vmcnt(0)
	v_cmpx_lg_f64_e32 0, v[28:29]
	s_xor_b32 s0, exec_lo, s0
; %bb.19:                               ;   in Loop: Header=BB0_18 Depth=1
	v_div_scale_f64 v[26:27], null, v[28:29], v[28:29], v[14:15]
	s_delay_alu instid0(VALU_DEP_1) | instskip(SKIP_2) | instid1(VALU_DEP_1)
	v_rcp_f64_e32 v[30:31], v[26:27]
	s_waitcnt_depctr 0xfff
	v_fma_f64 v[33:34], -v[26:27], v[30:31], 1.0
	v_fma_f64 v[30:31], v[30:31], v[33:34], v[30:31]
	s_delay_alu instid0(VALU_DEP_1) | instskip(NEXT) | instid1(VALU_DEP_1)
	v_fma_f64 v[33:34], -v[26:27], v[30:31], 1.0
	v_fma_f64 v[30:31], v[30:31], v[33:34], v[30:31]
	v_div_scale_f64 v[33:34], vcc_lo, v[14:15], v[28:29], v[14:15]
	s_delay_alu instid0(VALU_DEP_1) | instskip(NEXT) | instid1(VALU_DEP_1)
	v_mul_f64 v[35:36], v[33:34], v[30:31]
	v_fma_f64 v[26:27], -v[26:27], v[35:36], v[33:34]
	s_delay_alu instid0(VALU_DEP_1) | instskip(NEXT) | instid1(VALU_DEP_1)
	v_div_fmas_f64 v[26:27], v[26:27], v[30:31], v[35:36]
	v_div_fixup_f64 v[26:27], v[26:27], v[28:29], v[14:15]
; %bb.20:                               ;   in Loop: Header=BB0_18 Depth=1
	s_and_not1_saveexec_b32 s10, s0
	s_cbranch_execz .LBB0_17
; %bb.21:                               ;   in Loop: Header=BB0_18 Depth=1
	v_dual_mov_b32 v26, s36 :: v_dual_mov_b32 v27, s37
	v_dual_mov_b32 v29, v21 :: v_dual_mov_b32 v28, v20
	;; [unrolled: 1-line block ×3, first 2 shown]
	s_mov_b32 s11, 0
	s_mov_b64 s[6:7], s[4:5]
	s_branch .LBB0_23
	.p2align	6
.LBB0_22:                               ;   in Loop: Header=BB0_23 Depth=2
	v_add_co_u32 v30, vcc_lo, v30, 1
	v_add_co_ci_u32_e32 v31, vcc_lo, 0, v31, vcc_lo
	v_add_co_u32 v28, s0, v28, s2
	s_delay_alu instid0(VALU_DEP_1) | instskip(NEXT) | instid1(VALU_DEP_3)
	v_add_co_ci_u32_e64 v29, s0, s3, v29, s0
	v_cmp_ge_i64_e32 vcc_lo, v[30:31], v[18:19]
	s_add_u32 s6, s6, -1
	s_addc_u32 s7, s7, -1
	s_or_b32 s11, vcc_lo, s11
	s_delay_alu instid0(SALU_CYCLE_1)
	s_and_not1_b32 exec_lo, exec_lo, s11
	s_cbranch_execz .LBB0_16
.LBB0_23:                               ;   Parent Loop BB0_18 Depth=1
                                        ; =>  This Inner Loop Header: Depth=2
	s_cmp_eq_u64 s[6:7], 0
	s_cbranch_scc1 .LBB0_22
; %bb.24:                               ;   in Loop: Header=BB0_23 Depth=2
	global_load_b64 v[33:34], v[28:29], off
	s_waitcnt vmcnt(0)
	v_mul_f64 v[26:27], v[26:27], v[33:34]
	s_branch .LBB0_22
.LBB0_25:
	s_cbranch_execnz .LBB0_41
	s_branch .LBB0_54
.LBB0_26:
	s_or_b32 exec_lo, exec_lo, s8
.LBB0_27:
	s_mov_b32 s0, 0
.LBB0_28:
	s_delay_alu instid0(SALU_CYCLE_1)
	s_and_not1_b32 vcc_lo, exec_lo, s0
	s_cbranch_vccnz .LBB0_33
; %bb.29:
	s_mov_b32 s4, exec_lo
	s_waitcnt vmcnt(0)
	v_cmpx_lt_i32_e64 v8, v9
	s_cbranch_execz .LBB0_32
; %bb.30:
	v_lshlrev_b64 v[10:11], 3, v[6:7]
	v_mul_lo_u32 v12, v1, s44
	v_mul_lo_u32 v16, v0, s45
	v_mad_u64_u32 v[14:15], null, v0, s44, 0
	v_ashrrev_i32_e32 v13, 31, v8
	v_add_co_u32 v10, vcc_lo, s18, v10
	v_add_co_ci_u32_e32 v11, vcc_lo, s19, v11, vcc_lo
	s_lshl_b64 s[2:3], s[42:43], 3
	s_delay_alu instid0(VALU_DEP_4)
	v_add3_u32 v15, v15, v16, v12
	v_mov_b32_e32 v12, v8
	global_load_b64 v[10:11], v[10:11], off
	s_mov_b32 s5, 0
	v_lshlrev_b64 v[14:15], 3, v[14:15]
	v_lshlrev_b64 v[16:17], 3, v[12:13]
	s_delay_alu instid0(VALU_DEP_1) | instskip(NEXT) | instid1(VALU_DEP_2)
	v_add_co_u32 v18, vcc_lo, v14, v16
	v_add_co_ci_u32_e32 v16, vcc_lo, v15, v17, vcc_lo
	v_lshlrev_b64 v[14:15], 3, v[2:3]
	s_delay_alu instid0(VALU_DEP_3) | instskip(NEXT) | instid1(VALU_DEP_3)
	v_mul_lo_u32 v21, s43, v18
	v_mul_lo_u32 v20, s42, v16
	s_delay_alu instid0(VALU_DEP_3) | instskip(SKIP_2) | instid1(VALU_DEP_3)
	v_mad_u64_u32 v[16:17], null, s42, v18, v[14:15]
	v_lshlrev_b64 v[18:19], 3, v[4:5]
	v_ashrrev_i32_e32 v15, 31, v9
	v_add3_u32 v14, v21, v17, v20
	s_delay_alu instid0(VALU_DEP_3) | instskip(NEXT) | instid1(VALU_DEP_2)
	v_sub_co_u32 v16, vcc_lo, v16, v18
	v_sub_co_ci_u32_e32 v17, vcc_lo, v14, v19, vcc_lo
	s_delay_alu instid0(VALU_DEP_2) | instskip(SKIP_1) | instid1(VALU_DEP_3)
	v_add_co_u32 v16, vcc_lo, s16, v16
	v_mov_b32_e32 v14, v9
	v_add_co_ci_u32_e32 v17, vcc_lo, s17, v17, vcc_lo
.LBB0_31:                               ; =>This Inner Loop Header: Depth=1
	v_add_co_u32 v12, vcc_lo, v12, 1
	v_add_co_ci_u32_e32 v13, vcc_lo, 0, v13, vcc_lo
	s_waitcnt vmcnt(0)
	global_store_b64 v[16:17], v[10:11], off
	v_add_co_u32 v16, s0, v16, s2
	v_cmp_ge_i64_e32 vcc_lo, v[12:13], v[14:15]
	v_add_co_ci_u32_e64 v17, s0, s3, v17, s0
	s_or_b32 s5, vcc_lo, s5
	s_delay_alu instid0(SALU_CYCLE_1)
	s_and_not1_b32 exec_lo, exec_lo, s5
	s_cbranch_execnz .LBB0_31
.LBB0_32:
	s_or_b32 exec_lo, exec_lo, s4
.LBB0_33:
	s_mov_b32 s0, 0
.LBB0_34:
	s_delay_alu instid0(SALU_CYCLE_1)
	s_and_not1_b32 vcc_lo, exec_lo, s0
	s_cbranch_vccnz .LBB0_40
; %bb.35:
	s_cmp_lg_u32 s1, 1
	s_cbranch_scc1 .LBB0_40
; %bb.36:
	s_mov_b32 s1, exec_lo
	s_waitcnt vmcnt(0)
	v_cmpx_lt_i32_e64 v8, v9
	s_cbranch_execz .LBB0_39
; %bb.37:
	v_lshlrev_b64 v[10:11], 3, v[6:7]
	v_cvt_f64_i32_e32 v[14:15], v32
	s_lshl_b64 s[2:3], s[42:43], 3
	s_mov_b32 s4, 0
	s_delay_alu instid0(VALU_DEP_2) | instskip(NEXT) | instid1(VALU_DEP_3)
	v_add_co_u32 v10, vcc_lo, s18, v10
	v_add_co_ci_u32_e32 v11, vcc_lo, s19, v11, vcc_lo
	global_load_b64 v[12:13], v[10:11], off
	s_waitcnt vmcnt(0)
	v_div_scale_f64 v[10:11], null, v[14:15], v[14:15], v[12:13]
	s_delay_alu instid0(VALU_DEP_1) | instskip(SKIP_2) | instid1(VALU_DEP_1)
	v_rcp_f64_e32 v[16:17], v[10:11]
	s_waitcnt_depctr 0xfff
	v_fma_f64 v[18:19], -v[10:11], v[16:17], 1.0
	v_fma_f64 v[16:17], v[16:17], v[18:19], v[16:17]
	s_delay_alu instid0(VALU_DEP_1) | instskip(NEXT) | instid1(VALU_DEP_1)
	v_fma_f64 v[18:19], -v[10:11], v[16:17], 1.0
	v_fma_f64 v[16:17], v[16:17], v[18:19], v[16:17]
	v_div_scale_f64 v[18:19], vcc_lo, v[12:13], v[14:15], v[12:13]
	s_delay_alu instid0(VALU_DEP_1) | instskip(NEXT) | instid1(VALU_DEP_1)
	v_mul_f64 v[20:21], v[18:19], v[16:17]
	v_fma_f64 v[10:11], -v[10:11], v[20:21], v[18:19]
	v_mad_u64_u32 v[18:19], null, v0, s44, 0
	s_delay_alu instid0(VALU_DEP_2) | instskip(SKIP_3) | instid1(VALU_DEP_2)
	v_div_fmas_f64 v[16:17], v[10:11], v[16:17], v[20:21]
	v_mul_lo_u32 v10, v1, s44
	v_mul_lo_u32 v20, v0, s45
	v_ashrrev_i32_e32 v11, 31, v8
	v_add3_u32 v19, v19, v20, v10
	v_mov_b32_e32 v10, v8
	s_delay_alu instid0(VALU_DEP_2) | instskip(NEXT) | instid1(VALU_DEP_2)
	v_lshlrev_b64 v[18:19], 3, v[18:19]
	v_lshlrev_b64 v[20:21], 3, v[10:11]
	s_delay_alu instid0(VALU_DEP_1) | instskip(SKIP_2) | instid1(VALU_DEP_4)
	v_add_co_u32 v18, vcc_lo, v18, v20
	v_div_fixup_f64 v[12:13], v[16:17], v[14:15], v[12:13]
	v_lshlrev_b64 v[14:15], 3, v[2:3]
	v_add_co_ci_u32_e32 v16, vcc_lo, v19, v21, vcc_lo
	s_delay_alu instid0(VALU_DEP_4) | instskip(NEXT) | instid1(VALU_DEP_2)
	v_mul_lo_u32 v21, s43, v18
	v_mul_lo_u32 v20, s42, v16
	s_delay_alu instid0(VALU_DEP_4) | instskip(SKIP_2) | instid1(VALU_DEP_3)
	v_mad_u64_u32 v[16:17], null, s42, v18, v[14:15]
	v_lshlrev_b64 v[18:19], 3, v[4:5]
	v_ashrrev_i32_e32 v15, 31, v9
	v_add3_u32 v14, v21, v17, v20
	s_delay_alu instid0(VALU_DEP_3) | instskip(NEXT) | instid1(VALU_DEP_2)
	v_sub_co_u32 v16, vcc_lo, v16, v18
	v_sub_co_ci_u32_e32 v17, vcc_lo, v14, v19, vcc_lo
	s_delay_alu instid0(VALU_DEP_2) | instskip(SKIP_1) | instid1(VALU_DEP_3)
	v_add_co_u32 v16, vcc_lo, s16, v16
	v_mov_b32_e32 v14, v9
	v_add_co_ci_u32_e32 v17, vcc_lo, s17, v17, vcc_lo
.LBB0_38:                               ; =>This Inner Loop Header: Depth=1
	v_add_co_u32 v10, vcc_lo, v10, 1
	v_add_co_ci_u32_e32 v11, vcc_lo, 0, v11, vcc_lo
	global_store_b64 v[16:17], v[12:13], off
	v_add_co_u32 v16, s0, v16, s2
	v_cmp_ge_i64_e32 vcc_lo, v[10:11], v[14:15]
	v_add_co_ci_u32_e64 v17, s0, s3, v17, s0
	s_or_b32 s4, vcc_lo, s4
	s_delay_alu instid0(SALU_CYCLE_1)
	s_and_not1_b32 exec_lo, exec_lo, s4
	s_cbranch_execnz .LBB0_38
.LBB0_39:
	s_or_b32 exec_lo, exec_lo, s1
.LBB0_40:
	s_branch .LBB0_54
.LBB0_41:
	v_mov_b32_e32 v14, 0
	s_waitcnt vmcnt(0)
	v_ashrrev_i32_e32 v11, 31, v8
	v_dual_mov_b32 v10, v8 :: v_dual_mov_b32 v15, 0
	v_ashrrev_i32_e32 v13, 31, v9
	v_mov_b32_e32 v12, v9
	v_cmp_ge_i32_e32 vcc_lo, v8, v9
	s_mov_b32 s4, exec_lo
	v_cmpx_lt_i32_e64 v8, v9
	s_cbranch_execz .LBB0_49
; %bb.42:
	v_mad_u64_u32 v[8:9], null, v0, s44, v[10:11]
	v_mul_lo_u32 v14, v0, s45
	v_mul_lo_u32 v15, v1, s44
	s_lshl_b64 s[2:3], s[42:43], 3
	s_mov_b32 s5, 0
	v_dual_mov_b32 v19, v11 :: v_dual_mov_b32 v18, v10
	s_delay_alu instid0(VALU_DEP_4) | instskip(NEXT) | instid1(VALU_DEP_3)
	v_mul_lo_u32 v16, s43, v8
	v_add3_u32 v9, v15, v9, v14
	v_mad_u64_u32 v[14:15], null, s42, v8, v[2:3]
	s_delay_alu instid0(VALU_DEP_2) | instskip(SKIP_1) | instid1(VALU_DEP_1)
	v_mul_lo_u32 v17, s42, v9
	v_lshlrev_b64 v[8:9], 3, v[6:7]
	v_add_co_u32 v6, s0, s20, v8
	s_delay_alu instid0(VALU_DEP_3) | instskip(NEXT) | instid1(VALU_DEP_3)
	v_add3_u32 v15, v16, v15, v17
	v_add_co_ci_u32_e64 v7, s0, s21, v9, s0
	v_sub_co_u32 v14, s0, v14, v4
	s_delay_alu instid0(VALU_DEP_1) | instskip(SKIP_1) | instid1(VALU_DEP_1)
	v_sub_co_ci_u32_e64 v15, s0, v15, v5, s0
	v_add_co_u32 v8, s0, s18, v8
	v_add_co_ci_u32_e64 v9, s0, s19, v9, s0
	s_delay_alu instid0(VALU_DEP_3)
	v_lshlrev_b64 v[16:17], 3, v[14:15]
	v_mov_b32_e32 v14, 0
	v_mov_b32_e32 v15, 0
	s_set_inst_prefetch_distance 0x1
	s_branch .LBB0_44
	.p2align	6
.LBB0_43:                               ;   in Loop: Header=BB0_44 Depth=1
	s_or_b32 exec_lo, exec_lo, s6
	v_add_co_u32 v18, s0, v18, 1
	s_delay_alu instid0(VALU_DEP_1) | instskip(SKIP_1) | instid1(VALU_DEP_1)
	v_add_co_ci_u32_e64 v19, s0, 0, v19, s0
	v_add_co_u32 v16, s1, v16, s2
	v_add_co_ci_u32_e64 v17, s1, s3, v17, s1
	s_delay_alu instid0(VALU_DEP_3) | instskip(NEXT) | instid1(VALU_DEP_1)
	v_cmp_ge_i64_e64 s0, v[18:19], v[12:13]
	s_or_b32 s5, s0, s5
	s_delay_alu instid0(SALU_CYCLE_1)
	s_and_not1_b32 exec_lo, exec_lo, s5
	s_cbranch_execz .LBB0_48
.LBB0_44:                               ; =>This Inner Loop Header: Depth=1
	s_delay_alu instid0(VALU_DEP_3) | instskip(NEXT) | instid1(VALU_DEP_1)
	v_add_co_u32 v20, s0, s22, v16
	v_add_co_ci_u32_e64 v21, s0, s23, v17, s0
	s_mov_b32 s6, exec_lo
	global_load_b64 v[20:21], v[20:21], off
	s_waitcnt vmcnt(0)
	v_cmp_u_f64_e64 s1, v[20:21], v[20:21]
	v_cmpx_o_f64_e32 v[20:21], v[20:21]
	s_cbranch_execz .LBB0_46
; %bb.45:                               ;   in Loop: Header=BB0_44 Depth=1
	global_load_b64 v[22:23], v[6:7], off
	s_and_not1_b32 s1, s1, exec_lo
	s_waitcnt vmcnt(0)
	v_cmp_eq_f64_e64 s0, v[20:21], v[22:23]
	s_delay_alu instid0(VALU_DEP_1) | instskip(NEXT) | instid1(SALU_CYCLE_1)
	s_and_b32 s0, s0, exec_lo
	s_or_b32 s1, s1, s0
.LBB0_46:                               ;   in Loop: Header=BB0_44 Depth=1
	s_or_b32 exec_lo, exec_lo, s6
	s_delay_alu instid0(VALU_DEP_2)
	s_and_saveexec_b32 s6, s1
	s_cbranch_execz .LBB0_43
; %bb.47:                               ;   in Loop: Header=BB0_44 Depth=1
	global_load_b64 v[20:21], v[8:9], off
	v_add_co_u32 v22, s0, s16, v16
	s_delay_alu instid0(VALU_DEP_1) | instskip(SKIP_1) | instid1(VALU_DEP_1)
	v_add_co_ci_u32_e64 v23, s0, s17, v17, s0
	v_add_co_u32 v14, s0, v14, 1
	v_add_co_ci_u32_e64 v15, s0, 0, v15, s0
	s_waitcnt vmcnt(0)
	global_store_b64 v[22:23], v[20:21], off
	s_branch .LBB0_43
.LBB0_48:
	s_set_inst_prefetch_distance 0x2
	s_or_b32 exec_lo, exec_lo, s5
.LBB0_49:
	s_delay_alu instid0(SALU_CYCLE_1)
	s_or_b32 exec_lo, exec_lo, s4
	v_cmp_lt_i64_e64 s0, 1, v[14:15]
	s_xor_b32 s1, vcc_lo, -1
	s_delay_alu instid0(VALU_DEP_1) | instid1(SALU_CYCLE_1)
	s_and_b32 s0, s0, s1
	s_delay_alu instid0(SALU_CYCLE_1)
	s_and_b32 exec_lo, exec_lo, s0
	s_cbranch_execz .LBB0_54
; %bb.50:
	v_cvt_f64_u32_e32 v[6:7], v15
	v_cvt_f64_u32_e32 v[8:9], v14
	v_mul_lo_u32 v1, v1, s44
	v_mul_lo_u32 v16, v0, s45
	v_mad_u64_u32 v[14:15], null, v0, s44, 0
	v_lshlrev_b64 v[2:3], 3, v[2:3]
	s_lshl_b64 s[2:3], s[42:43], 3
	s_mov_b32 s1, 0
	s_delay_alu instid0(VALU_DEP_2) | instskip(SKIP_1) | instid1(VALU_DEP_2)
	v_add3_u32 v15, v15, v16, v1
	v_lshlrev_b64 v[16:17], 3, v[10:11]
	v_lshlrev_b64 v[14:15], 3, v[14:15]
	v_ldexp_f64 v[6:7], v[6:7], 32
	s_delay_alu instid0(VALU_DEP_1) | instskip(NEXT) | instid1(VALU_DEP_3)
	v_add_f64 v[0:1], v[6:7], v[8:9]
	v_add_co_u32 v8, vcc_lo, v14, v16
	s_delay_alu instid0(VALU_DEP_4) | instskip(NEXT) | instid1(VALU_DEP_2)
	v_add_co_ci_u32_e32 v6, vcc_lo, v15, v17, vcc_lo
	v_mul_lo_u32 v14, s43, v8
	s_delay_alu instid0(VALU_DEP_2) | instskip(SKIP_2) | instid1(VALU_DEP_2)
	v_mul_lo_u32 v9, s42, v6
	v_mad_u64_u32 v[6:7], null, s42, v8, v[2:3]
	v_lshlrev_b64 v[2:3], 3, v[4:5]
	v_add3_u32 v4, v14, v7, v9
	s_delay_alu instid0(VALU_DEP_2) | instskip(NEXT) | instid1(VALU_DEP_2)
	v_sub_co_u32 v2, vcc_lo, v6, v2
	v_sub_co_ci_u32_e32 v3, vcc_lo, v4, v3, vcc_lo
	s_delay_alu instid0(VALU_DEP_2) | instskip(NEXT) | instid1(VALU_DEP_2)
	v_add_co_u32 v2, vcc_lo, s16, v2
	v_add_co_ci_u32_e32 v3, vcc_lo, s17, v3, vcc_lo
	s_set_inst_prefetch_distance 0x1
	s_branch .LBB0_52
	.p2align	6
.LBB0_51:                               ;   in Loop: Header=BB0_52 Depth=1
	s_or_b32 exec_lo, exec_lo, s0
	v_add_co_u32 v10, vcc_lo, v10, 1
	v_add_co_ci_u32_e32 v11, vcc_lo, 0, v11, vcc_lo
	v_add_co_u32 v2, s0, v2, s2
	s_delay_alu instid0(VALU_DEP_1) | instskip(NEXT) | instid1(VALU_DEP_3)
	v_add_co_ci_u32_e64 v3, s0, s3, v3, s0
	v_cmp_ge_i64_e32 vcc_lo, v[10:11], v[12:13]
	s_or_b32 s1, vcc_lo, s1
	s_delay_alu instid0(SALU_CYCLE_1)
	s_and_not1_b32 exec_lo, exec_lo, s1
	s_cbranch_execz .LBB0_54
.LBB0_52:                               ; =>This Inner Loop Header: Depth=1
	global_load_b64 v[4:5], v[2:3], off
	s_mov_b32 s0, exec_lo
	s_waitcnt vmcnt(0)
	v_cmpx_lt_f64_e32 0, v[4:5]
	s_cbranch_execz .LBB0_51
; %bb.53:                               ;   in Loop: Header=BB0_52 Depth=1
	v_div_scale_f64 v[6:7], null, v[0:1], v[0:1], v[4:5]
	s_delay_alu instid0(VALU_DEP_1) | instskip(SKIP_2) | instid1(VALU_DEP_1)
	v_rcp_f64_e32 v[8:9], v[6:7]
	s_waitcnt_depctr 0xfff
	v_fma_f64 v[14:15], -v[6:7], v[8:9], 1.0
	v_fma_f64 v[8:9], v[8:9], v[14:15], v[8:9]
	s_delay_alu instid0(VALU_DEP_1) | instskip(NEXT) | instid1(VALU_DEP_1)
	v_fma_f64 v[14:15], -v[6:7], v[8:9], 1.0
	v_fma_f64 v[8:9], v[8:9], v[14:15], v[8:9]
	v_div_scale_f64 v[14:15], vcc_lo, v[4:5], v[0:1], v[4:5]
	s_delay_alu instid0(VALU_DEP_1) | instskip(NEXT) | instid1(VALU_DEP_1)
	v_mul_f64 v[16:17], v[14:15], v[8:9]
	v_fma_f64 v[6:7], -v[6:7], v[16:17], v[14:15]
	s_delay_alu instid0(VALU_DEP_1) | instskip(NEXT) | instid1(VALU_DEP_1)
	v_div_fmas_f64 v[6:7], v[6:7], v[8:9], v[16:17]
	v_div_fixup_f64 v[4:5], v[6:7], v[0:1], v[4:5]
	global_store_b64 v[2:3], v[4:5], off
	s_branch .LBB0_51
.LBB0_54:
	s_set_inst_prefetch_distance 0x2
	s_nop 0
	s_sendmsg sendmsg(MSG_DEALLOC_VGPRS)
	s_endpgm
	.section	.rodata,"a",@progbits
	.p2align	6, 0x0
	.amdhsa_kernel _ZN2at6native12_GLOBAL__N_130segment_reduce_backward_kernelIdiEEvNS0_13ReductionTypeEPT_PKS4_S7_S7_PKT0_SA_llS4_lllllll
		.amdhsa_group_segment_fixed_size 0
		.amdhsa_private_segment_fixed_size 0
		.amdhsa_kernarg_size 392
		.amdhsa_user_sgpr_count 15
		.amdhsa_user_sgpr_dispatch_ptr 0
		.amdhsa_user_sgpr_queue_ptr 0
		.amdhsa_user_sgpr_kernarg_segment_ptr 1
		.amdhsa_user_sgpr_dispatch_id 0
		.amdhsa_user_sgpr_private_segment_size 0
		.amdhsa_wavefront_size32 1
		.amdhsa_uses_dynamic_stack 0
		.amdhsa_enable_private_segment 0
		.amdhsa_system_sgpr_workgroup_id_x 1
		.amdhsa_system_sgpr_workgroup_id_y 0
		.amdhsa_system_sgpr_workgroup_id_z 0
		.amdhsa_system_sgpr_workgroup_info 0
		.amdhsa_system_vgpr_workitem_id 0
		.amdhsa_next_free_vgpr 37
		.amdhsa_next_free_sgpr 52
		.amdhsa_reserve_vcc 1
		.amdhsa_float_round_mode_32 0
		.amdhsa_float_round_mode_16_64 0
		.amdhsa_float_denorm_mode_32 3
		.amdhsa_float_denorm_mode_16_64 3
		.amdhsa_dx10_clamp 1
		.amdhsa_ieee_mode 1
		.amdhsa_fp16_overflow 0
		.amdhsa_workgroup_processor_mode 1
		.amdhsa_memory_ordered 1
		.amdhsa_forward_progress 0
		.amdhsa_shared_vgpr_count 0
		.amdhsa_exception_fp_ieee_invalid_op 0
		.amdhsa_exception_fp_denorm_src 0
		.amdhsa_exception_fp_ieee_div_zero 0
		.amdhsa_exception_fp_ieee_overflow 0
		.amdhsa_exception_fp_ieee_underflow 0
		.amdhsa_exception_fp_ieee_inexact 0
		.amdhsa_exception_int_div_zero 0
	.end_amdhsa_kernel
	.section	.text._ZN2at6native12_GLOBAL__N_130segment_reduce_backward_kernelIdiEEvNS0_13ReductionTypeEPT_PKS4_S7_S7_PKT0_SA_llS4_lllllll,"axG",@progbits,_ZN2at6native12_GLOBAL__N_130segment_reduce_backward_kernelIdiEEvNS0_13ReductionTypeEPT_PKS4_S7_S7_PKT0_SA_llS4_lllllll,comdat
.Lfunc_end0:
	.size	_ZN2at6native12_GLOBAL__N_130segment_reduce_backward_kernelIdiEEvNS0_13ReductionTypeEPT_PKS4_S7_S7_PKT0_SA_llS4_lllllll, .Lfunc_end0-_ZN2at6native12_GLOBAL__N_130segment_reduce_backward_kernelIdiEEvNS0_13ReductionTypeEPT_PKS4_S7_S7_PKT0_SA_llS4_lllllll
                                        ; -- End function
	.section	.AMDGPU.csdata,"",@progbits
; Kernel info:
; codeLenInByte = 4976
; NumSgprs: 54
; NumVgprs: 37
; ScratchSize: 0
; MemoryBound: 1
; FloatMode: 240
; IeeeMode: 1
; LDSByteSize: 0 bytes/workgroup (compile time only)
; SGPRBlocks: 6
; VGPRBlocks: 4
; NumSGPRsForWavesPerEU: 54
; NumVGPRsForWavesPerEU: 37
; Occupancy: 16
; WaveLimiterHint : 0
; COMPUTE_PGM_RSRC2:SCRATCH_EN: 0
; COMPUTE_PGM_RSRC2:USER_SGPR: 15
; COMPUTE_PGM_RSRC2:TRAP_HANDLER: 0
; COMPUTE_PGM_RSRC2:TGID_X_EN: 1
; COMPUTE_PGM_RSRC2:TGID_Y_EN: 0
; COMPUTE_PGM_RSRC2:TGID_Z_EN: 0
; COMPUTE_PGM_RSRC2:TIDIG_COMP_CNT: 0
	.section	.text._ZN2at6native12_GLOBAL__N_130segment_reduce_backward_kernelIfiEEvNS0_13ReductionTypeEPT_PKS4_S7_S7_PKT0_SA_llS4_lllllll,"axG",@progbits,_ZN2at6native12_GLOBAL__N_130segment_reduce_backward_kernelIfiEEvNS0_13ReductionTypeEPT_PKS4_S7_S7_PKT0_SA_llS4_lllllll,comdat
	.globl	_ZN2at6native12_GLOBAL__N_130segment_reduce_backward_kernelIfiEEvNS0_13ReductionTypeEPT_PKS4_S7_S7_PKT0_SA_llS4_lllllll ; -- Begin function _ZN2at6native12_GLOBAL__N_130segment_reduce_backward_kernelIfiEEvNS0_13ReductionTypeEPT_PKS4_S7_S7_PKT0_SA_llS4_lllllll
	.p2align	8
	.type	_ZN2at6native12_GLOBAL__N_130segment_reduce_backward_kernelIfiEEvNS0_13ReductionTypeEPT_PKS4_S7_S7_PKT0_SA_llS4_lllllll,@function
_ZN2at6native12_GLOBAL__N_130segment_reduce_backward_kernelIfiEEvNS0_13ReductionTypeEPT_PKS4_S7_S7_PKT0_SA_llS4_lllllll: ; @_ZN2at6native12_GLOBAL__N_130segment_reduce_backward_kernelIfiEEvNS0_13ReductionTypeEPT_PKS4_S7_S7_PKT0_SA_llS4_lllllll
; %bb.0:
	s_clause 0x2
	s_load_b512 s[16:31], s[0:1], 0x8
	s_load_b32 s2, s[0:1], 0x94
	s_load_b256 s[4:11], s[0:1], 0x50
	v_mov_b32_e32 v4, 0
	s_delay_alu instid0(VALU_DEP_1)
	v_mov_b32_e32 v1, v4
	s_waitcnt lgkmcnt(0)
	s_and_b32 s2, s2, 0xffff
	s_mul_i32 s3, s4, s29
	s_mul_hi_u32 s12, s4, s28
	s_mul_i32 s5, s5, s28
	s_mul_i32 s4, s4, s28
	v_mad_u64_u32 v[2:3], null, s2, s15, v[0:1]
	s_add_i32 s2, s12, s3
	s_mul_i32 s3, s4, s7
	s_mul_hi_u32 s12, s4, s6
	s_add_i32 s2, s2, s5
	s_add_i32 s3, s12, s3
	s_mul_i32 s2, s2, s6
	s_delay_alu instid0(SALU_CYCLE_1) | instskip(SKIP_1) | instid1(SALU_CYCLE_1)
	s_add_i32 s3, s3, s2
	s_mul_i32 s2, s4, s6
	v_cmp_gt_i64_e32 vcc_lo, s[2:3], v[2:3]
	s_and_saveexec_b32 s2, vcc_lo
	s_cbranch_execz .LBB1_54
; %bb.1:
	v_or_b32_e32 v5, s7, v3
                                        ; implicit-def: $vgpr6_vgpr7
	s_mov_b32 s2, exec_lo
	s_delay_alu instid0(VALU_DEP_1)
	v_cmpx_ne_u64_e32 0, v[4:5]
	s_xor_b32 s3, exec_lo, s2
	s_cbranch_execz .LBB1_3
; %bb.2:
	s_ashr_i32 s4, s7, 31
	s_delay_alu instid0(SALU_CYCLE_1) | instskip(SKIP_2) | instid1(SALU_CYCLE_1)
	s_add_u32 s12, s6, s4
	s_mov_b32 s5, s4
	s_addc_u32 s13, s7, s4
	s_xor_b64 s[12:13], s[12:13], s[4:5]
	s_delay_alu instid0(SALU_CYCLE_1) | instskip(SKIP_3) | instid1(VALU_DEP_1)
	v_cvt_f32_u32_e32 v0, s12
	v_cvt_f32_u32_e32 v1, s13
	s_sub_u32 s2, 0, s12
	s_subb_u32 s5, 0, s13
	v_fmamk_f32 v0, v1, 0x4f800000, v0
	s_delay_alu instid0(VALU_DEP_1) | instskip(SKIP_2) | instid1(VALU_DEP_1)
	v_rcp_f32_e32 v0, v0
	s_waitcnt_depctr 0xfff
	v_mul_f32_e32 v0, 0x5f7ffffc, v0
	v_mul_f32_e32 v1, 0x2f800000, v0
	s_delay_alu instid0(VALU_DEP_1) | instskip(NEXT) | instid1(VALU_DEP_1)
	v_trunc_f32_e32 v1, v1
	v_fmamk_f32 v0, v1, 0xcf800000, v0
	v_cvt_u32_f32_e32 v1, v1
	s_delay_alu instid0(VALU_DEP_2) | instskip(NEXT) | instid1(VALU_DEP_2)
	v_cvt_u32_f32_e32 v0, v0
	v_mul_lo_u32 v4, s2, v1
	s_delay_alu instid0(VALU_DEP_2) | instskip(SKIP_1) | instid1(VALU_DEP_2)
	v_mul_hi_u32 v5, s2, v0
	v_mul_lo_u32 v6, s5, v0
	v_add_nc_u32_e32 v4, v5, v4
	v_mul_lo_u32 v5, s2, v0
	s_delay_alu instid0(VALU_DEP_2) | instskip(NEXT) | instid1(VALU_DEP_2)
	v_add_nc_u32_e32 v4, v4, v6
	v_mul_hi_u32 v6, v0, v5
	s_delay_alu instid0(VALU_DEP_2)
	v_mul_lo_u32 v7, v0, v4
	v_mul_hi_u32 v8, v0, v4
	v_mul_hi_u32 v9, v1, v5
	v_mul_lo_u32 v5, v1, v5
	v_mul_hi_u32 v10, v1, v4
	v_mul_lo_u32 v4, v1, v4
	v_add_co_u32 v6, vcc_lo, v6, v7
	v_add_co_ci_u32_e32 v7, vcc_lo, 0, v8, vcc_lo
	s_delay_alu instid0(VALU_DEP_2) | instskip(NEXT) | instid1(VALU_DEP_2)
	v_add_co_u32 v5, vcc_lo, v6, v5
	v_add_co_ci_u32_e32 v5, vcc_lo, v7, v9, vcc_lo
	v_add_co_ci_u32_e32 v6, vcc_lo, 0, v10, vcc_lo
	v_ashrrev_i32_e32 v9, 31, v3
	s_delay_alu instid0(VALU_DEP_3) | instskip(NEXT) | instid1(VALU_DEP_3)
	v_add_co_u32 v4, vcc_lo, v5, v4
	v_add_co_ci_u32_e32 v5, vcc_lo, 0, v6, vcc_lo
	s_delay_alu instid0(VALU_DEP_2) | instskip(NEXT) | instid1(VALU_DEP_2)
	v_add_co_u32 v0, vcc_lo, v0, v4
	v_add_co_ci_u32_e32 v1, vcc_lo, v1, v5, vcc_lo
	s_delay_alu instid0(VALU_DEP_2) | instskip(SKIP_1) | instid1(VALU_DEP_3)
	v_mul_hi_u32 v4, s2, v0
	v_mul_lo_u32 v6, s5, v0
	v_mul_lo_u32 v5, s2, v1
	s_delay_alu instid0(VALU_DEP_1) | instskip(SKIP_1) | instid1(VALU_DEP_2)
	v_add_nc_u32_e32 v4, v4, v5
	v_mul_lo_u32 v5, s2, v0
	v_add_nc_u32_e32 v4, v4, v6
	s_delay_alu instid0(VALU_DEP_2) | instskip(NEXT) | instid1(VALU_DEP_2)
	v_mul_hi_u32 v6, v0, v5
	v_mul_lo_u32 v7, v0, v4
	v_mul_hi_u32 v8, v0, v4
	v_mul_hi_u32 v10, v1, v5
	v_mul_lo_u32 v5, v1, v5
	v_mul_hi_u32 v11, v1, v4
	v_mul_lo_u32 v4, v1, v4
	v_add_co_u32 v6, vcc_lo, v6, v7
	v_add_co_ci_u32_e32 v7, vcc_lo, 0, v8, vcc_lo
	s_delay_alu instid0(VALU_DEP_2) | instskip(NEXT) | instid1(VALU_DEP_2)
	v_add_co_u32 v5, vcc_lo, v6, v5
	v_add_co_ci_u32_e32 v5, vcc_lo, v7, v10, vcc_lo
	v_add_co_ci_u32_e32 v6, vcc_lo, 0, v11, vcc_lo
	v_add_co_u32 v7, vcc_lo, v2, v9
	v_add_co_ci_u32_e32 v8, vcc_lo, v3, v9, vcc_lo
	s_delay_alu instid0(VALU_DEP_4) | instskip(NEXT) | instid1(VALU_DEP_4)
	v_add_co_u32 v4, vcc_lo, v5, v4
	v_add_co_ci_u32_e32 v5, vcc_lo, 0, v6, vcc_lo
	s_delay_alu instid0(VALU_DEP_4) | instskip(NEXT) | instid1(VALU_DEP_3)
	v_xor_b32_e32 v10, v7, v9
	v_add_co_u32 v6, vcc_lo, v0, v4
	s_delay_alu instid0(VALU_DEP_3) | instskip(SKIP_1) | instid1(VALU_DEP_3)
	v_add_co_ci_u32_e32 v11, vcc_lo, v1, v5, vcc_lo
	v_xor_b32_e32 v8, v8, v9
	v_mul_hi_u32 v12, v10, v6
	s_delay_alu instid0(VALU_DEP_3) | instskip(NEXT) | instid1(VALU_DEP_3)
	v_mad_u64_u32 v[0:1], null, v10, v11, 0
	v_mad_u64_u32 v[4:5], null, v8, v6, 0
	;; [unrolled: 1-line block ×3, first 2 shown]
	s_delay_alu instid0(VALU_DEP_3) | instskip(NEXT) | instid1(VALU_DEP_4)
	v_add_co_u32 v0, vcc_lo, v12, v0
	v_add_co_ci_u32_e32 v1, vcc_lo, 0, v1, vcc_lo
	s_delay_alu instid0(VALU_DEP_2) | instskip(NEXT) | instid1(VALU_DEP_2)
	v_add_co_u32 v0, vcc_lo, v0, v4
	v_add_co_ci_u32_e32 v0, vcc_lo, v1, v5, vcc_lo
	v_add_co_ci_u32_e32 v1, vcc_lo, 0, v7, vcc_lo
	s_delay_alu instid0(VALU_DEP_2) | instskip(NEXT) | instid1(VALU_DEP_2)
	v_add_co_u32 v4, vcc_lo, v0, v6
	v_add_co_ci_u32_e32 v5, vcc_lo, 0, v1, vcc_lo
	s_delay_alu instid0(VALU_DEP_2) | instskip(SKIP_1) | instid1(VALU_DEP_3)
	v_mul_lo_u32 v6, s13, v4
	v_mad_u64_u32 v[0:1], null, s12, v4, 0
	v_mul_lo_u32 v7, s12, v5
	s_delay_alu instid0(VALU_DEP_2) | instskip(NEXT) | instid1(VALU_DEP_2)
	v_sub_co_u32 v0, vcc_lo, v10, v0
	v_add3_u32 v1, v1, v7, v6
	s_delay_alu instid0(VALU_DEP_1) | instskip(NEXT) | instid1(VALU_DEP_1)
	v_sub_nc_u32_e32 v6, v8, v1
	v_subrev_co_ci_u32_e64 v6, s2, s13, v6, vcc_lo
	v_add_co_u32 v7, s2, v4, 2
	s_delay_alu instid0(VALU_DEP_1) | instskip(SKIP_3) | instid1(VALU_DEP_3)
	v_add_co_ci_u32_e64 v10, s2, 0, v5, s2
	v_sub_co_u32 v11, s2, v0, s12
	v_sub_co_ci_u32_e32 v1, vcc_lo, v8, v1, vcc_lo
	v_subrev_co_ci_u32_e64 v6, s2, 0, v6, s2
	v_cmp_le_u32_e32 vcc_lo, s12, v11
	s_delay_alu instid0(VALU_DEP_3) | instskip(SKIP_1) | instid1(VALU_DEP_4)
	v_cmp_eq_u32_e64 s2, s13, v1
	v_cndmask_b32_e64 v8, 0, -1, vcc_lo
	v_cmp_le_u32_e32 vcc_lo, s13, v6
	v_cndmask_b32_e64 v11, 0, -1, vcc_lo
	v_cmp_le_u32_e32 vcc_lo, s12, v0
	v_cndmask_b32_e64 v0, 0, -1, vcc_lo
	v_cmp_le_u32_e32 vcc_lo, s13, v1
	v_cndmask_b32_e64 v12, 0, -1, vcc_lo
	v_cmp_eq_u32_e32 vcc_lo, s13, v6
	s_delay_alu instid0(VALU_DEP_2) | instskip(SKIP_3) | instid1(VALU_DEP_3)
	v_cndmask_b32_e64 v0, v12, v0, s2
	v_cndmask_b32_e32 v6, v11, v8, vcc_lo
	v_add_co_u32 v8, vcc_lo, v4, 1
	v_add_co_ci_u32_e32 v11, vcc_lo, 0, v5, vcc_lo
	v_cmp_ne_u32_e32 vcc_lo, 0, v6
	s_delay_alu instid0(VALU_DEP_2) | instskip(SKIP_2) | instid1(VALU_DEP_3)
	v_dual_cndmask_b32 v1, v11, v10 :: v_dual_cndmask_b32 v6, v8, v7
	v_cmp_ne_u32_e32 vcc_lo, 0, v0
	v_xor_b32_e32 v0, s4, v9
	v_dual_cndmask_b32 v4, v4, v6 :: v_dual_cndmask_b32 v1, v5, v1
	s_delay_alu instid0(VALU_DEP_1) | instskip(NEXT) | instid1(VALU_DEP_2)
	v_xor_b32_e32 v4, v4, v0
	v_xor_b32_e32 v1, v1, v0
	s_delay_alu instid0(VALU_DEP_2) | instskip(NEXT) | instid1(VALU_DEP_2)
	v_sub_co_u32 v6, vcc_lo, v4, v0
	v_sub_co_ci_u32_e32 v7, vcc_lo, v1, v0, vcc_lo
.LBB1_3:
	s_and_not1_saveexec_b32 s2, s3
	s_cbranch_execz .LBB1_5
; %bb.4:
	v_cvt_f32_u32_e32 v0, s6
	s_sub_i32 s3, 0, s6
	v_mov_b32_e32 v7, 0
	s_delay_alu instid0(VALU_DEP_2) | instskip(SKIP_2) | instid1(VALU_DEP_1)
	v_rcp_iflag_f32_e32 v0, v0
	s_waitcnt_depctr 0xfff
	v_mul_f32_e32 v0, 0x4f7ffffe, v0
	v_cvt_u32_f32_e32 v0, v0
	s_delay_alu instid0(VALU_DEP_1) | instskip(NEXT) | instid1(VALU_DEP_1)
	v_mul_lo_u32 v1, s3, v0
	v_mul_hi_u32 v1, v0, v1
	s_delay_alu instid0(VALU_DEP_1) | instskip(NEXT) | instid1(VALU_DEP_1)
	v_add_nc_u32_e32 v0, v0, v1
	v_mul_hi_u32 v0, v2, v0
	s_delay_alu instid0(VALU_DEP_1) | instskip(SKIP_1) | instid1(VALU_DEP_2)
	v_mul_lo_u32 v1, v0, s6
	v_add_nc_u32_e32 v4, 1, v0
	v_sub_nc_u32_e32 v1, v2, v1
	s_delay_alu instid0(VALU_DEP_1) | instskip(SKIP_1) | instid1(VALU_DEP_2)
	v_subrev_nc_u32_e32 v5, s6, v1
	v_cmp_le_u32_e32 vcc_lo, s6, v1
	v_dual_cndmask_b32 v1, v1, v5 :: v_dual_cndmask_b32 v0, v0, v4
	s_delay_alu instid0(VALU_DEP_1) | instskip(NEXT) | instid1(VALU_DEP_2)
	v_cmp_le_u32_e32 vcc_lo, s6, v1
	v_add_nc_u32_e32 v4, 1, v0
	s_delay_alu instid0(VALU_DEP_1)
	v_cndmask_b32_e32 v6, v0, v4, vcc_lo
.LBB1_5:
	s_or_b32 exec_lo, exec_lo, s2
	s_delay_alu instid0(VALU_DEP_1) | instskip(SKIP_1) | instid1(VALU_DEP_1)
	v_or_b32_e32 v1, s29, v7
	v_mov_b32_e32 v0, 0
	v_cmp_ne_u64_e32 vcc_lo, 0, v[0:1]
                                        ; implicit-def: $vgpr0_vgpr1
	s_and_saveexec_b32 s2, vcc_lo
	s_delay_alu instid0(SALU_CYCLE_1)
	s_xor_b32 s3, exec_lo, s2
	s_cbranch_execz .LBB1_7
; %bb.6:
	s_ashr_i32 s4, s29, 31
	s_delay_alu instid0(SALU_CYCLE_1) | instskip(SKIP_2) | instid1(SALU_CYCLE_1)
	s_add_u32 s12, s28, s4
	s_mov_b32 s5, s4
	s_addc_u32 s13, s29, s4
	s_xor_b64 s[12:13], s[12:13], s[4:5]
	s_delay_alu instid0(SALU_CYCLE_1) | instskip(SKIP_3) | instid1(VALU_DEP_1)
	v_cvt_f32_u32_e32 v0, s12
	v_cvt_f32_u32_e32 v1, s13
	s_sub_u32 s2, 0, s12
	s_subb_u32 s5, 0, s13
	v_fmamk_f32 v0, v1, 0x4f800000, v0
	s_delay_alu instid0(VALU_DEP_1) | instskip(SKIP_2) | instid1(VALU_DEP_1)
	v_rcp_f32_e32 v0, v0
	s_waitcnt_depctr 0xfff
	v_mul_f32_e32 v0, 0x5f7ffffc, v0
	v_mul_f32_e32 v1, 0x2f800000, v0
	s_delay_alu instid0(VALU_DEP_1) | instskip(NEXT) | instid1(VALU_DEP_1)
	v_trunc_f32_e32 v1, v1
	v_fmamk_f32 v0, v1, 0xcf800000, v0
	v_cvt_u32_f32_e32 v1, v1
	s_delay_alu instid0(VALU_DEP_2) | instskip(NEXT) | instid1(VALU_DEP_2)
	v_cvt_u32_f32_e32 v0, v0
	v_mul_lo_u32 v4, s2, v1
	s_delay_alu instid0(VALU_DEP_2) | instskip(SKIP_1) | instid1(VALU_DEP_2)
	v_mul_hi_u32 v5, s2, v0
	v_mul_lo_u32 v8, s5, v0
	v_add_nc_u32_e32 v4, v5, v4
	v_mul_lo_u32 v5, s2, v0
	s_delay_alu instid0(VALU_DEP_2) | instskip(NEXT) | instid1(VALU_DEP_2)
	v_add_nc_u32_e32 v4, v4, v8
	v_mul_hi_u32 v8, v0, v5
	s_delay_alu instid0(VALU_DEP_2)
	v_mul_lo_u32 v9, v0, v4
	v_mul_hi_u32 v10, v0, v4
	v_mul_hi_u32 v11, v1, v5
	v_mul_lo_u32 v5, v1, v5
	v_mul_hi_u32 v12, v1, v4
	v_mul_lo_u32 v4, v1, v4
	v_add_co_u32 v8, vcc_lo, v8, v9
	v_add_co_ci_u32_e32 v9, vcc_lo, 0, v10, vcc_lo
	s_delay_alu instid0(VALU_DEP_2) | instskip(NEXT) | instid1(VALU_DEP_2)
	v_add_co_u32 v5, vcc_lo, v8, v5
	v_add_co_ci_u32_e32 v5, vcc_lo, v9, v11, vcc_lo
	v_add_co_ci_u32_e32 v8, vcc_lo, 0, v12, vcc_lo
	v_ashrrev_i32_e32 v11, 31, v7
	s_delay_alu instid0(VALU_DEP_3) | instskip(NEXT) | instid1(VALU_DEP_3)
	v_add_co_u32 v4, vcc_lo, v5, v4
	v_add_co_ci_u32_e32 v5, vcc_lo, 0, v8, vcc_lo
	s_delay_alu instid0(VALU_DEP_2) | instskip(NEXT) | instid1(VALU_DEP_2)
	v_add_co_u32 v0, vcc_lo, v0, v4
	v_add_co_ci_u32_e32 v1, vcc_lo, v1, v5, vcc_lo
	s_delay_alu instid0(VALU_DEP_2) | instskip(SKIP_1) | instid1(VALU_DEP_3)
	v_mul_hi_u32 v4, s2, v0
	v_mul_lo_u32 v8, s5, v0
	v_mul_lo_u32 v5, s2, v1
	s_delay_alu instid0(VALU_DEP_1) | instskip(SKIP_1) | instid1(VALU_DEP_2)
	v_add_nc_u32_e32 v4, v4, v5
	v_mul_lo_u32 v5, s2, v0
	v_add_nc_u32_e32 v4, v4, v8
	s_delay_alu instid0(VALU_DEP_2) | instskip(NEXT) | instid1(VALU_DEP_2)
	v_mul_hi_u32 v8, v0, v5
	v_mul_lo_u32 v9, v0, v4
	v_mul_hi_u32 v10, v0, v4
	v_mul_hi_u32 v12, v1, v5
	v_mul_lo_u32 v5, v1, v5
	v_mul_hi_u32 v13, v1, v4
	v_mul_lo_u32 v4, v1, v4
	v_add_co_u32 v8, vcc_lo, v8, v9
	v_add_co_ci_u32_e32 v9, vcc_lo, 0, v10, vcc_lo
	s_delay_alu instid0(VALU_DEP_2) | instskip(NEXT) | instid1(VALU_DEP_2)
	v_add_co_u32 v5, vcc_lo, v8, v5
	v_add_co_ci_u32_e32 v5, vcc_lo, v9, v12, vcc_lo
	v_add_co_ci_u32_e32 v8, vcc_lo, 0, v13, vcc_lo
	v_add_co_u32 v9, vcc_lo, v6, v11
	v_add_co_ci_u32_e32 v10, vcc_lo, v7, v11, vcc_lo
	s_delay_alu instid0(VALU_DEP_4) | instskip(NEXT) | instid1(VALU_DEP_4)
	v_add_co_u32 v4, vcc_lo, v5, v4
	v_add_co_ci_u32_e32 v5, vcc_lo, 0, v8, vcc_lo
	s_delay_alu instid0(VALU_DEP_4) | instskip(NEXT) | instid1(VALU_DEP_3)
	v_xor_b32_e32 v12, v9, v11
	v_add_co_u32 v8, vcc_lo, v0, v4
	s_delay_alu instid0(VALU_DEP_3) | instskip(SKIP_1) | instid1(VALU_DEP_3)
	v_add_co_ci_u32_e32 v13, vcc_lo, v1, v5, vcc_lo
	v_xor_b32_e32 v10, v10, v11
	v_mul_hi_u32 v14, v12, v8
	s_delay_alu instid0(VALU_DEP_3) | instskip(NEXT) | instid1(VALU_DEP_3)
	v_mad_u64_u32 v[0:1], null, v12, v13, 0
	v_mad_u64_u32 v[4:5], null, v10, v8, 0
	;; [unrolled: 1-line block ×3, first 2 shown]
	s_delay_alu instid0(VALU_DEP_3) | instskip(NEXT) | instid1(VALU_DEP_4)
	v_add_co_u32 v0, vcc_lo, v14, v0
	v_add_co_ci_u32_e32 v1, vcc_lo, 0, v1, vcc_lo
	s_delay_alu instid0(VALU_DEP_2) | instskip(NEXT) | instid1(VALU_DEP_2)
	v_add_co_u32 v0, vcc_lo, v0, v4
	v_add_co_ci_u32_e32 v0, vcc_lo, v1, v5, vcc_lo
	v_add_co_ci_u32_e32 v1, vcc_lo, 0, v9, vcc_lo
	s_delay_alu instid0(VALU_DEP_2) | instskip(NEXT) | instid1(VALU_DEP_2)
	v_add_co_u32 v4, vcc_lo, v0, v8
	v_add_co_ci_u32_e32 v5, vcc_lo, 0, v1, vcc_lo
	s_delay_alu instid0(VALU_DEP_2) | instskip(SKIP_1) | instid1(VALU_DEP_3)
	v_mul_lo_u32 v8, s13, v4
	v_mad_u64_u32 v[0:1], null, s12, v4, 0
	v_mul_lo_u32 v9, s12, v5
	s_delay_alu instid0(VALU_DEP_2) | instskip(NEXT) | instid1(VALU_DEP_2)
	v_sub_co_u32 v0, vcc_lo, v12, v0
	v_add3_u32 v1, v1, v9, v8
	s_delay_alu instid0(VALU_DEP_1) | instskip(NEXT) | instid1(VALU_DEP_1)
	v_sub_nc_u32_e32 v8, v10, v1
	v_subrev_co_ci_u32_e64 v8, s2, s13, v8, vcc_lo
	v_add_co_u32 v9, s2, v4, 2
	s_delay_alu instid0(VALU_DEP_1) | instskip(SKIP_3) | instid1(VALU_DEP_3)
	v_add_co_ci_u32_e64 v12, s2, 0, v5, s2
	v_sub_co_u32 v13, s2, v0, s12
	v_sub_co_ci_u32_e32 v1, vcc_lo, v10, v1, vcc_lo
	v_subrev_co_ci_u32_e64 v8, s2, 0, v8, s2
	v_cmp_le_u32_e32 vcc_lo, s12, v13
	s_delay_alu instid0(VALU_DEP_3) | instskip(SKIP_1) | instid1(VALU_DEP_4)
	v_cmp_eq_u32_e64 s2, s13, v1
	v_cndmask_b32_e64 v10, 0, -1, vcc_lo
	v_cmp_le_u32_e32 vcc_lo, s13, v8
	v_cndmask_b32_e64 v13, 0, -1, vcc_lo
	v_cmp_le_u32_e32 vcc_lo, s12, v0
	;; [unrolled: 2-line block ×3, first 2 shown]
	v_cndmask_b32_e64 v14, 0, -1, vcc_lo
	v_cmp_eq_u32_e32 vcc_lo, s13, v8
	s_delay_alu instid0(VALU_DEP_2) | instskip(SKIP_3) | instid1(VALU_DEP_3)
	v_cndmask_b32_e64 v0, v14, v0, s2
	v_cndmask_b32_e32 v8, v13, v10, vcc_lo
	v_add_co_u32 v10, vcc_lo, v4, 1
	v_add_co_ci_u32_e32 v13, vcc_lo, 0, v5, vcc_lo
	v_cmp_ne_u32_e32 vcc_lo, 0, v8
	s_delay_alu instid0(VALU_DEP_2) | instskip(SKIP_2) | instid1(VALU_DEP_3)
	v_dual_cndmask_b32 v1, v13, v12 :: v_dual_cndmask_b32 v8, v10, v9
	v_cmp_ne_u32_e32 vcc_lo, 0, v0
	v_xor_b32_e32 v9, s4, v11
	v_dual_cndmask_b32 v0, v5, v1 :: v_dual_cndmask_b32 v1, v4, v8
	s_delay_alu instid0(VALU_DEP_1) | instskip(NEXT) | instid1(VALU_DEP_2)
	v_xor_b32_e32 v4, v0, v9
	v_xor_b32_e32 v1, v1, v9
	s_delay_alu instid0(VALU_DEP_1) | instskip(NEXT) | instid1(VALU_DEP_3)
	v_sub_co_u32 v0, vcc_lo, v1, v9
	v_sub_co_ci_u32_e32 v1, vcc_lo, v4, v9, vcc_lo
.LBB1_7:
	s_and_not1_saveexec_b32 s2, s3
	s_cbranch_execz .LBB1_9
; %bb.8:
	v_cvt_f32_u32_e32 v0, s28
	s_sub_i32 s3, 0, s28
	s_delay_alu instid0(VALU_DEP_1) | instskip(SKIP_2) | instid1(VALU_DEP_1)
	v_rcp_iflag_f32_e32 v0, v0
	s_waitcnt_depctr 0xfff
	v_mul_f32_e32 v0, 0x4f7ffffe, v0
	v_cvt_u32_f32_e32 v0, v0
	s_delay_alu instid0(VALU_DEP_1) | instskip(NEXT) | instid1(VALU_DEP_1)
	v_mul_lo_u32 v1, s3, v0
	v_mul_hi_u32 v1, v0, v1
	s_delay_alu instid0(VALU_DEP_1) | instskip(NEXT) | instid1(VALU_DEP_1)
	v_add_nc_u32_e32 v0, v0, v1
	v_mul_hi_u32 v0, v6, v0
	s_delay_alu instid0(VALU_DEP_1) | instskip(SKIP_1) | instid1(VALU_DEP_2)
	v_mul_lo_u32 v1, v0, s28
	v_add_nc_u32_e32 v4, 1, v0
	v_sub_nc_u32_e32 v1, v6, v1
	s_delay_alu instid0(VALU_DEP_1) | instskip(SKIP_1) | instid1(VALU_DEP_2)
	v_subrev_nc_u32_e32 v5, s28, v1
	v_cmp_le_u32_e32 vcc_lo, s28, v1
	v_dual_cndmask_b32 v1, v1, v5 :: v_dual_cndmask_b32 v0, v0, v4
	s_delay_alu instid0(VALU_DEP_1) | instskip(NEXT) | instid1(VALU_DEP_2)
	v_cmp_le_u32_e32 vcc_lo, s28, v1
	v_dual_mov_b32 v1, 0 :: v_dual_add_nc_u32 v4, 1, v0
	s_delay_alu instid0(VALU_DEP_1)
	v_cndmask_b32_e32 v0, v0, v4, vcc_lo
.LBB1_9:
	s_or_b32 exec_lo, exec_lo, s2
	s_delay_alu instid0(VALU_DEP_1) | instskip(NEXT) | instid1(VALU_DEP_2)
	v_mul_lo_u32 v8, v1, s28
	v_mul_lo_u32 v9, v0, s29
	v_mad_u64_u32 v[4:5], null, v0, s28, 0
	s_delay_alu instid0(VALU_DEP_1) | instskip(NEXT) | instid1(VALU_DEP_2)
	v_add3_u32 v5, v5, v9, v8
	v_mul_lo_u32 v10, v4, s31
	v_mad_u64_u32 v[8:9], null, v4, s30, 0
	s_delay_alu instid0(VALU_DEP_3) | instskip(NEXT) | instid1(VALU_DEP_1)
	v_mul_lo_u32 v11, v5, s30
	v_add3_u32 v9, v9, v10, v11
	v_sub_co_u32 v10, vcc_lo, v6, v4
	v_sub_co_ci_u32_e32 v11, vcc_lo, v7, v5, vcc_lo
	s_delay_alu instid0(VALU_DEP_3) | instskip(NEXT) | instid1(VALU_DEP_2)
	v_lshlrev_b64 v[8:9], 2, v[8:9]
	v_lshlrev_b64 v[4:5], 2, v[10:11]
	s_delay_alu instid0(VALU_DEP_2) | instskip(NEXT) | instid1(VALU_DEP_3)
	v_add_co_u32 v8, vcc_lo, s24, v8
	v_add_co_ci_u32_e32 v9, vcc_lo, s25, v9, vcc_lo
	s_delay_alu instid0(VALU_DEP_2) | instskip(NEXT) | instid1(VALU_DEP_2)
	v_add_co_u32 v8, vcc_lo, v8, v4
	v_add_co_ci_u32_e32 v9, vcc_lo, v9, v5, vcc_lo
	global_load_b32 v28, v[8:9], off
	s_waitcnt vmcnt(0)
	v_cmp_ne_u32_e32 vcc_lo, 0, v28
	s_and_b32 exec_lo, exec_lo, vcc_lo
	s_cbranch_execz .LBB1_54
; %bb.10:
	s_load_b256 s[36:43], s[0:1], 0x70
	s_add_u32 s2, s28, 1
	s_addc_u32 s3, s29, 0
	v_mul_lo_u32 v7, v7, s6
	v_mul_lo_u32 v14, v6, s7
	s_load_b32 s12, s[0:1], 0x0
	s_waitcnt lgkmcnt(0)
	s_mul_i32 s4, s2, s41
	s_mul_hi_u32 s5, s2, s40
	s_mul_i32 s3, s3, s40
	s_add_i32 s4, s5, s4
	s_mul_i32 s2, s2, s40
	s_add_i32 s4, s4, s3
	v_mul_lo_u32 v12, s2, v1
	v_mad_u64_u32 v[8:9], null, s2, v0, 0
	v_mul_lo_u32 v13, s4, v0
	s_and_b32 s2, s12, -3
	s_delay_alu instid0(SALU_CYCLE_1) | instskip(NEXT) | instid1(VALU_DEP_1)
	s_cmp_lg_u32 s2, 0
	v_add3_u32 v9, v9, v12, v13
	v_mad_u64_u32 v[12:13], null, v0, s38, v[10:11]
	v_mul_lo_u32 v10, v1, s38
	s_delay_alu instid0(VALU_DEP_3) | instskip(NEXT) | instid1(VALU_DEP_3)
	v_lshlrev_b64 v[8:9], 2, v[8:9]
	v_mul_lo_u32 v11, v12, s37
	s_delay_alu instid0(VALU_DEP_2) | instskip(NEXT) | instid1(VALU_DEP_3)
	v_add_co_u32 v8, vcc_lo, s26, v8
	v_add_co_ci_u32_e32 v9, vcc_lo, s27, v9, vcc_lo
	s_delay_alu instid0(VALU_DEP_2) | instskip(NEXT) | instid1(VALU_DEP_2)
	v_add_co_u32 v4, vcc_lo, v8, v4
	v_add_co_ci_u32_e32 v5, vcc_lo, v9, v5, vcc_lo
	global_load_b64 v[8:9], v[4:5], off
	v_mad_u64_u32 v[4:5], null, v6, s6, 0
	v_mul_lo_u32 v6, v0, s39
	s_delay_alu instid0(VALU_DEP_2) | instskip(NEXT) | instid1(VALU_DEP_3)
	v_add3_u32 v5, v5, v14, v7
	v_sub_co_u32 v16, vcc_lo, v2, v4
	s_delay_alu instid0(VALU_DEP_3) | instskip(NEXT) | instid1(VALU_DEP_3)
	v_add3_u32 v10, v10, v13, v6
	v_sub_co_ci_u32_e32 v17, vcc_lo, v3, v5, vcc_lo
	s_delay_alu instid0(VALU_DEP_2) | instskip(NEXT) | instid1(VALU_DEP_2)
	v_mul_lo_u32 v10, v10, s36
	v_mad_u64_u32 v[6:7], null, v12, s36, v[16:17]
	s_delay_alu instid0(VALU_DEP_1)
	v_add3_u32 v7, v10, v7, v11
	s_cbranch_scc0 .LBB1_25
; %bb.11:
	s_cmp_lt_i32 s12, 3
	s_mov_b32 s2, -1
	s_cbranch_scc1 .LBB1_34
; %bb.12:
	s_cmp_lt_i32 s12, 4
	s_cbranch_scc1 .LBB1_28
; %bb.13:
	s_cmp_eq_u32 s12, 4
	s_cbranch_scc0 .LBB1_27
; %bb.14:
	s_mov_b32 s13, exec_lo
	s_waitcnt vmcnt(0)
	v_cmpx_lt_i32_e64 v8, v9
	s_cbranch_execz .LBB1_26
; %bb.15:
	v_lshlrev_b64 v[12:13], 2, v[6:7]
	v_mul_lo_u32 v14, v1, s10
	v_mul_lo_u32 v15, v0, s11
	v_mad_u64_u32 v[18:19], null, v0, s10, 0
	s_load_b32 s1, s[0:1], 0x48
	s_delay_alu instid0(VALU_DEP_4)
	v_add_co_u32 v10, vcc_lo, s18, v12
	v_add_co_ci_u32_e32 v11, vcc_lo, s19, v13, vcc_lo
	v_add_co_u32 v12, vcc_lo, s20, v12
	v_add_co_ci_u32_e32 v13, vcc_lo, s21, v13, vcc_lo
	v_add3_u32 v19, v19, v15, v14
	global_load_b32 v24, v[10:11], off
	global_load_b32 v25, v[12:13], off
	v_ashrrev_i32_e32 v13, 31, v8
	v_mov_b32_e32 v12, v8
	v_lshlrev_b64 v[20:21], 2, v[18:19]
	v_mul_lo_u32 v29, v18, s9
	s_lshl_b64 s[2:3], s[8:9], 2
	s_mov_b64 s[4:5], 0
	v_lshlrev_b64 v[14:15], 2, v[12:13]
	s_mov_b32 s14, 0
	s_delay_alu instid0(VALU_DEP_1) | instskip(NEXT) | instid1(VALU_DEP_2)
	v_add_co_u32 v22, vcc_lo, v20, v14
	v_add_co_ci_u32_e32 v20, vcc_lo, v21, v15, vcc_lo
	v_lshlrev_b64 v[14:15], 2, v[2:3]
	s_delay_alu instid0(VALU_DEP_3) | instskip(NEXT) | instid1(VALU_DEP_3)
	v_mul_lo_u32 v27, s9, v22
	v_mul_lo_u32 v26, s8, v20
	s_delay_alu instid0(VALU_DEP_3)
	v_mad_u64_u32 v[20:21], null, s8, v22, v[14:15]
	v_lshlrev_b64 v[22:23], 2, v[4:5]
	v_mad_u64_u32 v[14:15], null, v18, s8, v[16:17]
	v_mul_lo_u32 v18, v19, s8
	v_ashrrev_i32_e32 v17, 31, v9
	v_mov_b32_e32 v16, v9
	v_add3_u32 v19, v27, v21, v26
	v_sub_co_u32 v20, vcc_lo, v20, v22
	s_delay_alu instid0(VALU_DEP_2) | instskip(SKIP_1) | instid1(VALU_DEP_3)
	v_sub_co_ci_u32_e32 v19, vcc_lo, v19, v23, vcc_lo
	v_add3_u32 v15, v18, v15, v29
	v_add_co_u32 v18, vcc_lo, s22, v20
	s_delay_alu instid0(VALU_DEP_3)
	v_add_co_ci_u32_e32 v19, vcc_lo, s23, v19, vcc_lo
	v_dual_mov_b32 v21, v13 :: v_dual_mov_b32 v20, v12
	s_waitcnt vmcnt(0)
	v_mul_f32_e32 v29, v24, v25
	s_branch .LBB1_18
.LBB1_16:                               ;   in Loop: Header=BB1_18 Depth=1
	s_or_b32 exec_lo, exec_lo, s24
	global_load_b32 v24, v[10:11], off
	s_waitcnt vmcnt(0)
	v_mul_f32_e32 v24, v30, v24
.LBB1_17:                               ;   in Loop: Header=BB1_18 Depth=1
	s_or_b32 exec_lo, exec_lo, s15
	v_add_co_u32 v20, vcc_lo, v20, 1
	v_add_co_ci_u32_e32 v21, vcc_lo, 0, v21, vcc_lo
	v_add_co_u32 v22, s0, s16, v22
	s_delay_alu instid0(VALU_DEP_1) | instskip(NEXT) | instid1(VALU_DEP_3)
	v_add_co_ci_u32_e64 v23, s0, s17, v23, s0
	v_cmp_ge_i64_e32 vcc_lo, v[20:21], v[16:17]
	s_add_u32 s4, s4, 1
	s_addc_u32 s5, s5, 0
	global_store_b32 v[22:23], v24, off
	s_or_b32 s14, vcc_lo, s14
	s_delay_alu instid0(SALU_CYCLE_1)
	s_and_not1_b32 exec_lo, exec_lo, s14
	s_cbranch_execz .LBB1_26
.LBB1_18:                               ; =>This Loop Header: Depth=1
                                        ;     Child Loop BB1_23 Depth 2
	s_delay_alu instid0(VALU_DEP_2) | instskip(SKIP_3) | instid1(VALU_DEP_1)
	v_mad_u64_u32 v[22:23], null, v20, s8, v[14:15]
	v_mul_lo_u32 v24, v20, s9
	v_mul_lo_u32 v25, v21, s8
	s_mov_b32 s0, exec_lo
	v_add3_u32 v23, v25, v23, v24
	s_delay_alu instid0(VALU_DEP_1) | instskip(NEXT) | instid1(VALU_DEP_1)
	v_lshlrev_b64 v[22:23], 2, v[22:23]
	v_add_co_u32 v24, vcc_lo, s22, v22
	s_delay_alu instid0(VALU_DEP_2)
	v_add_co_ci_u32_e32 v25, vcc_lo, s23, v23, vcc_lo
	global_load_b32 v25, v[24:25], off
                                        ; implicit-def: $vgpr24
	s_waitcnt vmcnt(0)
	v_cmpx_lg_f32_e32 0, v25
	s_xor_b32 s0, exec_lo, s0
; %bb.19:                               ;   in Loop: Header=BB1_18 Depth=1
	v_div_scale_f32 v24, null, v25, v25, v29
	s_delay_alu instid0(VALU_DEP_1) | instskip(SKIP_2) | instid1(VALU_DEP_1)
	v_rcp_f32_e32 v26, v24
	s_waitcnt_depctr 0xfff
	v_fma_f32 v27, -v24, v26, 1.0
	v_fmac_f32_e32 v26, v27, v26
	v_div_scale_f32 v27, vcc_lo, v29, v25, v29
	s_delay_alu instid0(VALU_DEP_1) | instskip(NEXT) | instid1(VALU_DEP_1)
	v_mul_f32_e32 v30, v27, v26
	v_fma_f32 v31, -v24, v30, v27
	s_delay_alu instid0(VALU_DEP_1) | instskip(NEXT) | instid1(VALU_DEP_1)
	v_fmac_f32_e32 v30, v31, v26
	v_fma_f32 v24, -v24, v30, v27
	s_delay_alu instid0(VALU_DEP_1) | instskip(NEXT) | instid1(VALU_DEP_1)
	v_div_fmas_f32 v24, v24, v26, v30
	v_div_fixup_f32 v24, v24, v25, v29
; %bb.20:                               ;   in Loop: Header=BB1_18 Depth=1
	s_and_not1_saveexec_b32 s15, s0
	s_cbranch_execz .LBB1_17
; %bb.21:                               ;   in Loop: Header=BB1_18 Depth=1
	s_waitcnt lgkmcnt(0)
	v_dual_mov_b32 v30, s1 :: v_dual_mov_b32 v25, v19
	v_dual_mov_b32 v24, v18 :: v_dual_mov_b32 v27, v13
	v_mov_b32_e32 v26, v12
	s_mov_b32 s24, 0
	s_mov_b64 s[6:7], s[4:5]
	s_branch .LBB1_23
	.p2align	6
.LBB1_22:                               ;   in Loop: Header=BB1_23 Depth=2
	v_add_co_u32 v26, vcc_lo, v26, 1
	v_add_co_ci_u32_e32 v27, vcc_lo, 0, v27, vcc_lo
	v_add_co_u32 v24, s0, v24, s2
	s_delay_alu instid0(VALU_DEP_1) | instskip(NEXT) | instid1(VALU_DEP_3)
	v_add_co_ci_u32_e64 v25, s0, s3, v25, s0
	v_cmp_ge_i64_e32 vcc_lo, v[26:27], v[16:17]
	s_add_u32 s6, s6, -1
	s_addc_u32 s7, s7, -1
	s_or_b32 s24, vcc_lo, s24
	s_delay_alu instid0(SALU_CYCLE_1)
	s_and_not1_b32 exec_lo, exec_lo, s24
	s_cbranch_execz .LBB1_16
.LBB1_23:                               ;   Parent Loop BB1_18 Depth=1
                                        ; =>  This Inner Loop Header: Depth=2
	s_cmp_eq_u64 s[6:7], 0
	s_cbranch_scc1 .LBB1_22
; %bb.24:                               ;   in Loop: Header=BB1_23 Depth=2
	global_load_b32 v31, v[24:25], off
	s_waitcnt vmcnt(0)
	v_mul_f32_e32 v30, v30, v31
	s_branch .LBB1_22
.LBB1_25:
	s_cbranch_execnz .LBB1_41
	s_branch .LBB1_54
.LBB1_26:
	s_or_b32 exec_lo, exec_lo, s13
.LBB1_27:
	s_mov_b32 s2, 0
.LBB1_28:
	s_delay_alu instid0(SALU_CYCLE_1)
	s_and_not1_b32 vcc_lo, exec_lo, s2
	s_cbranch_vccnz .LBB1_33
; %bb.29:
	s_waitcnt lgkmcnt(0)
	s_mov_b32 s1, exec_lo
	s_waitcnt vmcnt(0)
	v_cmpx_lt_i32_e64 v8, v9
	s_cbranch_execz .LBB1_32
; %bb.30:
	v_lshlrev_b64 v[10:11], 2, v[6:7]
	v_mul_lo_u32 v14, v0, s11
	v_mad_u64_u32 v[12:13], null, v0, s10, 0
	s_lshl_b64 s[2:3], s[8:9], 2
	s_mov_b32 s4, 0
	s_delay_alu instid0(VALU_DEP_3) | instskip(SKIP_4) | instid1(VALU_DEP_2)
	v_add_co_u32 v10, vcc_lo, s18, v10
	v_add_co_ci_u32_e32 v11, vcc_lo, s19, v11, vcc_lo
	global_load_b32 v16, v[10:11], off
	v_mul_lo_u32 v10, v1, s10
	v_ashrrev_i32_e32 v11, 31, v8
	v_add3_u32 v13, v13, v14, v10
	v_mov_b32_e32 v10, v8
	s_delay_alu instid0(VALU_DEP_2) | instskip(NEXT) | instid1(VALU_DEP_2)
	v_lshlrev_b64 v[12:13], 2, v[12:13]
	v_lshlrev_b64 v[14:15], 2, v[10:11]
	s_delay_alu instid0(VALU_DEP_1) | instskip(NEXT) | instid1(VALU_DEP_2)
	v_add_co_u32 v17, vcc_lo, v12, v14
	v_add_co_ci_u32_e32 v14, vcc_lo, v13, v15, vcc_lo
	v_lshlrev_b64 v[12:13], 2, v[2:3]
	s_delay_alu instid0(VALU_DEP_3) | instskip(NEXT) | instid1(VALU_DEP_3)
	v_mul_lo_u32 v20, s9, v17
	v_mul_lo_u32 v19, s8, v14
	s_delay_alu instid0(VALU_DEP_3) | instskip(SKIP_2) | instid1(VALU_DEP_3)
	v_mad_u64_u32 v[14:15], null, s8, v17, v[12:13]
	v_lshlrev_b64 v[17:18], 2, v[4:5]
	v_ashrrev_i32_e32 v13, 31, v9
	v_add3_u32 v12, v20, v15, v19
	s_delay_alu instid0(VALU_DEP_3) | instskip(NEXT) | instid1(VALU_DEP_2)
	v_sub_co_u32 v14, vcc_lo, v14, v17
	v_sub_co_ci_u32_e32 v15, vcc_lo, v12, v18, vcc_lo
	s_delay_alu instid0(VALU_DEP_2) | instskip(SKIP_1) | instid1(VALU_DEP_3)
	v_add_co_u32 v14, vcc_lo, s16, v14
	v_mov_b32_e32 v12, v9
	v_add_co_ci_u32_e32 v15, vcc_lo, s17, v15, vcc_lo
.LBB1_31:                               ; =>This Inner Loop Header: Depth=1
	v_add_co_u32 v10, vcc_lo, v10, 1
	v_add_co_ci_u32_e32 v11, vcc_lo, 0, v11, vcc_lo
	s_waitcnt vmcnt(0)
	global_store_b32 v[14:15], v16, off
	v_add_co_u32 v14, s0, v14, s2
	v_cmp_ge_i64_e32 vcc_lo, v[10:11], v[12:13]
	v_add_co_ci_u32_e64 v15, s0, s3, v15, s0
	s_or_b32 s4, vcc_lo, s4
	s_delay_alu instid0(SALU_CYCLE_1)
	s_and_not1_b32 exec_lo, exec_lo, s4
	s_cbranch_execnz .LBB1_31
.LBB1_32:
	s_or_b32 exec_lo, exec_lo, s1
.LBB1_33:
	s_mov_b32 s2, 0
.LBB1_34:
	s_delay_alu instid0(SALU_CYCLE_1)
	s_and_not1_b32 vcc_lo, exec_lo, s2
	s_cbranch_vccnz .LBB1_40
; %bb.35:
	s_cmp_lg_u32 s12, 1
	s_cbranch_scc1 .LBB1_40
; %bb.36:
	s_waitcnt lgkmcnt(0)
	s_mov_b32 s1, exec_lo
	s_waitcnt vmcnt(0)
	v_cmpx_lt_i32_e64 v8, v9
	s_cbranch_execz .LBB1_39
; %bb.37:
	v_lshlrev_b64 v[10:11], 2, v[6:7]
	v_cvt_f32_i32_e32 v19, v28
	v_mul_lo_u32 v14, v1, s10
	v_mul_lo_u32 v15, v0, s11
	v_mad_u64_u32 v[12:13], null, v0, s10, 0
	v_add_co_u32 v10, vcc_lo, s18, v10
	v_add_co_ci_u32_e32 v11, vcc_lo, s19, v11, vcc_lo
	s_lshl_b64 s[2:3], s[8:9], 2
	s_mov_b32 s4, 0
	s_delay_alu instid0(VALU_DEP_3) | instskip(SKIP_4) | instid1(VALU_DEP_2)
	v_add3_u32 v13, v13, v15, v14
	global_load_b32 v18, v[10:11], off
	v_ashrrev_i32_e32 v11, 31, v8
	v_mov_b32_e32 v10, v8
	v_lshlrev_b64 v[12:13], 2, v[12:13]
	v_lshlrev_b64 v[14:15], 2, v[10:11]
	s_waitcnt vmcnt(0)
	v_div_scale_f32 v16, null, v19, v19, v18
	v_div_scale_f32 v21, vcc_lo, v18, v19, v18
	s_delay_alu instid0(VALU_DEP_2) | instskip(SKIP_2) | instid1(VALU_DEP_1)
	v_rcp_f32_e32 v20, v16
	s_waitcnt_depctr 0xfff
	v_fma_f32 v17, -v16, v20, 1.0
	v_fmac_f32_e32 v20, v17, v20
	v_add_co_u32 v17, s0, v12, v14
	s_delay_alu instid0(VALU_DEP_1) | instskip(NEXT) | instid1(VALU_DEP_3)
	v_add_co_ci_u32_e64 v14, s0, v13, v15, s0
	v_mul_f32_e32 v22, v21, v20
	v_lshlrev_b64 v[12:13], 2, v[2:3]
	s_delay_alu instid0(VALU_DEP_4) | instskip(NEXT) | instid1(VALU_DEP_4)
	v_mul_lo_u32 v25, s9, v17
	v_mul_lo_u32 v24, s8, v14
	s_delay_alu instid0(VALU_DEP_4) | instskip(NEXT) | instid1(VALU_DEP_4)
	v_fma_f32 v23, -v16, v22, v21
	v_mad_u64_u32 v[14:15], null, s8, v17, v[12:13]
	v_ashrrev_i32_e32 v13, 31, v9
	s_delay_alu instid0(VALU_DEP_3) | instskip(SKIP_1) | instid1(VALU_DEP_4)
	v_fmac_f32_e32 v22, v23, v20
	v_mov_b32_e32 v12, v9
	v_add3_u32 v15, v25, v15, v24
	s_delay_alu instid0(VALU_DEP_3) | instskip(SKIP_1) | instid1(VALU_DEP_2)
	v_fma_f32 v21, -v16, v22, v21
	v_lshlrev_b64 v[16:17], 2, v[4:5]
	v_div_fmas_f32 v20, v21, v20, v22
	s_delay_alu instid0(VALU_DEP_2) | instskip(NEXT) | instid1(VALU_DEP_3)
	v_sub_co_u32 v14, vcc_lo, v14, v16
	v_sub_co_ci_u32_e32 v15, vcc_lo, v15, v17, vcc_lo
	s_delay_alu instid0(VALU_DEP_3) | instskip(NEXT) | instid1(VALU_DEP_3)
	v_div_fixup_f32 v16, v20, v19, v18
	v_add_co_u32 v14, vcc_lo, s16, v14
	s_delay_alu instid0(VALU_DEP_3)
	v_add_co_ci_u32_e32 v15, vcc_lo, s17, v15, vcc_lo
.LBB1_38:                               ; =>This Inner Loop Header: Depth=1
	v_add_co_u32 v10, vcc_lo, v10, 1
	v_add_co_ci_u32_e32 v11, vcc_lo, 0, v11, vcc_lo
	global_store_b32 v[14:15], v16, off
	v_add_co_u32 v14, s0, v14, s2
	v_cmp_ge_i64_e32 vcc_lo, v[10:11], v[12:13]
	v_add_co_ci_u32_e64 v15, s0, s3, v15, s0
	s_or_b32 s4, vcc_lo, s4
	s_delay_alu instid0(SALU_CYCLE_1)
	s_and_not1_b32 exec_lo, exec_lo, s4
	s_cbranch_execnz .LBB1_38
.LBB1_39:
	s_or_b32 exec_lo, exec_lo, s1
.LBB1_40:
	s_branch .LBB1_54
.LBB1_41:
	v_mov_b32_e32 v14, 0
	s_waitcnt vmcnt(0)
	v_ashrrev_i32_e32 v11, 31, v8
	v_dual_mov_b32 v10, v8 :: v_dual_mov_b32 v15, 0
	v_ashrrev_i32_e32 v13, 31, v9
	v_mov_b32_e32 v12, v9
	v_cmp_ge_i32_e32 vcc_lo, v8, v9
	s_mov_b32 s4, exec_lo
	v_cmpx_lt_i32_e64 v8, v9
	s_cbranch_execz .LBB1_49
; %bb.42:
	v_mad_u64_u32 v[8:9], null, v0, s10, v[10:11]
	v_mul_lo_u32 v14, v0, s11
	v_mul_lo_u32 v15, v1, s10
	s_lshl_b64 s[2:3], s[8:9], 2
	s_mov_b32 s5, 0
	v_dual_mov_b32 v19, v11 :: v_dual_mov_b32 v18, v10
	s_delay_alu instid0(VALU_DEP_4) | instskip(NEXT) | instid1(VALU_DEP_3)
	v_mul_lo_u32 v16, s9, v8
	v_add3_u32 v9, v15, v9, v14
	v_mad_u64_u32 v[14:15], null, s8, v8, v[2:3]
	s_delay_alu instid0(VALU_DEP_2) | instskip(SKIP_1) | instid1(VALU_DEP_1)
	v_mul_lo_u32 v17, s8, v9
	v_lshlrev_b64 v[8:9], 2, v[6:7]
	v_add_co_u32 v6, s0, s20, v8
	s_delay_alu instid0(VALU_DEP_3) | instskip(NEXT) | instid1(VALU_DEP_3)
	v_add3_u32 v15, v16, v15, v17
	v_add_co_ci_u32_e64 v7, s0, s21, v9, s0
	v_sub_co_u32 v14, s0, v14, v4
	s_delay_alu instid0(VALU_DEP_1) | instskip(SKIP_1) | instid1(VALU_DEP_1)
	v_sub_co_ci_u32_e64 v15, s0, v15, v5, s0
	v_add_co_u32 v8, s0, s18, v8
	v_add_co_ci_u32_e64 v9, s0, s19, v9, s0
	s_delay_alu instid0(VALU_DEP_3)
	v_lshlrev_b64 v[16:17], 2, v[14:15]
	v_mov_b32_e32 v14, 0
	v_mov_b32_e32 v15, 0
	s_set_inst_prefetch_distance 0x1
	s_branch .LBB1_44
	.p2align	6
.LBB1_43:                               ;   in Loop: Header=BB1_44 Depth=1
	s_or_b32 exec_lo, exec_lo, s6
	v_add_co_u32 v18, s0, v18, 1
	s_delay_alu instid0(VALU_DEP_1) | instskip(SKIP_1) | instid1(VALU_DEP_1)
	v_add_co_ci_u32_e64 v19, s0, 0, v19, s0
	v_add_co_u32 v16, s1, v16, s2
	v_add_co_ci_u32_e64 v17, s1, s3, v17, s1
	s_delay_alu instid0(VALU_DEP_3) | instskip(NEXT) | instid1(VALU_DEP_1)
	v_cmp_ge_i64_e64 s0, v[18:19], v[12:13]
	s_or_b32 s5, s0, s5
	s_delay_alu instid0(SALU_CYCLE_1)
	s_and_not1_b32 exec_lo, exec_lo, s5
	s_cbranch_execz .LBB1_48
.LBB1_44:                               ; =>This Inner Loop Header: Depth=1
	s_delay_alu instid0(VALU_DEP_3) | instskip(NEXT) | instid1(VALU_DEP_1)
	v_add_co_u32 v20, s0, s22, v16
	v_add_co_ci_u32_e64 v21, s0, s23, v17, s0
	s_mov_b32 s6, exec_lo
	global_load_b32 v20, v[20:21], off
	s_waitcnt vmcnt(0) lgkmcnt(0)
	v_cmp_u_f32_e64 s1, v20, v20
	v_cmpx_o_f32_e32 v20, v20
	s_cbranch_execz .LBB1_46
; %bb.45:                               ;   in Loop: Header=BB1_44 Depth=1
	global_load_b32 v21, v[6:7], off
	s_and_not1_b32 s1, s1, exec_lo
	s_waitcnt vmcnt(0)
	v_cmp_eq_f32_e64 s0, v20, v21
	s_delay_alu instid0(VALU_DEP_1) | instskip(NEXT) | instid1(SALU_CYCLE_1)
	s_and_b32 s0, s0, exec_lo
	s_or_b32 s1, s1, s0
.LBB1_46:                               ;   in Loop: Header=BB1_44 Depth=1
	s_or_b32 exec_lo, exec_lo, s6
	s_delay_alu instid0(VALU_DEP_2)
	s_and_saveexec_b32 s6, s1
	s_cbranch_execz .LBB1_43
; %bb.47:                               ;   in Loop: Header=BB1_44 Depth=1
	global_load_b32 v22, v[8:9], off
	v_add_co_u32 v20, s0, s16, v16
	s_delay_alu instid0(VALU_DEP_1) | instskip(SKIP_1) | instid1(VALU_DEP_1)
	v_add_co_ci_u32_e64 v21, s0, s17, v17, s0
	v_add_co_u32 v14, s0, v14, 1
	v_add_co_ci_u32_e64 v15, s0, 0, v15, s0
	s_waitcnt vmcnt(0)
	global_store_b32 v[20:21], v22, off
	s_branch .LBB1_43
.LBB1_48:
	s_set_inst_prefetch_distance 0x2
	s_or_b32 exec_lo, exec_lo, s5
.LBB1_49:
	s_delay_alu instid0(SALU_CYCLE_1)
	s_or_b32 exec_lo, exec_lo, s4
	v_cmp_lt_i64_e64 s0, 1, v[14:15]
	s_waitcnt lgkmcnt(0)
	s_xor_b32 s1, vcc_lo, -1
	s_delay_alu instid0(VALU_DEP_1) | instid1(SALU_CYCLE_1)
	s_and_b32 s0, s0, s1
	s_delay_alu instid0(SALU_CYCLE_1)
	s_and_b32 exec_lo, exec_lo, s0
	s_cbranch_execz .LBB1_54
; %bb.50:
	v_mul_lo_u32 v1, v1, s10
	v_mul_lo_u32 v8, v0, s11
	v_mad_u64_u32 v[6:7], null, v0, s10, 0
	v_clz_i32_u32_e32 v9, v15
	s_lshl_b64 s[2:3], s[8:9], 2
	s_mov_b32 s1, 0
	s_delay_alu instid0(VALU_DEP_1) | instskip(NEXT) | instid1(VALU_DEP_3)
	v_min_u32_e32 v16, 32, v9
	v_add3_u32 v7, v7, v8, v1
	v_lshlrev_b64 v[0:1], 2, v[10:11]
	s_delay_alu instid0(VALU_DEP_3) | instskip(NEXT) | instid1(VALU_DEP_3)
	v_lshlrev_b64 v[8:9], v16, v[14:15]
	v_lshlrev_b64 v[6:7], 2, v[6:7]
	s_delay_alu instid0(VALU_DEP_2) | instskip(NEXT) | instid1(VALU_DEP_2)
	v_min_u32_e32 v8, 1, v8
	v_add_co_u32 v6, vcc_lo, v6, v0
	s_delay_alu instid0(VALU_DEP_3) | instskip(SKIP_1) | instid1(VALU_DEP_3)
	v_add_co_ci_u32_e32 v7, vcc_lo, v7, v1, vcc_lo
	v_lshlrev_b64 v[0:1], 2, v[2:3]
	v_mul_lo_u32 v14, s9, v6
	s_delay_alu instid0(VALU_DEP_3) | instskip(NEXT) | instid1(VALU_DEP_3)
	v_mul_lo_u32 v7, s8, v7
	v_mad_u64_u32 v[2:3], null, s8, v6, v[0:1]
	v_lshlrev_b64 v[0:1], 2, v[4:5]
	v_or_b32_e32 v6, v9, v8
	v_sub_nc_u32_e32 v5, 32, v16
	s_delay_alu instid0(VALU_DEP_4) | instskip(NEXT) | instid1(VALU_DEP_4)
	v_add3_u32 v3, v14, v3, v7
	v_sub_co_u32 v0, vcc_lo, v2, v0
	s_delay_alu instid0(VALU_DEP_4) | instskip(NEXT) | instid1(VALU_DEP_3)
	v_cvt_f32_u32_e32 v4, v6
	v_sub_co_ci_u32_e32 v1, vcc_lo, v3, v1, vcc_lo
	s_delay_alu instid0(VALU_DEP_3) | instskip(NEXT) | instid1(VALU_DEP_3)
	v_add_co_u32 v0, vcc_lo, s16, v0
	v_ldexp_f32 v2, v4, v5
	s_delay_alu instid0(VALU_DEP_3)
	v_add_co_ci_u32_e32 v1, vcc_lo, s17, v1, vcc_lo
	s_set_inst_prefetch_distance 0x1
	s_branch .LBB1_52
	.p2align	6
.LBB1_51:                               ;   in Loop: Header=BB1_52 Depth=1
	s_or_b32 exec_lo, exec_lo, s0
	v_add_co_u32 v10, vcc_lo, v10, 1
	v_add_co_ci_u32_e32 v11, vcc_lo, 0, v11, vcc_lo
	v_add_co_u32 v0, s0, v0, s2
	s_delay_alu instid0(VALU_DEP_1) | instskip(NEXT) | instid1(VALU_DEP_3)
	v_add_co_ci_u32_e64 v1, s0, s3, v1, s0
	v_cmp_ge_i64_e32 vcc_lo, v[10:11], v[12:13]
	s_or_b32 s1, vcc_lo, s1
	s_delay_alu instid0(SALU_CYCLE_1)
	s_and_not1_b32 exec_lo, exec_lo, s1
	s_cbranch_execz .LBB1_54
.LBB1_52:                               ; =>This Inner Loop Header: Depth=1
	global_load_b32 v3, v[0:1], off
	s_mov_b32 s0, exec_lo
	s_waitcnt vmcnt(0)
	v_cmpx_lt_f32_e32 0, v3
	s_cbranch_execz .LBB1_51
; %bb.53:                               ;   in Loop: Header=BB1_52 Depth=1
	v_div_scale_f32 v4, null, v2, v2, v3
	s_delay_alu instid0(VALU_DEP_1) | instskip(SKIP_2) | instid1(VALU_DEP_1)
	v_rcp_f32_e32 v5, v4
	s_waitcnt_depctr 0xfff
	v_fma_f32 v6, -v4, v5, 1.0
	v_fmac_f32_e32 v5, v6, v5
	v_div_scale_f32 v6, vcc_lo, v3, v2, v3
	s_delay_alu instid0(VALU_DEP_1) | instskip(NEXT) | instid1(VALU_DEP_1)
	v_mul_f32_e32 v7, v6, v5
	v_fma_f32 v8, -v4, v7, v6
	s_delay_alu instid0(VALU_DEP_1) | instskip(NEXT) | instid1(VALU_DEP_1)
	v_fmac_f32_e32 v7, v8, v5
	v_fma_f32 v4, -v4, v7, v6
	s_delay_alu instid0(VALU_DEP_1) | instskip(NEXT) | instid1(VALU_DEP_1)
	v_div_fmas_f32 v4, v4, v5, v7
	v_div_fixup_f32 v3, v4, v2, v3
	global_store_b32 v[0:1], v3, off
	s_branch .LBB1_51
.LBB1_54:
	s_set_inst_prefetch_distance 0x2
	s_nop 0
	s_sendmsg sendmsg(MSG_DEALLOC_VGPRS)
	s_endpgm
	.section	.rodata,"a",@progbits
	.p2align	6, 0x0
	.amdhsa_kernel _ZN2at6native12_GLOBAL__N_130segment_reduce_backward_kernelIfiEEvNS0_13ReductionTypeEPT_PKS4_S7_S7_PKT0_SA_llS4_lllllll
		.amdhsa_group_segment_fixed_size 0
		.amdhsa_private_segment_fixed_size 0
		.amdhsa_kernarg_size 392
		.amdhsa_user_sgpr_count 15
		.amdhsa_user_sgpr_dispatch_ptr 0
		.amdhsa_user_sgpr_queue_ptr 0
		.amdhsa_user_sgpr_kernarg_segment_ptr 1
		.amdhsa_user_sgpr_dispatch_id 0
		.amdhsa_user_sgpr_private_segment_size 0
		.amdhsa_wavefront_size32 1
		.amdhsa_uses_dynamic_stack 0
		.amdhsa_enable_private_segment 0
		.amdhsa_system_sgpr_workgroup_id_x 1
		.amdhsa_system_sgpr_workgroup_id_y 0
		.amdhsa_system_sgpr_workgroup_id_z 0
		.amdhsa_system_sgpr_workgroup_info 0
		.amdhsa_system_vgpr_workitem_id 0
		.amdhsa_next_free_vgpr 32
		.amdhsa_next_free_sgpr 44
		.amdhsa_reserve_vcc 1
		.amdhsa_float_round_mode_32 0
		.amdhsa_float_round_mode_16_64 0
		.amdhsa_float_denorm_mode_32 3
		.amdhsa_float_denorm_mode_16_64 3
		.amdhsa_dx10_clamp 1
		.amdhsa_ieee_mode 1
		.amdhsa_fp16_overflow 0
		.amdhsa_workgroup_processor_mode 1
		.amdhsa_memory_ordered 1
		.amdhsa_forward_progress 0
		.amdhsa_shared_vgpr_count 0
		.amdhsa_exception_fp_ieee_invalid_op 0
		.amdhsa_exception_fp_denorm_src 0
		.amdhsa_exception_fp_ieee_div_zero 0
		.amdhsa_exception_fp_ieee_overflow 0
		.amdhsa_exception_fp_ieee_underflow 0
		.amdhsa_exception_fp_ieee_inexact 0
		.amdhsa_exception_int_div_zero 0
	.end_amdhsa_kernel
	.section	.text._ZN2at6native12_GLOBAL__N_130segment_reduce_backward_kernelIfiEEvNS0_13ReductionTypeEPT_PKS4_S7_S7_PKT0_SA_llS4_lllllll,"axG",@progbits,_ZN2at6native12_GLOBAL__N_130segment_reduce_backward_kernelIfiEEvNS0_13ReductionTypeEPT_PKS4_S7_S7_PKT0_SA_llS4_lllllll,comdat
.Lfunc_end1:
	.size	_ZN2at6native12_GLOBAL__N_130segment_reduce_backward_kernelIfiEEvNS0_13ReductionTypeEPT_PKS4_S7_S7_PKT0_SA_llS4_lllllll, .Lfunc_end1-_ZN2at6native12_GLOBAL__N_130segment_reduce_backward_kernelIfiEEvNS0_13ReductionTypeEPT_PKS4_S7_S7_PKT0_SA_llS4_lllllll
                                        ; -- End function
	.section	.AMDGPU.csdata,"",@progbits
; Kernel info:
; codeLenInByte = 4988
; NumSgprs: 46
; NumVgprs: 32
; ScratchSize: 0
; MemoryBound: 0
; FloatMode: 240
; IeeeMode: 1
; LDSByteSize: 0 bytes/workgroup (compile time only)
; SGPRBlocks: 5
; VGPRBlocks: 3
; NumSGPRsForWavesPerEU: 46
; NumVGPRsForWavesPerEU: 32
; Occupancy: 16
; WaveLimiterHint : 1
; COMPUTE_PGM_RSRC2:SCRATCH_EN: 0
; COMPUTE_PGM_RSRC2:USER_SGPR: 15
; COMPUTE_PGM_RSRC2:TRAP_HANDLER: 0
; COMPUTE_PGM_RSRC2:TGID_X_EN: 1
; COMPUTE_PGM_RSRC2:TGID_Y_EN: 0
; COMPUTE_PGM_RSRC2:TGID_Z_EN: 0
; COMPUTE_PGM_RSRC2:TIDIG_COMP_CNT: 0
	.section	.text._ZN2at6native12_GLOBAL__N_130segment_reduce_backward_kernelIN3c108BFloat16EiEEvNS0_13ReductionTypeEPT_PKS6_S9_S9_PKT0_SC_llS6_lllllll,"axG",@progbits,_ZN2at6native12_GLOBAL__N_130segment_reduce_backward_kernelIN3c108BFloat16EiEEvNS0_13ReductionTypeEPT_PKS6_S9_S9_PKT0_SC_llS6_lllllll,comdat
	.globl	_ZN2at6native12_GLOBAL__N_130segment_reduce_backward_kernelIN3c108BFloat16EiEEvNS0_13ReductionTypeEPT_PKS6_S9_S9_PKT0_SC_llS6_lllllll ; -- Begin function _ZN2at6native12_GLOBAL__N_130segment_reduce_backward_kernelIN3c108BFloat16EiEEvNS0_13ReductionTypeEPT_PKS6_S9_S9_PKT0_SC_llS6_lllllll
	.p2align	8
	.type	_ZN2at6native12_GLOBAL__N_130segment_reduce_backward_kernelIN3c108BFloat16EiEEvNS0_13ReductionTypeEPT_PKS6_S9_S9_PKT0_SC_llS6_lllllll,@function
_ZN2at6native12_GLOBAL__N_130segment_reduce_backward_kernelIN3c108BFloat16EiEEvNS0_13ReductionTypeEPT_PKS6_S9_S9_PKT0_SC_llS6_lllllll: ; @_ZN2at6native12_GLOBAL__N_130segment_reduce_backward_kernelIN3c108BFloat16EiEEvNS0_13ReductionTypeEPT_PKS6_S9_S9_PKT0_SC_llS6_lllllll
; %bb.0:
	s_clause 0x2
	s_load_b512 s[16:31], s[0:1], 0x8
	s_load_b32 s2, s[0:1], 0x94
	s_load_b256 s[4:11], s[0:1], 0x50
	v_mov_b32_e32 v4, 0
	s_delay_alu instid0(VALU_DEP_1)
	v_mov_b32_e32 v1, v4
	s_waitcnt lgkmcnt(0)
	s_and_b32 s2, s2, 0xffff
	s_mul_i32 s3, s4, s29
	s_mul_hi_u32 s12, s4, s28
	s_mul_i32 s5, s5, s28
	s_mul_i32 s4, s4, s28
	v_mad_u64_u32 v[2:3], null, s2, s15, v[0:1]
	s_add_i32 s2, s12, s3
	s_mul_i32 s3, s4, s7
	s_mul_hi_u32 s12, s4, s6
	s_add_i32 s2, s2, s5
	s_add_i32 s3, s12, s3
	s_mul_i32 s2, s2, s6
	s_delay_alu instid0(SALU_CYCLE_1) | instskip(SKIP_1) | instid1(SALU_CYCLE_1)
	s_add_i32 s3, s3, s2
	s_mul_i32 s2, s4, s6
	v_cmp_gt_i64_e32 vcc_lo, s[2:3], v[2:3]
	s_and_saveexec_b32 s2, vcc_lo
	s_cbranch_execz .LBB2_75
; %bb.1:
	v_or_b32_e32 v5, s7, v3
                                        ; implicit-def: $vgpr6_vgpr7
	s_mov_b32 s2, exec_lo
	s_delay_alu instid0(VALU_DEP_1)
	v_cmpx_ne_u64_e32 0, v[4:5]
	s_xor_b32 s3, exec_lo, s2
	s_cbranch_execz .LBB2_3
; %bb.2:
	s_ashr_i32 s4, s7, 31
	s_delay_alu instid0(SALU_CYCLE_1) | instskip(SKIP_2) | instid1(SALU_CYCLE_1)
	s_add_u32 s12, s6, s4
	s_mov_b32 s5, s4
	s_addc_u32 s13, s7, s4
	s_xor_b64 s[12:13], s[12:13], s[4:5]
	s_delay_alu instid0(SALU_CYCLE_1) | instskip(SKIP_3) | instid1(VALU_DEP_1)
	v_cvt_f32_u32_e32 v0, s12
	v_cvt_f32_u32_e32 v1, s13
	s_sub_u32 s2, 0, s12
	s_subb_u32 s5, 0, s13
	v_fmamk_f32 v0, v1, 0x4f800000, v0
	s_delay_alu instid0(VALU_DEP_1) | instskip(SKIP_2) | instid1(VALU_DEP_1)
	v_rcp_f32_e32 v0, v0
	s_waitcnt_depctr 0xfff
	v_mul_f32_e32 v0, 0x5f7ffffc, v0
	v_mul_f32_e32 v1, 0x2f800000, v0
	s_delay_alu instid0(VALU_DEP_1) | instskip(NEXT) | instid1(VALU_DEP_1)
	v_trunc_f32_e32 v1, v1
	v_fmamk_f32 v0, v1, 0xcf800000, v0
	v_cvt_u32_f32_e32 v1, v1
	s_delay_alu instid0(VALU_DEP_2) | instskip(NEXT) | instid1(VALU_DEP_2)
	v_cvt_u32_f32_e32 v0, v0
	v_mul_lo_u32 v4, s2, v1
	s_delay_alu instid0(VALU_DEP_2) | instskip(SKIP_1) | instid1(VALU_DEP_2)
	v_mul_hi_u32 v5, s2, v0
	v_mul_lo_u32 v6, s5, v0
	v_add_nc_u32_e32 v4, v5, v4
	v_mul_lo_u32 v5, s2, v0
	s_delay_alu instid0(VALU_DEP_2) | instskip(NEXT) | instid1(VALU_DEP_2)
	v_add_nc_u32_e32 v4, v4, v6
	v_mul_hi_u32 v6, v0, v5
	s_delay_alu instid0(VALU_DEP_2)
	v_mul_lo_u32 v7, v0, v4
	v_mul_hi_u32 v8, v0, v4
	v_mul_hi_u32 v9, v1, v5
	v_mul_lo_u32 v5, v1, v5
	v_mul_hi_u32 v10, v1, v4
	v_mul_lo_u32 v4, v1, v4
	v_add_co_u32 v6, vcc_lo, v6, v7
	v_add_co_ci_u32_e32 v7, vcc_lo, 0, v8, vcc_lo
	s_delay_alu instid0(VALU_DEP_2) | instskip(NEXT) | instid1(VALU_DEP_2)
	v_add_co_u32 v5, vcc_lo, v6, v5
	v_add_co_ci_u32_e32 v5, vcc_lo, v7, v9, vcc_lo
	v_add_co_ci_u32_e32 v6, vcc_lo, 0, v10, vcc_lo
	v_ashrrev_i32_e32 v9, 31, v3
	s_delay_alu instid0(VALU_DEP_3) | instskip(NEXT) | instid1(VALU_DEP_3)
	v_add_co_u32 v4, vcc_lo, v5, v4
	v_add_co_ci_u32_e32 v5, vcc_lo, 0, v6, vcc_lo
	s_delay_alu instid0(VALU_DEP_2) | instskip(NEXT) | instid1(VALU_DEP_2)
	v_add_co_u32 v0, vcc_lo, v0, v4
	v_add_co_ci_u32_e32 v1, vcc_lo, v1, v5, vcc_lo
	s_delay_alu instid0(VALU_DEP_2) | instskip(SKIP_1) | instid1(VALU_DEP_3)
	v_mul_hi_u32 v4, s2, v0
	v_mul_lo_u32 v6, s5, v0
	v_mul_lo_u32 v5, s2, v1
	s_delay_alu instid0(VALU_DEP_1) | instskip(SKIP_1) | instid1(VALU_DEP_2)
	v_add_nc_u32_e32 v4, v4, v5
	v_mul_lo_u32 v5, s2, v0
	v_add_nc_u32_e32 v4, v4, v6
	s_delay_alu instid0(VALU_DEP_2) | instskip(NEXT) | instid1(VALU_DEP_2)
	v_mul_hi_u32 v6, v0, v5
	v_mul_lo_u32 v7, v0, v4
	v_mul_hi_u32 v8, v0, v4
	v_mul_hi_u32 v10, v1, v5
	v_mul_lo_u32 v5, v1, v5
	v_mul_hi_u32 v11, v1, v4
	v_mul_lo_u32 v4, v1, v4
	v_add_co_u32 v6, vcc_lo, v6, v7
	v_add_co_ci_u32_e32 v7, vcc_lo, 0, v8, vcc_lo
	s_delay_alu instid0(VALU_DEP_2) | instskip(NEXT) | instid1(VALU_DEP_2)
	v_add_co_u32 v5, vcc_lo, v6, v5
	v_add_co_ci_u32_e32 v5, vcc_lo, v7, v10, vcc_lo
	v_add_co_ci_u32_e32 v6, vcc_lo, 0, v11, vcc_lo
	v_add_co_u32 v7, vcc_lo, v2, v9
	v_add_co_ci_u32_e32 v8, vcc_lo, v3, v9, vcc_lo
	s_delay_alu instid0(VALU_DEP_4) | instskip(NEXT) | instid1(VALU_DEP_4)
	v_add_co_u32 v4, vcc_lo, v5, v4
	v_add_co_ci_u32_e32 v5, vcc_lo, 0, v6, vcc_lo
	s_delay_alu instid0(VALU_DEP_4) | instskip(NEXT) | instid1(VALU_DEP_3)
	v_xor_b32_e32 v10, v7, v9
	v_add_co_u32 v6, vcc_lo, v0, v4
	s_delay_alu instid0(VALU_DEP_3) | instskip(SKIP_1) | instid1(VALU_DEP_3)
	v_add_co_ci_u32_e32 v11, vcc_lo, v1, v5, vcc_lo
	v_xor_b32_e32 v8, v8, v9
	v_mul_hi_u32 v12, v10, v6
	s_delay_alu instid0(VALU_DEP_3) | instskip(NEXT) | instid1(VALU_DEP_3)
	v_mad_u64_u32 v[0:1], null, v10, v11, 0
	v_mad_u64_u32 v[4:5], null, v8, v6, 0
	;; [unrolled: 1-line block ×3, first 2 shown]
	s_delay_alu instid0(VALU_DEP_3) | instskip(NEXT) | instid1(VALU_DEP_4)
	v_add_co_u32 v0, vcc_lo, v12, v0
	v_add_co_ci_u32_e32 v1, vcc_lo, 0, v1, vcc_lo
	s_delay_alu instid0(VALU_DEP_2) | instskip(NEXT) | instid1(VALU_DEP_2)
	v_add_co_u32 v0, vcc_lo, v0, v4
	v_add_co_ci_u32_e32 v0, vcc_lo, v1, v5, vcc_lo
	v_add_co_ci_u32_e32 v1, vcc_lo, 0, v7, vcc_lo
	s_delay_alu instid0(VALU_DEP_2) | instskip(NEXT) | instid1(VALU_DEP_2)
	v_add_co_u32 v4, vcc_lo, v0, v6
	v_add_co_ci_u32_e32 v5, vcc_lo, 0, v1, vcc_lo
	s_delay_alu instid0(VALU_DEP_2) | instskip(SKIP_1) | instid1(VALU_DEP_3)
	v_mul_lo_u32 v6, s13, v4
	v_mad_u64_u32 v[0:1], null, s12, v4, 0
	v_mul_lo_u32 v7, s12, v5
	s_delay_alu instid0(VALU_DEP_2) | instskip(NEXT) | instid1(VALU_DEP_2)
	v_sub_co_u32 v0, vcc_lo, v10, v0
	v_add3_u32 v1, v1, v7, v6
	s_delay_alu instid0(VALU_DEP_1) | instskip(NEXT) | instid1(VALU_DEP_1)
	v_sub_nc_u32_e32 v6, v8, v1
	v_subrev_co_ci_u32_e64 v6, s2, s13, v6, vcc_lo
	v_add_co_u32 v7, s2, v4, 2
	s_delay_alu instid0(VALU_DEP_1) | instskip(SKIP_3) | instid1(VALU_DEP_3)
	v_add_co_ci_u32_e64 v10, s2, 0, v5, s2
	v_sub_co_u32 v11, s2, v0, s12
	v_sub_co_ci_u32_e32 v1, vcc_lo, v8, v1, vcc_lo
	v_subrev_co_ci_u32_e64 v6, s2, 0, v6, s2
	v_cmp_le_u32_e32 vcc_lo, s12, v11
	s_delay_alu instid0(VALU_DEP_3) | instskip(SKIP_1) | instid1(VALU_DEP_4)
	v_cmp_eq_u32_e64 s2, s13, v1
	v_cndmask_b32_e64 v8, 0, -1, vcc_lo
	v_cmp_le_u32_e32 vcc_lo, s13, v6
	v_cndmask_b32_e64 v11, 0, -1, vcc_lo
	v_cmp_le_u32_e32 vcc_lo, s12, v0
	;; [unrolled: 2-line block ×3, first 2 shown]
	v_cndmask_b32_e64 v12, 0, -1, vcc_lo
	v_cmp_eq_u32_e32 vcc_lo, s13, v6
	s_delay_alu instid0(VALU_DEP_2) | instskip(SKIP_3) | instid1(VALU_DEP_3)
	v_cndmask_b32_e64 v0, v12, v0, s2
	v_cndmask_b32_e32 v6, v11, v8, vcc_lo
	v_add_co_u32 v8, vcc_lo, v4, 1
	v_add_co_ci_u32_e32 v11, vcc_lo, 0, v5, vcc_lo
	v_cmp_ne_u32_e32 vcc_lo, 0, v6
	s_delay_alu instid0(VALU_DEP_2) | instskip(SKIP_2) | instid1(VALU_DEP_3)
	v_dual_cndmask_b32 v1, v11, v10 :: v_dual_cndmask_b32 v6, v8, v7
	v_cmp_ne_u32_e32 vcc_lo, 0, v0
	v_xor_b32_e32 v0, s4, v9
	v_dual_cndmask_b32 v4, v4, v6 :: v_dual_cndmask_b32 v1, v5, v1
	s_delay_alu instid0(VALU_DEP_1) | instskip(NEXT) | instid1(VALU_DEP_2)
	v_xor_b32_e32 v4, v4, v0
	v_xor_b32_e32 v1, v1, v0
	s_delay_alu instid0(VALU_DEP_2) | instskip(NEXT) | instid1(VALU_DEP_2)
	v_sub_co_u32 v6, vcc_lo, v4, v0
	v_sub_co_ci_u32_e32 v7, vcc_lo, v1, v0, vcc_lo
.LBB2_3:
	s_and_not1_saveexec_b32 s2, s3
	s_cbranch_execz .LBB2_5
; %bb.4:
	v_cvt_f32_u32_e32 v0, s6
	s_sub_i32 s3, 0, s6
	v_mov_b32_e32 v7, 0
	s_delay_alu instid0(VALU_DEP_2) | instskip(SKIP_2) | instid1(VALU_DEP_1)
	v_rcp_iflag_f32_e32 v0, v0
	s_waitcnt_depctr 0xfff
	v_mul_f32_e32 v0, 0x4f7ffffe, v0
	v_cvt_u32_f32_e32 v0, v0
	s_delay_alu instid0(VALU_DEP_1) | instskip(NEXT) | instid1(VALU_DEP_1)
	v_mul_lo_u32 v1, s3, v0
	v_mul_hi_u32 v1, v0, v1
	s_delay_alu instid0(VALU_DEP_1) | instskip(NEXT) | instid1(VALU_DEP_1)
	v_add_nc_u32_e32 v0, v0, v1
	v_mul_hi_u32 v0, v2, v0
	s_delay_alu instid0(VALU_DEP_1) | instskip(SKIP_1) | instid1(VALU_DEP_2)
	v_mul_lo_u32 v1, v0, s6
	v_add_nc_u32_e32 v4, 1, v0
	v_sub_nc_u32_e32 v1, v2, v1
	s_delay_alu instid0(VALU_DEP_1) | instskip(SKIP_1) | instid1(VALU_DEP_2)
	v_subrev_nc_u32_e32 v5, s6, v1
	v_cmp_le_u32_e32 vcc_lo, s6, v1
	v_dual_cndmask_b32 v1, v1, v5 :: v_dual_cndmask_b32 v0, v0, v4
	s_delay_alu instid0(VALU_DEP_1) | instskip(NEXT) | instid1(VALU_DEP_2)
	v_cmp_le_u32_e32 vcc_lo, s6, v1
	v_add_nc_u32_e32 v4, 1, v0
	s_delay_alu instid0(VALU_DEP_1)
	v_cndmask_b32_e32 v6, v0, v4, vcc_lo
.LBB2_5:
	s_or_b32 exec_lo, exec_lo, s2
	s_delay_alu instid0(VALU_DEP_1) | instskip(SKIP_2) | instid1(VALU_DEP_1)
	v_or_b32_e32 v1, s29, v7
	v_mov_b32_e32 v0, 0
                                        ; implicit-def: $vgpr4_vgpr5
	s_mov_b32 s2, exec_lo
	v_cmpx_ne_u64_e32 0, v[0:1]
	s_xor_b32 s3, exec_lo, s2
	s_cbranch_execz .LBB2_7
; %bb.6:
	s_ashr_i32 s4, s29, 31
	s_delay_alu instid0(SALU_CYCLE_1) | instskip(SKIP_2) | instid1(SALU_CYCLE_1)
	s_add_u32 s12, s28, s4
	s_mov_b32 s5, s4
	s_addc_u32 s13, s29, s4
	s_xor_b64 s[12:13], s[12:13], s[4:5]
	s_delay_alu instid0(SALU_CYCLE_1) | instskip(SKIP_3) | instid1(VALU_DEP_1)
	v_cvt_f32_u32_e32 v0, s12
	v_cvt_f32_u32_e32 v1, s13
	s_sub_u32 s2, 0, s12
	s_subb_u32 s5, 0, s13
	v_fmamk_f32 v0, v1, 0x4f800000, v0
	s_delay_alu instid0(VALU_DEP_1) | instskip(SKIP_2) | instid1(VALU_DEP_1)
	v_rcp_f32_e32 v0, v0
	s_waitcnt_depctr 0xfff
	v_mul_f32_e32 v0, 0x5f7ffffc, v0
	v_mul_f32_e32 v1, 0x2f800000, v0
	s_delay_alu instid0(VALU_DEP_1) | instskip(NEXT) | instid1(VALU_DEP_1)
	v_trunc_f32_e32 v1, v1
	v_fmamk_f32 v0, v1, 0xcf800000, v0
	v_cvt_u32_f32_e32 v1, v1
	s_delay_alu instid0(VALU_DEP_2) | instskip(NEXT) | instid1(VALU_DEP_2)
	v_cvt_u32_f32_e32 v0, v0
	v_mul_lo_u32 v4, s2, v1
	s_delay_alu instid0(VALU_DEP_2) | instskip(SKIP_1) | instid1(VALU_DEP_2)
	v_mul_hi_u32 v5, s2, v0
	v_mul_lo_u32 v8, s5, v0
	v_add_nc_u32_e32 v4, v5, v4
	v_mul_lo_u32 v5, s2, v0
	s_delay_alu instid0(VALU_DEP_2) | instskip(NEXT) | instid1(VALU_DEP_2)
	v_add_nc_u32_e32 v4, v4, v8
	v_mul_hi_u32 v8, v0, v5
	s_delay_alu instid0(VALU_DEP_2)
	v_mul_lo_u32 v9, v0, v4
	v_mul_hi_u32 v10, v0, v4
	v_mul_hi_u32 v11, v1, v5
	v_mul_lo_u32 v5, v1, v5
	v_mul_hi_u32 v12, v1, v4
	v_mul_lo_u32 v4, v1, v4
	v_add_co_u32 v8, vcc_lo, v8, v9
	v_add_co_ci_u32_e32 v9, vcc_lo, 0, v10, vcc_lo
	s_delay_alu instid0(VALU_DEP_2) | instskip(NEXT) | instid1(VALU_DEP_2)
	v_add_co_u32 v5, vcc_lo, v8, v5
	v_add_co_ci_u32_e32 v5, vcc_lo, v9, v11, vcc_lo
	v_add_co_ci_u32_e32 v8, vcc_lo, 0, v12, vcc_lo
	v_ashrrev_i32_e32 v11, 31, v7
	s_delay_alu instid0(VALU_DEP_3) | instskip(NEXT) | instid1(VALU_DEP_3)
	v_add_co_u32 v4, vcc_lo, v5, v4
	v_add_co_ci_u32_e32 v5, vcc_lo, 0, v8, vcc_lo
	s_delay_alu instid0(VALU_DEP_2) | instskip(NEXT) | instid1(VALU_DEP_2)
	v_add_co_u32 v0, vcc_lo, v0, v4
	v_add_co_ci_u32_e32 v1, vcc_lo, v1, v5, vcc_lo
	s_delay_alu instid0(VALU_DEP_2) | instskip(SKIP_1) | instid1(VALU_DEP_3)
	v_mul_hi_u32 v4, s2, v0
	v_mul_lo_u32 v8, s5, v0
	v_mul_lo_u32 v5, s2, v1
	s_delay_alu instid0(VALU_DEP_1) | instskip(SKIP_1) | instid1(VALU_DEP_2)
	v_add_nc_u32_e32 v4, v4, v5
	v_mul_lo_u32 v5, s2, v0
	v_add_nc_u32_e32 v4, v4, v8
	s_delay_alu instid0(VALU_DEP_2) | instskip(NEXT) | instid1(VALU_DEP_2)
	v_mul_hi_u32 v8, v0, v5
	v_mul_lo_u32 v9, v0, v4
	v_mul_hi_u32 v10, v0, v4
	v_mul_hi_u32 v12, v1, v5
	v_mul_lo_u32 v5, v1, v5
	v_mul_hi_u32 v13, v1, v4
	v_mul_lo_u32 v4, v1, v4
	v_add_co_u32 v8, vcc_lo, v8, v9
	v_add_co_ci_u32_e32 v9, vcc_lo, 0, v10, vcc_lo
	s_delay_alu instid0(VALU_DEP_2) | instskip(NEXT) | instid1(VALU_DEP_2)
	v_add_co_u32 v5, vcc_lo, v8, v5
	v_add_co_ci_u32_e32 v5, vcc_lo, v9, v12, vcc_lo
	v_add_co_ci_u32_e32 v8, vcc_lo, 0, v13, vcc_lo
	v_add_co_u32 v9, vcc_lo, v6, v11
	v_add_co_ci_u32_e32 v10, vcc_lo, v7, v11, vcc_lo
	s_delay_alu instid0(VALU_DEP_4) | instskip(NEXT) | instid1(VALU_DEP_4)
	v_add_co_u32 v4, vcc_lo, v5, v4
	v_add_co_ci_u32_e32 v5, vcc_lo, 0, v8, vcc_lo
	s_delay_alu instid0(VALU_DEP_4) | instskip(NEXT) | instid1(VALU_DEP_3)
	v_xor_b32_e32 v12, v9, v11
	v_add_co_u32 v8, vcc_lo, v0, v4
	s_delay_alu instid0(VALU_DEP_3) | instskip(SKIP_1) | instid1(VALU_DEP_3)
	v_add_co_ci_u32_e32 v13, vcc_lo, v1, v5, vcc_lo
	v_xor_b32_e32 v10, v10, v11
	v_mul_hi_u32 v14, v12, v8
	s_delay_alu instid0(VALU_DEP_3) | instskip(NEXT) | instid1(VALU_DEP_3)
	v_mad_u64_u32 v[0:1], null, v12, v13, 0
	v_mad_u64_u32 v[4:5], null, v10, v8, 0
	;; [unrolled: 1-line block ×3, first 2 shown]
	s_delay_alu instid0(VALU_DEP_3) | instskip(NEXT) | instid1(VALU_DEP_4)
	v_add_co_u32 v0, vcc_lo, v14, v0
	v_add_co_ci_u32_e32 v1, vcc_lo, 0, v1, vcc_lo
	s_delay_alu instid0(VALU_DEP_2) | instskip(NEXT) | instid1(VALU_DEP_2)
	v_add_co_u32 v0, vcc_lo, v0, v4
	v_add_co_ci_u32_e32 v0, vcc_lo, v1, v5, vcc_lo
	v_add_co_ci_u32_e32 v1, vcc_lo, 0, v9, vcc_lo
	s_delay_alu instid0(VALU_DEP_2) | instskip(NEXT) | instid1(VALU_DEP_2)
	v_add_co_u32 v4, vcc_lo, v0, v8
	v_add_co_ci_u32_e32 v5, vcc_lo, 0, v1, vcc_lo
	s_delay_alu instid0(VALU_DEP_2) | instskip(SKIP_1) | instid1(VALU_DEP_3)
	v_mul_lo_u32 v8, s13, v4
	v_mad_u64_u32 v[0:1], null, s12, v4, 0
	v_mul_lo_u32 v9, s12, v5
	s_delay_alu instid0(VALU_DEP_2) | instskip(NEXT) | instid1(VALU_DEP_2)
	v_sub_co_u32 v0, vcc_lo, v12, v0
	v_add3_u32 v1, v1, v9, v8
	s_delay_alu instid0(VALU_DEP_1) | instskip(NEXT) | instid1(VALU_DEP_1)
	v_sub_nc_u32_e32 v8, v10, v1
	v_subrev_co_ci_u32_e64 v8, s2, s13, v8, vcc_lo
	v_add_co_u32 v9, s2, v4, 2
	s_delay_alu instid0(VALU_DEP_1) | instskip(SKIP_3) | instid1(VALU_DEP_3)
	v_add_co_ci_u32_e64 v12, s2, 0, v5, s2
	v_sub_co_u32 v13, s2, v0, s12
	v_sub_co_ci_u32_e32 v1, vcc_lo, v10, v1, vcc_lo
	v_subrev_co_ci_u32_e64 v8, s2, 0, v8, s2
	v_cmp_le_u32_e32 vcc_lo, s12, v13
	s_delay_alu instid0(VALU_DEP_3) | instskip(SKIP_1) | instid1(VALU_DEP_4)
	v_cmp_eq_u32_e64 s2, s13, v1
	v_cndmask_b32_e64 v10, 0, -1, vcc_lo
	v_cmp_le_u32_e32 vcc_lo, s13, v8
	v_cndmask_b32_e64 v13, 0, -1, vcc_lo
	v_cmp_le_u32_e32 vcc_lo, s12, v0
	;; [unrolled: 2-line block ×3, first 2 shown]
	v_cndmask_b32_e64 v14, 0, -1, vcc_lo
	v_cmp_eq_u32_e32 vcc_lo, s13, v8
	s_delay_alu instid0(VALU_DEP_2) | instskip(SKIP_3) | instid1(VALU_DEP_3)
	v_cndmask_b32_e64 v0, v14, v0, s2
	v_cndmask_b32_e32 v8, v13, v10, vcc_lo
	v_add_co_u32 v10, vcc_lo, v4, 1
	v_add_co_ci_u32_e32 v13, vcc_lo, 0, v5, vcc_lo
	v_cmp_ne_u32_e32 vcc_lo, 0, v8
	s_delay_alu instid0(VALU_DEP_2) | instskip(SKIP_2) | instid1(VALU_DEP_3)
	v_dual_cndmask_b32 v1, v13, v12 :: v_dual_cndmask_b32 v8, v10, v9
	v_cmp_ne_u32_e32 vcc_lo, 0, v0
	v_xor_b32_e32 v0, s4, v11
	v_dual_cndmask_b32 v4, v4, v8 :: v_dual_cndmask_b32 v1, v5, v1
	s_delay_alu instid0(VALU_DEP_1) | instskip(NEXT) | instid1(VALU_DEP_2)
	v_xor_b32_e32 v4, v4, v0
	v_xor_b32_e32 v1, v1, v0
	s_delay_alu instid0(VALU_DEP_2) | instskip(NEXT) | instid1(VALU_DEP_2)
	v_sub_co_u32 v4, vcc_lo, v4, v0
	v_sub_co_ci_u32_e32 v5, vcc_lo, v1, v0, vcc_lo
.LBB2_7:
	s_and_not1_saveexec_b32 s2, s3
	s_cbranch_execz .LBB2_9
; %bb.8:
	v_cvt_f32_u32_e32 v0, s28
	s_sub_i32 s3, 0, s28
	s_delay_alu instid0(VALU_DEP_1) | instskip(SKIP_2) | instid1(VALU_DEP_1)
	v_rcp_iflag_f32_e32 v0, v0
	s_waitcnt_depctr 0xfff
	v_mul_f32_e32 v0, 0x4f7ffffe, v0
	v_cvt_u32_f32_e32 v0, v0
	s_delay_alu instid0(VALU_DEP_1) | instskip(NEXT) | instid1(VALU_DEP_1)
	v_mul_lo_u32 v1, s3, v0
	v_mul_hi_u32 v1, v0, v1
	s_delay_alu instid0(VALU_DEP_1) | instskip(NEXT) | instid1(VALU_DEP_1)
	v_add_nc_u32_e32 v0, v0, v1
	v_mul_hi_u32 v0, v6, v0
	s_delay_alu instid0(VALU_DEP_1) | instskip(SKIP_1) | instid1(VALU_DEP_2)
	v_mul_lo_u32 v1, v0, s28
	v_add_nc_u32_e32 v4, 1, v0
	v_sub_nc_u32_e32 v1, v6, v1
	s_delay_alu instid0(VALU_DEP_1) | instskip(SKIP_1) | instid1(VALU_DEP_2)
	v_subrev_nc_u32_e32 v5, s28, v1
	v_cmp_le_u32_e32 vcc_lo, s28, v1
	v_cndmask_b32_e32 v1, v1, v5, vcc_lo
	v_dual_mov_b32 v5, 0 :: v_dual_cndmask_b32 v0, v0, v4
	s_delay_alu instid0(VALU_DEP_2) | instskip(NEXT) | instid1(VALU_DEP_2)
	v_cmp_le_u32_e32 vcc_lo, s28, v1
	v_add_nc_u32_e32 v4, 1, v0
	s_delay_alu instid0(VALU_DEP_1)
	v_cndmask_b32_e32 v4, v0, v4, vcc_lo
.LBB2_9:
	s_or_b32 exec_lo, exec_lo, s2
	s_delay_alu instid0(VALU_DEP_1) | instskip(NEXT) | instid1(VALU_DEP_2)
	v_mul_lo_u32 v8, v5, s28
	v_mul_lo_u32 v9, v4, s29
	v_mad_u64_u32 v[0:1], null, v4, s28, 0
	s_delay_alu instid0(VALU_DEP_1) | instskip(NEXT) | instid1(VALU_DEP_2)
	v_add3_u32 v1, v1, v9, v8
	v_mul_lo_u32 v8, v0, s31
	v_mad_u64_u32 v[10:11], null, v0, s30, 0
	s_delay_alu instid0(VALU_DEP_3) | instskip(NEXT) | instid1(VALU_DEP_1)
	v_mul_lo_u32 v9, v1, s30
	v_add3_u32 v11, v11, v8, v9
	v_sub_co_u32 v8, vcc_lo, v6, v0
	v_sub_co_ci_u32_e32 v9, vcc_lo, v7, v1, vcc_lo
	s_delay_alu instid0(VALU_DEP_3) | instskip(NEXT) | instid1(VALU_DEP_2)
	v_lshlrev_b64 v[10:11], 2, v[10:11]
	v_lshlrev_b64 v[0:1], 2, v[8:9]
	s_delay_alu instid0(VALU_DEP_2) | instskip(NEXT) | instid1(VALU_DEP_3)
	v_add_co_u32 v10, vcc_lo, s24, v10
	v_add_co_ci_u32_e32 v11, vcc_lo, s25, v11, vcc_lo
	s_delay_alu instid0(VALU_DEP_2) | instskip(NEXT) | instid1(VALU_DEP_2)
	v_add_co_u32 v10, vcc_lo, v10, v0
	v_add_co_ci_u32_e32 v11, vcc_lo, v11, v1, vcc_lo
	global_load_b32 v30, v[10:11], off
	s_waitcnt vmcnt(0)
	v_cmp_ne_u32_e32 vcc_lo, 0, v30
	s_and_b32 exec_lo, exec_lo, vcc_lo
	s_cbranch_execz .LBB2_75
; %bb.10:
	s_load_b256 s[36:43], s[0:1], 0x70
	s_add_u32 s2, s28, 1
	s_addc_u32 s3, s29, 0
	v_mul_lo_u32 v7, v7, s6
	v_mul_lo_u32 v14, v6, s7
	s_load_b32 s12, s[0:1], 0x0
	s_waitcnt lgkmcnt(0)
	s_mul_i32 s4, s2, s41
	s_mul_hi_u32 s5, s2, s40
	s_mul_i32 s3, s3, s40
	s_add_i32 s4, s5, s4
	s_mul_i32 s2, s2, s40
	s_add_i32 s4, s4, s3
	v_mul_lo_u32 v12, s2, v5
	v_mad_u64_u32 v[10:11], null, s2, v4, 0
	v_mul_lo_u32 v13, s4, v4
	s_and_b32 s2, s12, -3
	s_delay_alu instid0(SALU_CYCLE_1) | instskip(NEXT) | instid1(VALU_DEP_1)
	s_cmp_lg_u32 s2, 0
	v_add3_u32 v11, v11, v12, v13
	v_mad_u64_u32 v[12:13], null, v4, s38, v[8:9]
	v_mul_lo_u32 v8, v4, s39
	v_mul_lo_u32 v9, v5, s38
	s_delay_alu instid0(VALU_DEP_4) | instskip(NEXT) | instid1(VALU_DEP_1)
	v_lshlrev_b64 v[10:11], 2, v[10:11]
	v_add_co_u32 v10, vcc_lo, s26, v10
	s_delay_alu instid0(VALU_DEP_2) | instskip(NEXT) | instid1(VALU_DEP_4)
	v_add_co_ci_u32_e32 v11, vcc_lo, s27, v11, vcc_lo
	v_add3_u32 v13, v9, v13, v8
	s_delay_alu instid0(VALU_DEP_3) | instskip(NEXT) | instid1(VALU_DEP_3)
	v_add_co_u32 v0, vcc_lo, v10, v0
	v_add_co_ci_u32_e32 v1, vcc_lo, v11, v1, vcc_lo
	s_delay_alu instid0(VALU_DEP_3) | instskip(SKIP_2) | instid1(VALU_DEP_1)
	v_mul_lo_u32 v13, v13, s36
	global_load_b64 v[10:11], v[0:1], off
	v_mad_u64_u32 v[0:1], null, v6, s6, 0
	v_add3_u32 v1, v1, v14, v7
	s_delay_alu instid0(VALU_DEP_2) | instskip(NEXT) | instid1(VALU_DEP_2)
	v_sub_co_u32 v6, vcc_lo, v2, v0
	v_sub_co_ci_u32_e32 v7, vcc_lo, v3, v1, vcc_lo
	s_delay_alu instid0(VALU_DEP_1) | instskip(SKIP_1) | instid1(VALU_DEP_1)
	v_mad_u64_u32 v[8:9], null, v12, s36, v[6:7]
	v_mul_lo_u32 v12, v12, s37
	v_add3_u32 v9, v13, v9, v12
	s_cbranch_scc0 .LBB2_25
; %bb.11:
	s_cmp_lt_i32 s12, 3
	s_mov_b32 s2, -1
	s_cbranch_scc1 .LBB2_39
; %bb.12:
	s_cmp_lt_i32 s12, 4
	s_cbranch_scc1 .LBB2_28
; %bb.13:
	s_cmp_eq_u32 s12, 4
	s_cbranch_scc0 .LBB2_27
; %bb.14:
	s_mov_b32 s13, exec_lo
	s_waitcnt vmcnt(0)
	v_cmpx_lt_i32_e64 v10, v11
	s_cbranch_execz .LBB2_26
; %bb.15:
	v_lshlrev_b64 v[12:13], 1, v[8:9]
	v_mul_lo_u32 v16, v5, s10
	v_mul_lo_u32 v17, v4, s11
	v_mad_u64_u32 v[18:19], null, v4, s10, 0
	v_lshlrev_b64 v[22:23], 1, v[2:3]
	v_add_co_u32 v14, vcc_lo, s20, v12
	v_add_co_ci_u32_e32 v15, vcc_lo, s21, v13, vcc_lo
	v_add_co_u32 v12, vcc_lo, s18, v12
	v_add_co_ci_u32_e32 v13, vcc_lo, s19, v13, vcc_lo
	v_add3_u32 v19, v19, v17, v16
	global_load_u16 v24, v[14:15], off
	global_load_u16 v25, v[12:13], off
	v_ashrrev_i32_e32 v15, 31, v10
	v_mov_b32_e32 v14, v10
	v_lshlrev_b64 v[20:21], 1, v[18:19]
	v_mul_lo_u32 v26, v18, s9
	s_load_b32 s1, s[0:1], 0x48
	s_lshl_b64 s[2:3], s[8:9], 1
	v_lshlrev_b64 v[16:17], 1, v[14:15]
	s_mov_b64 s[4:5], 0
	s_mov_b32 s14, 0
	s_delay_alu instid0(VALU_DEP_1) | instskip(NEXT) | instid1(VALU_DEP_2)
	v_add_co_u32 v27, vcc_lo, v20, v16
	v_add_co_ci_u32_e32 v20, vcc_lo, v21, v17, vcc_lo
	v_mad_u64_u32 v[16:17], null, v18, s8, v[6:7]
	s_delay_alu instid0(VALU_DEP_3) | instskip(NEXT) | instid1(VALU_DEP_3)
	v_mul_lo_u32 v29, s9, v27
	v_mul_lo_u32 v28, s8, v20
	s_waitcnt vmcnt(1)
	v_dual_mov_b32 v18, v11 :: v_dual_lshlrev_b32 v21, 16, v24
	s_waitcnt vmcnt(0)
	v_lshlrev_b32_e32 v24, 16, v25
	v_mul_lo_u32 v25, v19, s8
	v_ashrrev_i32_e32 v19, 31, v11
	s_delay_alu instid0(VALU_DEP_3) | instskip(SKIP_3) | instid1(VALU_DEP_4)
	v_mul_f32_e32 v24, v24, v21
	v_mad_u64_u32 v[20:21], null, s8, v27, v[22:23]
	v_lshlrev_b64 v[22:23], 1, v[0:1]
	v_add3_u32 v17, v25, v17, v26
	v_bfe_u32 v27, v24, 16, 1
	s_delay_alu instid0(VALU_DEP_4) | instskip(NEXT) | instid1(VALU_DEP_4)
	v_add3_u32 v21, v29, v21, v28
	v_sub_co_u32 v20, vcc_lo, v20, v22
	s_delay_alu instid0(VALU_DEP_3) | instskip(NEXT) | instid1(VALU_DEP_3)
	v_add3_u32 v25, v24, v27, 0x7fff
	v_sub_co_ci_u32_e32 v21, vcc_lo, v21, v23, vcc_lo
	s_delay_alu instid0(VALU_DEP_3) | instskip(NEXT) | instid1(VALU_DEP_3)
	v_add_co_u32 v20, vcc_lo, s22, v20
	v_and_b32_e32 v22, 0xffff0000, v25
	s_delay_alu instid0(VALU_DEP_3) | instskip(SKIP_1) | instid1(VALU_DEP_3)
	v_add_co_ci_u32_e32 v21, vcc_lo, s23, v21, vcc_lo
	v_cmp_o_f32_e32 vcc_lo, v24, v24
	v_cndmask_b32_e32 v31, 0x7fc00000, v22, vcc_lo
	v_dual_mov_b32 v23, v15 :: v_dual_mov_b32 v22, v14
	s_branch .LBB2_18
.LBB2_16:                               ;   in Loop: Header=BB2_18 Depth=1
	s_set_inst_prefetch_distance 0x2
	s_or_b32 exec_lo, exec_lo, s24
	global_load_u16 v26, v[12:13], off
	v_lshlrev_b32_e32 v27, 16, v32
	s_waitcnt vmcnt(0)
	v_lshlrev_b32_e32 v26, 16, v26
	s_delay_alu instid0(VALU_DEP_1)
	v_mul_f32_e32 v26, v27, v26
.LBB2_17:                               ;   in Loop: Header=BB2_18 Depth=1
	s_or_b32 exec_lo, exec_lo, s15
	s_delay_alu instid0(VALU_DEP_1) | instskip(SKIP_2) | instid1(VALU_DEP_3)
	v_bfe_u32 v27, v26, 16, 1
	v_add_co_u32 v22, vcc_lo, v22, 1
	v_add_co_ci_u32_e32 v23, vcc_lo, 0, v23, vcc_lo
	v_add3_u32 v27, v26, v27, 0x7fff
	v_cmp_o_f32_e64 s0, v26, v26
	s_add_u32 s4, s4, 1
	s_delay_alu instid0(VALU_DEP_3) | instskip(SKIP_3) | instid1(VALU_DEP_1)
	v_cmp_ge_i64_e32 vcc_lo, v[22:23], v[18:19]
	s_addc_u32 s5, s5, 0
	v_lshrrev_b32_e32 v27, 16, v27
	s_or_b32 s14, vcc_lo, s14
	v_cndmask_b32_e64 v26, 0x7fc0, v27, s0
	v_add_co_u32 v24, s0, s16, v24
	s_delay_alu instid0(VALU_DEP_1)
	v_add_co_ci_u32_e64 v25, s0, s17, v25, s0
	global_store_b16 v[24:25], v26, off
	s_and_not1_b32 exec_lo, exec_lo, s14
	s_cbranch_execz .LBB2_26
.LBB2_18:                               ; =>This Loop Header: Depth=1
                                        ;     Child Loop BB2_23 Depth 2
	s_delay_alu instid0(VALU_DEP_1) | instskip(SKIP_1) | instid1(VALU_DEP_3)
	v_mad_u64_u32 v[24:25], null, v22, s8, v[16:17]
	v_mul_lo_u32 v26, v22, s9
	v_mul_lo_u32 v27, v23, s8
	s_mov_b32 s0, exec_lo
	s_delay_alu instid0(VALU_DEP_1) | instskip(NEXT) | instid1(VALU_DEP_1)
	v_add3_u32 v25, v27, v25, v26
	v_lshlrev_b64 v[24:25], 1, v[24:25]
	s_delay_alu instid0(VALU_DEP_1) | instskip(NEXT) | instid1(VALU_DEP_2)
	v_add_co_u32 v26, vcc_lo, s22, v24
	v_add_co_ci_u32_e32 v27, vcc_lo, s23, v25, vcc_lo
	global_load_u16 v26, v[26:27], off
	s_waitcnt vmcnt(0)
	v_lshlrev_b32_e32 v27, 16, v26
                                        ; implicit-def: $vgpr26
	s_delay_alu instid0(VALU_DEP_1)
	v_cmpx_lg_f32_e32 0, v27
	s_xor_b32 s0, exec_lo, s0
; %bb.19:                               ;   in Loop: Header=BB2_18 Depth=1
	v_div_scale_f32 v26, null, v27, v27, v31
	s_delay_alu instid0(VALU_DEP_1) | instskip(SKIP_2) | instid1(VALU_DEP_1)
	v_rcp_f32_e32 v28, v26
	s_waitcnt_depctr 0xfff
	v_fma_f32 v29, -v26, v28, 1.0
	v_fmac_f32_e32 v28, v29, v28
	v_div_scale_f32 v29, vcc_lo, v31, v27, v31
	s_delay_alu instid0(VALU_DEP_1) | instskip(NEXT) | instid1(VALU_DEP_1)
	v_mul_f32_e32 v32, v29, v28
	v_fma_f32 v33, -v26, v32, v29
	s_delay_alu instid0(VALU_DEP_1) | instskip(NEXT) | instid1(VALU_DEP_1)
	v_fmac_f32_e32 v32, v33, v28
	v_fma_f32 v26, -v26, v32, v29
	s_delay_alu instid0(VALU_DEP_1) | instskip(NEXT) | instid1(VALU_DEP_1)
	v_div_fmas_f32 v26, v26, v28, v32
	v_div_fixup_f32 v26, v26, v27, v31
; %bb.20:                               ;   in Loop: Header=BB2_18 Depth=1
	s_and_not1_saveexec_b32 s15, s0
	s_cbranch_execz .LBB2_17
; %bb.21:                               ;   in Loop: Header=BB2_18 Depth=1
	s_waitcnt lgkmcnt(0)
	v_dual_mov_b32 v32, s1 :: v_dual_mov_b32 v27, v21
	v_dual_mov_b32 v26, v20 :: v_dual_mov_b32 v29, v15
	v_mov_b32_e32 v28, v14
	s_mov_b32 s24, 0
	s_mov_b64 s[6:7], s[4:5]
	s_set_inst_prefetch_distance 0x1
	s_branch .LBB2_23
	.p2align	6
.LBB2_22:                               ;   in Loop: Header=BB2_23 Depth=2
	v_add_co_u32 v28, vcc_lo, v28, 1
	v_add_co_ci_u32_e32 v29, vcc_lo, 0, v29, vcc_lo
	v_add_co_u32 v26, s0, v26, s2
	s_delay_alu instid0(VALU_DEP_1) | instskip(NEXT) | instid1(VALU_DEP_3)
	v_add_co_ci_u32_e64 v27, s0, s3, v27, s0
	v_cmp_ge_i64_e32 vcc_lo, v[28:29], v[18:19]
	s_add_u32 s6, s6, -1
	s_addc_u32 s7, s7, -1
	s_or_b32 s24, vcc_lo, s24
	s_delay_alu instid0(SALU_CYCLE_1)
	s_and_not1_b32 exec_lo, exec_lo, s24
	s_cbranch_execz .LBB2_16
.LBB2_23:                               ;   Parent Loop BB2_18 Depth=1
                                        ; =>  This Inner Loop Header: Depth=2
	s_cmp_eq_u64 s[6:7], 0
	s_cbranch_scc1 .LBB2_22
; %bb.24:                               ;   in Loop: Header=BB2_23 Depth=2
	global_load_u16 v33, v[26:27], off
	v_lshlrev_b32_e32 v32, 16, v32
	s_waitcnt vmcnt(0)
	v_lshlrev_b32_e32 v33, 16, v33
	s_delay_alu instid0(VALU_DEP_1) | instskip(NEXT) | instid1(VALU_DEP_1)
	v_mul_f32_e32 v32, v32, v33
	v_bfe_u32 v33, v32, 16, 1
	v_cmp_o_f32_e32 vcc_lo, v32, v32
	s_delay_alu instid0(VALU_DEP_2) | instskip(NEXT) | instid1(VALU_DEP_1)
	v_add3_u32 v33, v32, v33, 0x7fff
	v_lshrrev_b32_e32 v33, 16, v33
	s_delay_alu instid0(VALU_DEP_1)
	v_cndmask_b32_e32 v32, 0x7fc0, v33, vcc_lo
	s_branch .LBB2_22
.LBB2_25:
	s_cbranch_execnz .LBB2_51
	s_branch .LBB2_75
.LBB2_26:
	s_or_b32 exec_lo, exec_lo, s13
.LBB2_27:
	s_mov_b32 s2, 0
.LBB2_28:
	s_delay_alu instid0(SALU_CYCLE_1)
	s_and_not1_b32 vcc_lo, exec_lo, s2
	s_cbranch_vccnz .LBB2_38
; %bb.29:
	s_waitcnt lgkmcnt(0)
	s_mov_b32 s1, exec_lo
	s_waitcnt vmcnt(0)
	v_cmpx_lt_i32_e64 v10, v11
	s_cbranch_execz .LBB2_37
; %bb.30:
	v_lshlrev_b64 v[12:13], 1, v[8:9]
	v_mov_b32_e32 v14, v10
	v_ashrrev_i32_e32 v15, 31, v10
	v_mul_lo_u32 v20, v5, s10
	v_mul_lo_u32 v21, v4, s11
	v_mad_u64_u32 v[16:17], null, v4, s10, 0
	v_add_co_u32 v12, vcc_lo, s18, v12
	v_add_co_ci_u32_e32 v13, vcc_lo, s19, v13, vcc_lo
	s_cmp_eq_u64 s[8:9], 1
	s_delay_alu instid0(VALU_DEP_3) | instskip(SKIP_4) | instid1(VALU_DEP_2)
	v_add3_u32 v17, v17, v21, v20
	global_load_u16 v26, v[12:13], off
	v_mov_b32_e32 v12, v11
	v_ashrrev_i32_e32 v13, 31, v11
	s_cselect_b32 s0, -1, 0
	v_sub_co_u32 v18, vcc_lo, v12, v14
	s_delay_alu instid0(VALU_DEP_2) | instskip(NEXT) | instid1(VALU_DEP_1)
	v_sub_co_ci_u32_e32 v19, vcc_lo, v13, v15, vcc_lo
	v_cmp_lt_u64_e32 vcc_lo, 1, v[18:19]
	s_and_b32 s3, vcc_lo, s0
	s_mov_b32 s0, -1
	s_and_saveexec_b32 s2, s3
	s_cbranch_execz .LBB2_34
; %bb.31:
	v_mul_lo_u32 v22, v17, s8
	v_mul_lo_u32 v23, v16, s9
	v_mad_u64_u32 v[20:21], null, v16, s8, 0
	v_lshlrev_b64 v[24:25], 1, v[6:7]
	s_mov_b32 s3, 0
	s_delay_alu instid0(VALU_DEP_2) | instskip(NEXT) | instid1(VALU_DEP_1)
	v_add3_u32 v21, v21, v23, v22
	v_lshlrev_b64 v[22:23], 1, v[20:21]
	v_dual_mov_b32 v21, v19 :: v_dual_and_b32 v20, -2, v18
	s_delay_alu instid0(VALU_DEP_2) | instskip(NEXT) | instid1(VALU_DEP_3)
	v_add_co_u32 v27, vcc_lo, s16, v22
	v_add_co_ci_u32_e32 v28, vcc_lo, s17, v23, vcc_lo
	v_lshlrev_b64 v[22:23], 1, v[14:15]
	s_delay_alu instid0(VALU_DEP_3) | instskip(NEXT) | instid1(VALU_DEP_3)
	v_add_co_u32 v24, vcc_lo, v27, v24
	v_add_co_ci_u32_e32 v25, vcc_lo, v28, v25, vcc_lo
	s_waitcnt vmcnt(0)
	v_perm_b32 v27, v26, v26, 0x5040100
	s_delay_alu instid0(VALU_DEP_3) | instskip(NEXT) | instid1(VALU_DEP_3)
	v_add_co_u32 v22, vcc_lo, v24, v22
	v_add_co_ci_u32_e32 v23, vcc_lo, v25, v23, vcc_lo
	v_dual_mov_b32 v25, v21 :: v_dual_mov_b32 v24, v20
.LBB2_32:                               ; =>This Inner Loop Header: Depth=1
	s_delay_alu instid0(VALU_DEP_1) | instskip(NEXT) | instid1(VALU_DEP_2)
	v_add_co_u32 v24, vcc_lo, v24, -2
	v_add_co_ci_u32_e32 v25, vcc_lo, -1, v25, vcc_lo
	global_store_b32 v[22:23], v27, off
	v_add_co_u32 v22, s0, v22, 4
	v_cmp_eq_u64_e32 vcc_lo, 0, v[24:25]
	v_add_co_ci_u32_e64 v23, s0, 0, v23, s0
	s_or_b32 s3, vcc_lo, s3
	s_delay_alu instid0(SALU_CYCLE_1)
	s_and_not1_b32 exec_lo, exec_lo, s3
	s_cbranch_execnz .LBB2_32
; %bb.33:
	s_or_b32 exec_lo, exec_lo, s3
	v_cmp_ne_u64_e32 vcc_lo, v[18:19], v[20:21]
	v_add_co_u32 v14, s0, v20, v14
	s_delay_alu instid0(VALU_DEP_1)
	v_add_co_ci_u32_e64 v15, s0, v21, v15, s0
	s_or_not1_b32 s0, vcc_lo, exec_lo
.LBB2_34:
	s_or_b32 exec_lo, exec_lo, s2
	s_delay_alu instid0(SALU_CYCLE_1)
	s_and_b32 exec_lo, exec_lo, s0
	s_cbranch_execz .LBB2_37
; %bb.35:
	v_lshlrev_b64 v[16:17], 1, v[16:17]
	v_lshlrev_b64 v[18:19], 1, v[14:15]
	s_lshl_b64 s[2:3], s[8:9], 1
	s_mov_b32 s4, 0
	s_delay_alu instid0(VALU_DEP_1) | instskip(NEXT) | instid1(VALU_DEP_2)
	v_add_co_u32 v20, vcc_lo, v16, v18
	v_add_co_ci_u32_e32 v18, vcc_lo, v17, v19, vcc_lo
	v_lshlrev_b64 v[16:17], 1, v[2:3]
	s_delay_alu instid0(VALU_DEP_3) | instskip(NEXT) | instid1(VALU_DEP_3)
	v_mul_lo_u32 v22, s9, v20
	v_mul_lo_u32 v21, s8, v18
	s_delay_alu instid0(VALU_DEP_3) | instskip(SKIP_1) | instid1(VALU_DEP_2)
	v_mad_u64_u32 v[18:19], null, s8, v20, v[16:17]
	v_lshlrev_b64 v[16:17], 1, v[0:1]
	v_add3_u32 v19, v22, v19, v21
	s_delay_alu instid0(VALU_DEP_2) | instskip(NEXT) | instid1(VALU_DEP_2)
	v_sub_co_u32 v16, vcc_lo, v18, v16
	v_sub_co_ci_u32_e32 v17, vcc_lo, v19, v17, vcc_lo
	s_delay_alu instid0(VALU_DEP_2) | instskip(NEXT) | instid1(VALU_DEP_2)
	v_add_co_u32 v16, vcc_lo, s16, v16
	v_add_co_ci_u32_e32 v17, vcc_lo, s17, v17, vcc_lo
.LBB2_36:                               ; =>This Inner Loop Header: Depth=1
	v_add_co_u32 v14, vcc_lo, v14, 1
	v_add_co_ci_u32_e32 v15, vcc_lo, 0, v15, vcc_lo
	s_waitcnt vmcnt(0)
	global_store_b16 v[16:17], v26, off
	v_add_co_u32 v16, s0, v16, s2
	v_cmp_ge_i64_e32 vcc_lo, v[14:15], v[12:13]
	v_add_co_ci_u32_e64 v17, s0, s3, v17, s0
	s_or_b32 s4, vcc_lo, s4
	s_delay_alu instid0(SALU_CYCLE_1)
	s_and_not1_b32 exec_lo, exec_lo, s4
	s_cbranch_execnz .LBB2_36
.LBB2_37:
	s_or_b32 exec_lo, exec_lo, s1
.LBB2_38:
	s_mov_b32 s2, 0
.LBB2_39:
	s_delay_alu instid0(SALU_CYCLE_1)
	s_and_not1_b32 vcc_lo, exec_lo, s2
	s_cbranch_vccnz .LBB2_50
; %bb.40:
	s_cmp_lg_u32 s12, 1
	s_cbranch_scc1 .LBB2_50
; %bb.41:
	s_waitcnt lgkmcnt(0)
	s_mov_b32 s1, exec_lo
	s_waitcnt vmcnt(0)
	v_cmpx_lt_i32_e64 v10, v11
	s_cbranch_execz .LBB2_49
; %bb.42:
	v_lshlrev_b64 v[12:13], 1, v[8:9]
	v_mul_lo_u32 v21, v5, s10
	v_mul_lo_u32 v22, v4, s11
	s_cmp_eq_u64 s[8:9], 1
	s_delay_alu instid0(VALU_DEP_3) | instskip(NEXT) | instid1(VALU_DEP_4)
	v_add_co_u32 v12, vcc_lo, s18, v12
	v_add_co_ci_u32_e32 v13, vcc_lo, s19, v13, vcc_lo
	global_load_u16 v12, v[12:13], off
	v_cvt_f32_i32_e32 v13, v30
	s_delay_alu instid0(VALU_DEP_1) | instskip(NEXT) | instid1(VALU_DEP_1)
	v_bfe_u32 v14, v13, 16, 1
	v_add3_u32 v13, v13, v14, 0x7fff
	s_delay_alu instid0(VALU_DEP_1) | instskip(SKIP_2) | instid1(VALU_DEP_1)
	v_and_b32_e32 v13, 0xffff0000, v13
	s_waitcnt vmcnt(0)
	v_lshlrev_b32_e32 v12, 16, v12
	v_div_scale_f32 v14, null, v13, v13, v12
	s_delay_alu instid0(VALU_DEP_1) | instskip(SKIP_2) | instid1(VALU_DEP_1)
	v_rcp_f32_e32 v15, v14
	s_waitcnt_depctr 0xfff
	v_fma_f32 v16, -v14, v15, 1.0
	v_fmac_f32_e32 v15, v16, v15
	v_div_scale_f32 v17, vcc_lo, v12, v13, v12
	s_delay_alu instid0(VALU_DEP_1) | instskip(NEXT) | instid1(VALU_DEP_1)
	v_mul_f32_e32 v16, v17, v15
	v_fma_f32 v18, -v14, v16, v17
	s_delay_alu instid0(VALU_DEP_1) | instskip(NEXT) | instid1(VALU_DEP_1)
	v_fmac_f32_e32 v16, v18, v15
	v_fma_f32 v14, -v14, v16, v17
	s_delay_alu instid0(VALU_DEP_1) | instskip(SKIP_2) | instid1(VALU_DEP_3)
	v_div_fmas_f32 v14, v14, v15, v16
	v_ashrrev_i32_e32 v15, 31, v10
	v_mad_u64_u32 v[16:17], null, v4, s10, 0
	v_div_fixup_f32 v20, v14, v13, v12
	v_mov_b32_e32 v12, v11
	v_mov_b32_e32 v14, v10
	v_ashrrev_i32_e32 v13, 31, v11
	s_delay_alu instid0(VALU_DEP_4) | instskip(SKIP_2) | instid1(VALU_DEP_3)
	v_bfe_u32 v18, v20, 16, 1
	v_cmp_o_f32_e64 s0, v20, v20
	v_add3_u32 v17, v17, v22, v21
	v_add3_u32 v23, v20, v18, 0x7fff
	v_sub_co_u32 v18, vcc_lo, v12, v14
	v_sub_co_ci_u32_e32 v19, vcc_lo, v13, v15, vcc_lo
	s_delay_alu instid0(VALU_DEP_3) | instskip(NEXT) | instid1(VALU_DEP_2)
	v_lshrrev_b32_e32 v23, 16, v23
	v_cmp_lt_u64_e32 vcc_lo, 1, v[18:19]
	s_delay_alu instid0(VALU_DEP_2) | instskip(SKIP_1) | instid1(SALU_CYCLE_1)
	v_cndmask_b32_e64 v26, 0x7fc0, v23, s0
	s_cselect_b32 s0, -1, 0
	s_and_b32 s3, vcc_lo, s0
	s_mov_b32 s0, -1
	s_and_saveexec_b32 s2, s3
	s_cbranch_execz .LBB2_46
; %bb.43:
	v_mul_lo_u32 v22, v17, s8
	v_mul_lo_u32 v23, v16, s9
	v_mad_u64_u32 v[20:21], null, v16, s8, 0
	v_lshlrev_b64 v[24:25], 1, v[6:7]
	s_mov_b32 s3, 0
	s_delay_alu instid0(VALU_DEP_2) | instskip(NEXT) | instid1(VALU_DEP_1)
	v_add3_u32 v21, v21, v23, v22
	v_lshlrev_b64 v[22:23], 1, v[20:21]
	v_dual_mov_b32 v21, v19 :: v_dual_and_b32 v20, -2, v18
	s_delay_alu instid0(VALU_DEP_2) | instskip(NEXT) | instid1(VALU_DEP_3)
	v_add_co_u32 v27, vcc_lo, s16, v22
	v_add_co_ci_u32_e32 v28, vcc_lo, s17, v23, vcc_lo
	v_lshlrev_b64 v[22:23], 1, v[14:15]
	s_delay_alu instid0(VALU_DEP_3) | instskip(NEXT) | instid1(VALU_DEP_3)
	v_add_co_u32 v24, vcc_lo, v27, v24
	v_add_co_ci_u32_e32 v25, vcc_lo, v28, v25, vcc_lo
	v_perm_b32 v27, v26, v26, 0x5040100
	s_delay_alu instid0(VALU_DEP_3) | instskip(NEXT) | instid1(VALU_DEP_3)
	v_add_co_u32 v22, vcc_lo, v24, v22
	v_add_co_ci_u32_e32 v23, vcc_lo, v25, v23, vcc_lo
	v_dual_mov_b32 v25, v21 :: v_dual_mov_b32 v24, v20
.LBB2_44:                               ; =>This Inner Loop Header: Depth=1
	s_delay_alu instid0(VALU_DEP_1) | instskip(NEXT) | instid1(VALU_DEP_2)
	v_add_co_u32 v24, vcc_lo, v24, -2
	v_add_co_ci_u32_e32 v25, vcc_lo, -1, v25, vcc_lo
	global_store_b32 v[22:23], v27, off
	v_add_co_u32 v22, s0, v22, 4
	v_cmp_eq_u64_e32 vcc_lo, 0, v[24:25]
	v_add_co_ci_u32_e64 v23, s0, 0, v23, s0
	s_or_b32 s3, vcc_lo, s3
	s_delay_alu instid0(SALU_CYCLE_1)
	s_and_not1_b32 exec_lo, exec_lo, s3
	s_cbranch_execnz .LBB2_44
; %bb.45:
	s_or_b32 exec_lo, exec_lo, s3
	v_cmp_ne_u64_e32 vcc_lo, v[18:19], v[20:21]
	v_add_co_u32 v14, s0, v20, v14
	s_delay_alu instid0(VALU_DEP_1)
	v_add_co_ci_u32_e64 v15, s0, v21, v15, s0
	s_or_not1_b32 s0, vcc_lo, exec_lo
.LBB2_46:
	s_or_b32 exec_lo, exec_lo, s2
	s_delay_alu instid0(SALU_CYCLE_1)
	s_and_b32 exec_lo, exec_lo, s0
	s_cbranch_execz .LBB2_49
; %bb.47:
	v_lshlrev_b64 v[16:17], 1, v[16:17]
	v_lshlrev_b64 v[18:19], 1, v[14:15]
	s_lshl_b64 s[2:3], s[8:9], 1
	s_mov_b32 s4, 0
	s_delay_alu instid0(VALU_DEP_1) | instskip(NEXT) | instid1(VALU_DEP_2)
	v_add_co_u32 v20, vcc_lo, v16, v18
	v_add_co_ci_u32_e32 v18, vcc_lo, v17, v19, vcc_lo
	v_lshlrev_b64 v[16:17], 1, v[2:3]
	s_delay_alu instid0(VALU_DEP_3) | instskip(NEXT) | instid1(VALU_DEP_3)
	v_mul_lo_u32 v22, s9, v20
	v_mul_lo_u32 v21, s8, v18
	s_delay_alu instid0(VALU_DEP_3) | instskip(SKIP_1) | instid1(VALU_DEP_2)
	v_mad_u64_u32 v[18:19], null, s8, v20, v[16:17]
	v_lshlrev_b64 v[16:17], 1, v[0:1]
	v_add3_u32 v19, v22, v19, v21
	s_delay_alu instid0(VALU_DEP_2) | instskip(NEXT) | instid1(VALU_DEP_2)
	v_sub_co_u32 v16, vcc_lo, v18, v16
	v_sub_co_ci_u32_e32 v17, vcc_lo, v19, v17, vcc_lo
	s_delay_alu instid0(VALU_DEP_2) | instskip(NEXT) | instid1(VALU_DEP_2)
	v_add_co_u32 v16, vcc_lo, s16, v16
	v_add_co_ci_u32_e32 v17, vcc_lo, s17, v17, vcc_lo
.LBB2_48:                               ; =>This Inner Loop Header: Depth=1
	v_add_co_u32 v14, vcc_lo, v14, 1
	v_add_co_ci_u32_e32 v15, vcc_lo, 0, v15, vcc_lo
	global_store_b16 v[16:17], v26, off
	v_add_co_u32 v16, s0, v16, s2
	v_cmp_ge_i64_e32 vcc_lo, v[14:15], v[12:13]
	v_add_co_ci_u32_e64 v17, s0, s3, v17, s0
	s_or_b32 s4, vcc_lo, s4
	s_delay_alu instid0(SALU_CYCLE_1)
	s_and_not1_b32 exec_lo, exec_lo, s4
	s_cbranch_execnz .LBB2_48
.LBB2_49:
	s_or_b32 exec_lo, exec_lo, s1
.LBB2_50:
	s_branch .LBB2_75
.LBB2_51:
	v_mov_b32_e32 v16, 0
	s_waitcnt vmcnt(0)
	v_ashrrev_i32_e32 v13, 31, v10
	v_dual_mov_b32 v12, v10 :: v_dual_mov_b32 v17, 0
	v_ashrrev_i32_e32 v15, 31, v11
	v_mov_b32_e32 v14, v11
	v_cmp_ge_i32_e32 vcc_lo, v10, v11
	s_mov_b32 s4, exec_lo
	v_cmpx_lt_i32_e64 v10, v11
	s_cbranch_execz .LBB2_59
; %bb.52:
	v_mad_u64_u32 v[10:11], null, v4, s10, v[12:13]
	v_mul_lo_u32 v16, v4, s11
	v_mul_lo_u32 v17, v5, s10
	s_lshl_b64 s[2:3], s[8:9], 1
	s_mov_b32 s5, 0
	v_dual_mov_b32 v21, v13 :: v_dual_mov_b32 v20, v12
	s_delay_alu instid0(VALU_DEP_4) | instskip(NEXT) | instid1(VALU_DEP_3)
	v_mul_lo_u32 v18, s9, v10
	v_add3_u32 v11, v17, v11, v16
	v_mad_u64_u32 v[16:17], null, s8, v10, v[2:3]
	s_delay_alu instid0(VALU_DEP_2) | instskip(SKIP_1) | instid1(VALU_DEP_1)
	v_mul_lo_u32 v19, s8, v11
	v_lshlrev_b64 v[10:11], 1, v[8:9]
	v_add_co_u32 v8, s0, s20, v10
	s_delay_alu instid0(VALU_DEP_3) | instskip(NEXT) | instid1(VALU_DEP_3)
	v_add3_u32 v17, v18, v17, v19
	v_add_co_ci_u32_e64 v9, s0, s21, v11, s0
	v_sub_co_u32 v16, s0, v16, v0
	s_delay_alu instid0(VALU_DEP_1) | instskip(SKIP_1) | instid1(VALU_DEP_1)
	v_sub_co_ci_u32_e64 v17, s0, v17, v1, s0
	v_add_co_u32 v10, s0, s18, v10
	v_add_co_ci_u32_e64 v11, s0, s19, v11, s0
	s_delay_alu instid0(VALU_DEP_3)
	v_lshlrev_b64 v[18:19], 1, v[16:17]
	v_mov_b32_e32 v16, 0
	v_mov_b32_e32 v17, 0
	s_branch .LBB2_54
.LBB2_53:                               ;   in Loop: Header=BB2_54 Depth=1
	s_or_b32 exec_lo, exec_lo, s6
	v_add_co_u32 v20, s0, v20, 1
	s_delay_alu instid0(VALU_DEP_1) | instskip(SKIP_1) | instid1(VALU_DEP_1)
	v_add_co_ci_u32_e64 v21, s0, 0, v21, s0
	v_add_co_u32 v18, s1, v18, s2
	v_add_co_ci_u32_e64 v19, s1, s3, v19, s1
	s_delay_alu instid0(VALU_DEP_3) | instskip(NEXT) | instid1(VALU_DEP_1)
	v_cmp_ge_i64_e64 s0, v[20:21], v[14:15]
	s_or_b32 s5, s0, s5
	s_delay_alu instid0(SALU_CYCLE_1)
	s_and_not1_b32 exec_lo, exec_lo, s5
	s_cbranch_execz .LBB2_58
.LBB2_54:                               ; =>This Inner Loop Header: Depth=1
	s_delay_alu instid0(VALU_DEP_3) | instskip(NEXT) | instid1(VALU_DEP_1)
	v_add_co_u32 v22, s0, s22, v18
	v_add_co_ci_u32_e64 v23, s0, s23, v19, s0
	s_mov_b32 s6, exec_lo
	global_load_u16 v22, v[22:23], off
	s_waitcnt vmcnt(0)
	v_lshlrev_b32_e32 v22, 16, v22
	s_waitcnt lgkmcnt(0)
	s_delay_alu instid0(VALU_DEP_1)
	v_cmp_u_f32_e64 s1, v22, v22
	v_cmpx_o_f32_e32 v22, v22
	s_cbranch_execz .LBB2_56
; %bb.55:                               ;   in Loop: Header=BB2_54 Depth=1
	global_load_u16 v23, v[8:9], off
	s_and_not1_b32 s1, s1, exec_lo
	s_waitcnt vmcnt(0)
	v_lshlrev_b32_e32 v23, 16, v23
	s_delay_alu instid0(VALU_DEP_1) | instskip(NEXT) | instid1(VALU_DEP_1)
	v_cmp_eq_f32_e64 s0, v22, v23
	s_and_b32 s0, s0, exec_lo
	s_delay_alu instid0(SALU_CYCLE_1)
	s_or_b32 s1, s1, s0
.LBB2_56:                               ;   in Loop: Header=BB2_54 Depth=1
	s_or_b32 exec_lo, exec_lo, s6
	s_delay_alu instid0(VALU_DEP_2)
	s_and_saveexec_b32 s6, s1
	s_cbranch_execz .LBB2_53
; %bb.57:                               ;   in Loop: Header=BB2_54 Depth=1
	global_load_u16 v24, v[10:11], off
	v_add_co_u32 v22, s0, s16, v18
	s_delay_alu instid0(VALU_DEP_1) | instskip(SKIP_1) | instid1(VALU_DEP_1)
	v_add_co_ci_u32_e64 v23, s0, s17, v19, s0
	v_add_co_u32 v16, s0, v16, 1
	v_add_co_ci_u32_e64 v17, s0, 0, v17, s0
	s_waitcnt vmcnt(0)
	global_store_b16 v[22:23], v24, off
	s_branch .LBB2_53
.LBB2_58:
	s_or_b32 exec_lo, exec_lo, s5
.LBB2_59:
	s_delay_alu instid0(SALU_CYCLE_1)
	s_or_b32 exec_lo, exec_lo, s4
	v_cmp_lt_i64_e64 s0, 1, v[16:17]
	s_waitcnt lgkmcnt(0)
	s_xor_b32 s1, vcc_lo, -1
	s_delay_alu instid0(VALU_DEP_1) | instid1(SALU_CYCLE_1)
	s_and_b32 s0, s0, s1
	s_delay_alu instid0(SALU_CYCLE_1)
	s_and_b32 exec_lo, exec_lo, s0
	s_cbranch_execz .LBB2_75
; %bb.60:
	v_clz_i32_u32_e32 v8, v17
	v_mul_lo_u32 v11, v5, s10
	s_mov_b32 s2, exec_lo
	s_delay_alu instid0(VALU_DEP_2) | instskip(NEXT) | instid1(VALU_DEP_1)
	v_min_u32_e32 v10, 32, v8
	v_lshlrev_b64 v[8:9], v10, v[16:17]
	v_mul_lo_u32 v16, v4, s11
	s_delay_alu instid0(VALU_DEP_2) | instskip(NEXT) | instid1(VALU_DEP_1)
	v_min_u32_e32 v8, 1, v8
	v_or_b32_e32 v8, v9, v8
	v_sub_nc_u32_e32 v9, 32, v10
	s_delay_alu instid0(VALU_DEP_2) | instskip(NEXT) | instid1(VALU_DEP_1)
	v_cvt_f32_u32_e32 v8, v8
	v_ldexp_f32 v10, v8, v9
	v_mad_u64_u32 v[8:9], null, v4, s10, 0
	v_sub_co_u32 v4, vcc_lo, v14, v12
	s_delay_alu instid0(VALU_DEP_3) | instskip(SKIP_1) | instid1(VALU_DEP_4)
	v_bfe_u32 v17, v10, 16, 1
	v_sub_co_ci_u32_e32 v5, vcc_lo, v15, v13, vcc_lo
	v_add3_u32 v9, v9, v16, v11
	s_delay_alu instid0(VALU_DEP_3) | instskip(NEXT) | instid1(VALU_DEP_3)
	v_add3_u32 v10, v10, v17, 0x7fff
	v_cmp_gt_u64_e64 s0, 0x42, v[4:5]
	s_delay_alu instid0(VALU_DEP_2)
	v_and_b32_e32 v18, 0xffff0000, v10
	v_cmpx_lt_u64_e32 0x41, v[4:5]
	s_cbranch_execz .LBB2_70
; %bb.61:
	v_add_co_u32 v6, vcc_lo, v8, v6
	v_add_co_ci_u32_e32 v7, vcc_lo, v9, v7, vcc_lo
	v_not_b32_e32 v10, v12
	s_delay_alu instid0(VALU_DEP_3) | instskip(SKIP_1) | instid1(VALU_DEP_4)
	v_add_co_u32 v6, vcc_lo, v6, v12
	v_not_b32_e32 v11, v13
	v_add_co_ci_u32_e32 v7, vcc_lo, v7, v13, vcc_lo
	s_delay_alu instid0(VALU_DEP_4) | instskip(NEXT) | instid1(VALU_DEP_3)
	v_add_co_u32 v10, vcc_lo, v10, v14
	v_add_co_ci_u32_e32 v11, vcc_lo, v11, v15, vcc_lo
	s_delay_alu instid0(VALU_DEP_3) | instskip(SKIP_1) | instid1(VALU_DEP_2)
	v_lshlrev_b64 v[6:7], 1, v[6:7]
	s_cmp_eq_u64 s[8:9], 1
	v_lshlrev_b64 v[16:17], 1, v[10:11]
	s_cselect_b32 s3, -1, 0
	s_delay_alu instid0(VALU_DEP_2) | instskip(NEXT) | instid1(VALU_DEP_3)
	v_add_co_u32 v6, vcc_lo, s16, v6
	v_add_co_ci_u32_e32 v7, vcc_lo, s17, v7, vcc_lo
	s_delay_alu instid0(VALU_DEP_2) | instskip(NEXT) | instid1(VALU_DEP_2)
	v_add_co_u32 v16, vcc_lo, v6, v16
	v_add_co_ci_u32_e32 v17, vcc_lo, v7, v17, vcc_lo
	v_cmp_lt_i64_e32 vcc_lo, -1, v[10:11]
	s_delay_alu instid0(VALU_DEP_2) | instskip(NEXT) | instid1(VALU_DEP_1)
	v_cmp_ge_u64_e64 s1, v[16:17], v[6:7]
	s_and_b32 s1, s1, vcc_lo
	s_delay_alu instid0(SALU_CYCLE_1)
	s_and_b32 s4, s3, s1
	s_mov_b32 s1, -1
	s_and_saveexec_b32 s3, s4
	s_cbranch_execz .LBB2_69
; %bb.62:
	v_lshlrev_b64 v[6:7], 1, v[8:9]
	v_lshlrev_b64 v[10:11], 1, v[2:3]
	;; [unrolled: 1-line block ×3, first 2 shown]
	v_mov_b32_e32 v19, v18
	s_mov_b32 s4, 0
	s_delay_alu instid0(VALU_DEP_3) | instskip(NEXT) | instid1(VALU_DEP_4)
	v_add_co_u32 v6, vcc_lo, v6, v10
	v_add_co_ci_u32_e32 v7, vcc_lo, v7, v11, vcc_lo
	v_lshlrev_b64 v[10:11], 1, v[0:1]
	s_delay_alu instid0(VALU_DEP_3) | instskip(NEXT) | instid1(VALU_DEP_3)
	v_add_co_u32 v16, vcc_lo, v6, v16
	v_add_co_ci_u32_e32 v7, vcc_lo, v7, v17, vcc_lo
	v_and_b32_e32 v6, -2, v4
	s_delay_alu instid0(VALU_DEP_3) | instskip(NEXT) | instid1(VALU_DEP_3)
	v_sub_co_u32 v10, vcc_lo, v16, v10
	v_sub_co_ci_u32_e32 v11, vcc_lo, v7, v11, vcc_lo
	v_mov_b32_e32 v7, v5
	s_delay_alu instid0(VALU_DEP_3) | instskip(NEXT) | instid1(VALU_DEP_3)
	v_add_co_u32 v10, vcc_lo, v10, s16
	v_add_co_ci_u32_e32 v11, vcc_lo, s17, v11, vcc_lo
	s_delay_alu instid0(VALU_DEP_3) | instskip(NEXT) | instid1(VALU_DEP_3)
	v_dual_mov_b32 v17, v7 :: v_dual_mov_b32 v16, v6
	v_add_co_u32 v10, vcc_lo, v10, 2
	s_delay_alu instid0(VALU_DEP_3)
	v_add_co_ci_u32_e32 v11, vcc_lo, 0, v11, vcc_lo
	s_branch .LBB2_64
.LBB2_63:                               ;   in Loop: Header=BB2_64 Depth=1
	s_or_b32 exec_lo, exec_lo, s1
	v_add_co_u32 v16, vcc_lo, v16, -2
	v_add_co_ci_u32_e32 v17, vcc_lo, -1, v17, vcc_lo
	v_add_co_u32 v10, s1, v10, 4
	s_delay_alu instid0(VALU_DEP_1) | instskip(NEXT) | instid1(VALU_DEP_3)
	v_add_co_ci_u32_e64 v11, s1, 0, v11, s1
	v_cmp_eq_u64_e32 vcc_lo, 0, v[16:17]
	s_or_b32 s4, vcc_lo, s4
	s_delay_alu instid0(SALU_CYCLE_1)
	s_and_not1_b32 exec_lo, exec_lo, s4
	s_cbranch_execz .LBB2_68
.LBB2_64:                               ; =>This Inner Loop Header: Depth=1
	global_load_b32 v20, v[10:11], off offset:-2
	s_mov_b32 s5, exec_lo
	s_waitcnt vmcnt(0)
	v_and_b32_e32 v21, 0xffff0000, v20
	v_lshlrev_b32_e32 v22, 16, v20
	s_delay_alu instid0(VALU_DEP_2) | instskip(NEXT) | instid1(VALU_DEP_2)
	v_div_scale_f32 v20, null, v19, v19, v21
	v_div_scale_f32 v23, null, v18, v18, v22
	v_div_scale_f32 v28, vcc_lo, v21, v19, v21
	s_delay_alu instid0(VALU_DEP_3) | instskip(NEXT) | instid1(VALU_DEP_2)
	v_rcp_f32_e32 v24, v20
	v_rcp_f32_e32 v25, v23
	s_waitcnt_depctr 0xfff
	v_fma_f32 v26, -v20, v24, 1.0
	v_fma_f32 v27, -v23, v25, 1.0
	s_delay_alu instid0(VALU_DEP_1) | instskip(SKIP_1) | instid1(VALU_DEP_1)
	v_dual_fmac_f32 v25, v27, v25 :: v_dual_fmac_f32 v24, v26, v24
	v_div_scale_f32 v26, s1, v22, v18, v22
	v_mul_f32_e32 v29, v26, v25
	s_delay_alu instid0(VALU_DEP_1) | instskip(NEXT) | instid1(VALU_DEP_1)
	v_fma_f32 v31, -v23, v29, v26
	v_fmac_f32_e32 v29, v31, v25
	v_mul_f32_e32 v27, v28, v24
	s_delay_alu instid0(VALU_DEP_2) | instskip(NEXT) | instid1(VALU_DEP_2)
	v_fma_f32 v23, -v23, v29, v26
	v_fma_f32 v30, -v20, v27, v28
	s_delay_alu instid0(VALU_DEP_1) | instskip(NEXT) | instid1(VALU_DEP_1)
	v_fmac_f32_e32 v27, v30, v24
	v_fma_f32 v20, -v20, v27, v28
	s_delay_alu instid0(VALU_DEP_1) | instskip(SKIP_3) | instid1(VALU_DEP_3)
	v_div_fmas_f32 v20, v20, v24, v27
	s_mov_b32 vcc_lo, s1
	v_div_fmas_f32 v23, v23, v25, v29
	v_cmp_lt_f32_e32 vcc_lo, 0, v21
	v_div_fixup_f32 v20, v20, v19, v21
	s_delay_alu instid0(VALU_DEP_3)
	v_div_fixup_f32 v21, v23, v18, v22
	v_cmpx_lt_f32_e32 0, v22
	s_cbranch_execz .LBB2_66
; %bb.65:                               ;   in Loop: Header=BB2_64 Depth=1
	s_delay_alu instid0(VALU_DEP_2) | instskip(SKIP_1) | instid1(VALU_DEP_2)
	v_bfe_u32 v22, v21, 16, 1
	v_cmp_o_f32_e64 s1, v21, v21
	v_add3_u32 v22, v21, v22, 0x7fff
	s_delay_alu instid0(VALU_DEP_1) | instskip(NEXT) | instid1(VALU_DEP_1)
	v_lshrrev_b32_e32 v22, 16, v22
	v_cndmask_b32_e64 v21, 0x7fc0, v22, s1
	global_store_b16 v[10:11], v21, off offset:-2
.LBB2_66:                               ;   in Loop: Header=BB2_64 Depth=1
	s_or_b32 exec_lo, exec_lo, s5
	s_and_saveexec_b32 s1, vcc_lo
	s_cbranch_execz .LBB2_63
; %bb.67:                               ;   in Loop: Header=BB2_64 Depth=1
	v_bfe_u32 v21, v20, 16, 1
	v_cmp_o_f32_e32 vcc_lo, v20, v20
	s_delay_alu instid0(VALU_DEP_2) | instskip(NEXT) | instid1(VALU_DEP_1)
	v_add3_u32 v21, v20, v21, 0x7fff
	v_lshrrev_b32_e32 v21, 16, v21
	s_delay_alu instid0(VALU_DEP_1)
	v_cndmask_b32_e32 v20, 0x7fc0, v21, vcc_lo
	global_store_b16 v[10:11], v20, off
	s_branch .LBB2_63
.LBB2_68:
	s_or_b32 exec_lo, exec_lo, s4
	v_cmp_ne_u64_e32 vcc_lo, v[4:5], v[6:7]
	v_add_co_u32 v12, s1, v6, v12
	s_delay_alu instid0(VALU_DEP_1)
	v_add_co_ci_u32_e64 v13, s1, v7, v13, s1
	s_or_not1_b32 s1, vcc_lo, exec_lo
.LBB2_69:
	s_or_b32 exec_lo, exec_lo, s3
	s_delay_alu instid0(SALU_CYCLE_1) | instskip(SKIP_1) | instid1(SALU_CYCLE_1)
	s_and_not1_b32 s0, s0, exec_lo
	s_and_b32 s1, s1, exec_lo
	s_or_b32 s0, s0, s1
.LBB2_70:
	s_or_b32 exec_lo, exec_lo, s2
	s_delay_alu instid0(VALU_DEP_3) | instid1(SALU_CYCLE_1)
	s_and_b32 exec_lo, exec_lo, s0
	s_cbranch_execz .LBB2_75
; %bb.71:
	v_lshlrev_b64 v[4:5], 1, v[8:9]
	v_lshlrev_b64 v[6:7], 1, v[12:13]
	;; [unrolled: 1-line block ×4, first 2 shown]
	s_lshl_b64 s[2:3], s[8:9], 1
	s_mov_b32 s1, 0
	s_delay_alu instid0(VALU_DEP_3) | instskip(SKIP_1) | instid1(VALU_DEP_2)
	v_add_co_u32 v6, vcc_lo, v4, v6
	v_add_co_ci_u32_e32 v4, vcc_lo, v5, v7, vcc_lo
	v_mul_lo_u32 v8, s9, v6
	s_delay_alu instid0(VALU_DEP_2) | instskip(SKIP_1) | instid1(VALU_DEP_1)
	v_mul_lo_u32 v7, s8, v4
	v_mad_u64_u32 v[4:5], null, s8, v6, v[2:3]
	v_add3_u32 v2, v8, v5, v7
	s_delay_alu instid0(VALU_DEP_2) | instskip(NEXT) | instid1(VALU_DEP_2)
	v_sub_co_u32 v0, vcc_lo, v4, v0
	v_sub_co_ci_u32_e32 v1, vcc_lo, v2, v1, vcc_lo
	s_delay_alu instid0(VALU_DEP_2) | instskip(NEXT) | instid1(VALU_DEP_2)
	v_add_co_u32 v0, vcc_lo, s16, v0
	v_add_co_ci_u32_e32 v1, vcc_lo, s17, v1, vcc_lo
	s_set_inst_prefetch_distance 0x1
	s_branch .LBB2_73
	.p2align	6
.LBB2_72:                               ;   in Loop: Header=BB2_73 Depth=1
	s_or_b32 exec_lo, exec_lo, s0
	v_add_co_u32 v12, vcc_lo, v12, 1
	v_add_co_ci_u32_e32 v13, vcc_lo, 0, v13, vcc_lo
	v_add_co_u32 v0, s0, v0, s2
	s_delay_alu instid0(VALU_DEP_1) | instskip(NEXT) | instid1(VALU_DEP_3)
	v_add_co_ci_u32_e64 v1, s0, s3, v1, s0
	v_cmp_ge_i64_e32 vcc_lo, v[12:13], v[14:15]
	s_or_b32 s1, vcc_lo, s1
	s_delay_alu instid0(SALU_CYCLE_1)
	s_and_not1_b32 exec_lo, exec_lo, s1
	s_cbranch_execz .LBB2_75
.LBB2_73:                               ; =>This Inner Loop Header: Depth=1
	global_load_u16 v2, v[0:1], off
	s_mov_b32 s0, exec_lo
	s_waitcnt vmcnt(0)
	v_lshlrev_b32_e32 v2, 16, v2
	s_delay_alu instid0(VALU_DEP_1)
	v_cmpx_lt_f32_e32 0, v2
	s_cbranch_execz .LBB2_72
; %bb.74:                               ;   in Loop: Header=BB2_73 Depth=1
	v_div_scale_f32 v3, null, v18, v18, v2
	s_delay_alu instid0(VALU_DEP_1) | instskip(SKIP_2) | instid1(VALU_DEP_1)
	v_rcp_f32_e32 v4, v3
	s_waitcnt_depctr 0xfff
	v_fma_f32 v5, -v3, v4, 1.0
	v_fmac_f32_e32 v4, v5, v4
	v_div_scale_f32 v5, vcc_lo, v2, v18, v2
	s_delay_alu instid0(VALU_DEP_1) | instskip(NEXT) | instid1(VALU_DEP_1)
	v_mul_f32_e32 v6, v5, v4
	v_fma_f32 v7, -v3, v6, v5
	s_delay_alu instid0(VALU_DEP_1) | instskip(NEXT) | instid1(VALU_DEP_1)
	v_fmac_f32_e32 v6, v7, v4
	v_fma_f32 v3, -v3, v6, v5
	s_delay_alu instid0(VALU_DEP_1) | instskip(NEXT) | instid1(VALU_DEP_1)
	v_div_fmas_f32 v3, v3, v4, v6
	v_div_fixup_f32 v2, v3, v18, v2
	s_delay_alu instid0(VALU_DEP_1) | instskip(SKIP_1) | instid1(VALU_DEP_2)
	v_bfe_u32 v3, v2, 16, 1
	v_cmp_o_f32_e32 vcc_lo, v2, v2
	v_add3_u32 v3, v2, v3, 0x7fff
	s_delay_alu instid0(VALU_DEP_1) | instskip(NEXT) | instid1(VALU_DEP_1)
	v_lshrrev_b32_e32 v3, 16, v3
	v_cndmask_b32_e32 v2, 0x7fc0, v3, vcc_lo
	global_store_b16 v[0:1], v2, off
	s_branch .LBB2_72
.LBB2_75:
	s_set_inst_prefetch_distance 0x2
	s_nop 0
	s_sendmsg sendmsg(MSG_DEALLOC_VGPRS)
	s_endpgm
	.section	.rodata,"a",@progbits
	.p2align	6, 0x0
	.amdhsa_kernel _ZN2at6native12_GLOBAL__N_130segment_reduce_backward_kernelIN3c108BFloat16EiEEvNS0_13ReductionTypeEPT_PKS6_S9_S9_PKT0_SC_llS6_lllllll
		.amdhsa_group_segment_fixed_size 0
		.amdhsa_private_segment_fixed_size 0
		.amdhsa_kernarg_size 392
		.amdhsa_user_sgpr_count 15
		.amdhsa_user_sgpr_dispatch_ptr 0
		.amdhsa_user_sgpr_queue_ptr 0
		.amdhsa_user_sgpr_kernarg_segment_ptr 1
		.amdhsa_user_sgpr_dispatch_id 0
		.amdhsa_user_sgpr_private_segment_size 0
		.amdhsa_wavefront_size32 1
		.amdhsa_uses_dynamic_stack 0
		.amdhsa_enable_private_segment 0
		.amdhsa_system_sgpr_workgroup_id_x 1
		.amdhsa_system_sgpr_workgroup_id_y 0
		.amdhsa_system_sgpr_workgroup_id_z 0
		.amdhsa_system_sgpr_workgroup_info 0
		.amdhsa_system_vgpr_workitem_id 0
		.amdhsa_next_free_vgpr 34
		.amdhsa_next_free_sgpr 44
		.amdhsa_reserve_vcc 1
		.amdhsa_float_round_mode_32 0
		.amdhsa_float_round_mode_16_64 0
		.amdhsa_float_denorm_mode_32 3
		.amdhsa_float_denorm_mode_16_64 3
		.amdhsa_dx10_clamp 1
		.amdhsa_ieee_mode 1
		.amdhsa_fp16_overflow 0
		.amdhsa_workgroup_processor_mode 1
		.amdhsa_memory_ordered 1
		.amdhsa_forward_progress 0
		.amdhsa_shared_vgpr_count 0
		.amdhsa_exception_fp_ieee_invalid_op 0
		.amdhsa_exception_fp_denorm_src 0
		.amdhsa_exception_fp_ieee_div_zero 0
		.amdhsa_exception_fp_ieee_overflow 0
		.amdhsa_exception_fp_ieee_underflow 0
		.amdhsa_exception_fp_ieee_inexact 0
		.amdhsa_exception_int_div_zero 0
	.end_amdhsa_kernel
	.section	.text._ZN2at6native12_GLOBAL__N_130segment_reduce_backward_kernelIN3c108BFloat16EiEEvNS0_13ReductionTypeEPT_PKS6_S9_S9_PKT0_SC_llS6_lllllll,"axG",@progbits,_ZN2at6native12_GLOBAL__N_130segment_reduce_backward_kernelIN3c108BFloat16EiEEvNS0_13ReductionTypeEPT_PKS6_S9_S9_PKT0_SC_llS6_lllllll,comdat
.Lfunc_end2:
	.size	_ZN2at6native12_GLOBAL__N_130segment_reduce_backward_kernelIN3c108BFloat16EiEEvNS0_13ReductionTypeEPT_PKS6_S9_S9_PKT0_SC_llS6_lllllll, .Lfunc_end2-_ZN2at6native12_GLOBAL__N_130segment_reduce_backward_kernelIN3c108BFloat16EiEEvNS0_13ReductionTypeEPT_PKS6_S9_S9_PKT0_SC_llS6_lllllll
                                        ; -- End function
	.section	.AMDGPU.csdata,"",@progbits
; Kernel info:
; codeLenInByte = 6748
; NumSgprs: 46
; NumVgprs: 34
; ScratchSize: 0
; MemoryBound: 0
; FloatMode: 240
; IeeeMode: 1
; LDSByteSize: 0 bytes/workgroup (compile time only)
; SGPRBlocks: 5
; VGPRBlocks: 4
; NumSGPRsForWavesPerEU: 46
; NumVGPRsForWavesPerEU: 34
; Occupancy: 16
; WaveLimiterHint : 1
; COMPUTE_PGM_RSRC2:SCRATCH_EN: 0
; COMPUTE_PGM_RSRC2:USER_SGPR: 15
; COMPUTE_PGM_RSRC2:TRAP_HANDLER: 0
; COMPUTE_PGM_RSRC2:TGID_X_EN: 1
; COMPUTE_PGM_RSRC2:TGID_Y_EN: 0
; COMPUTE_PGM_RSRC2:TGID_Z_EN: 0
; COMPUTE_PGM_RSRC2:TIDIG_COMP_CNT: 0
	.section	.text._ZN2at6native12_GLOBAL__N_130segment_reduce_backward_kernelIN3c104HalfEiEEvNS0_13ReductionTypeEPT_PKS6_S9_S9_PKT0_SC_llS6_lllllll,"axG",@progbits,_ZN2at6native12_GLOBAL__N_130segment_reduce_backward_kernelIN3c104HalfEiEEvNS0_13ReductionTypeEPT_PKS6_S9_S9_PKT0_SC_llS6_lllllll,comdat
	.globl	_ZN2at6native12_GLOBAL__N_130segment_reduce_backward_kernelIN3c104HalfEiEEvNS0_13ReductionTypeEPT_PKS6_S9_S9_PKT0_SC_llS6_lllllll ; -- Begin function _ZN2at6native12_GLOBAL__N_130segment_reduce_backward_kernelIN3c104HalfEiEEvNS0_13ReductionTypeEPT_PKS6_S9_S9_PKT0_SC_llS6_lllllll
	.p2align	8
	.type	_ZN2at6native12_GLOBAL__N_130segment_reduce_backward_kernelIN3c104HalfEiEEvNS0_13ReductionTypeEPT_PKS6_S9_S9_PKT0_SC_llS6_lllllll,@function
_ZN2at6native12_GLOBAL__N_130segment_reduce_backward_kernelIN3c104HalfEiEEvNS0_13ReductionTypeEPT_PKS6_S9_S9_PKT0_SC_llS6_lllllll: ; @_ZN2at6native12_GLOBAL__N_130segment_reduce_backward_kernelIN3c104HalfEiEEvNS0_13ReductionTypeEPT_PKS6_S9_S9_PKT0_SC_llS6_lllllll
; %bb.0:
	s_clause 0x2
	s_load_b512 s[16:31], s[0:1], 0x8
	s_load_b32 s2, s[0:1], 0x94
	s_load_b256 s[4:11], s[0:1], 0x50
	v_mov_b32_e32 v4, 0
	s_delay_alu instid0(VALU_DEP_1)
	v_mov_b32_e32 v1, v4
	s_waitcnt lgkmcnt(0)
	s_and_b32 s2, s2, 0xffff
	s_mul_i32 s3, s4, s29
	s_mul_hi_u32 s12, s4, s28
	s_mul_i32 s5, s5, s28
	s_mul_i32 s4, s4, s28
	v_mad_u64_u32 v[2:3], null, s2, s15, v[0:1]
	s_add_i32 s2, s12, s3
	s_mul_i32 s3, s4, s7
	s_mul_hi_u32 s12, s4, s6
	s_add_i32 s2, s2, s5
	s_add_i32 s3, s12, s3
	s_mul_i32 s2, s2, s6
	s_delay_alu instid0(SALU_CYCLE_1) | instskip(SKIP_1) | instid1(SALU_CYCLE_1)
	s_add_i32 s3, s3, s2
	s_mul_i32 s2, s4, s6
	v_cmp_gt_i64_e32 vcc_lo, s[2:3], v[2:3]
	s_and_saveexec_b32 s2, vcc_lo
	s_cbranch_execz .LBB3_75
; %bb.1:
	v_or_b32_e32 v5, s7, v3
                                        ; implicit-def: $vgpr6_vgpr7
	s_mov_b32 s2, exec_lo
	s_delay_alu instid0(VALU_DEP_1)
	v_cmpx_ne_u64_e32 0, v[4:5]
	s_xor_b32 s3, exec_lo, s2
	s_cbranch_execz .LBB3_3
; %bb.2:
	s_ashr_i32 s4, s7, 31
	s_delay_alu instid0(SALU_CYCLE_1) | instskip(SKIP_2) | instid1(SALU_CYCLE_1)
	s_add_u32 s12, s6, s4
	s_mov_b32 s5, s4
	s_addc_u32 s13, s7, s4
	s_xor_b64 s[12:13], s[12:13], s[4:5]
	s_delay_alu instid0(SALU_CYCLE_1) | instskip(SKIP_3) | instid1(VALU_DEP_1)
	v_cvt_f32_u32_e32 v0, s12
	v_cvt_f32_u32_e32 v1, s13
	s_sub_u32 s2, 0, s12
	s_subb_u32 s5, 0, s13
	v_fmamk_f32 v0, v1, 0x4f800000, v0
	s_delay_alu instid0(VALU_DEP_1) | instskip(SKIP_2) | instid1(VALU_DEP_1)
	v_rcp_f32_e32 v0, v0
	s_waitcnt_depctr 0xfff
	v_mul_f32_e32 v0, 0x5f7ffffc, v0
	v_mul_f32_e32 v1, 0x2f800000, v0
	s_delay_alu instid0(VALU_DEP_1) | instskip(NEXT) | instid1(VALU_DEP_1)
	v_trunc_f32_e32 v1, v1
	v_fmamk_f32 v0, v1, 0xcf800000, v0
	v_cvt_u32_f32_e32 v1, v1
	s_delay_alu instid0(VALU_DEP_2) | instskip(NEXT) | instid1(VALU_DEP_2)
	v_cvt_u32_f32_e32 v0, v0
	v_mul_lo_u32 v4, s2, v1
	s_delay_alu instid0(VALU_DEP_2) | instskip(SKIP_1) | instid1(VALU_DEP_2)
	v_mul_hi_u32 v5, s2, v0
	v_mul_lo_u32 v6, s5, v0
	v_add_nc_u32_e32 v4, v5, v4
	v_mul_lo_u32 v5, s2, v0
	s_delay_alu instid0(VALU_DEP_2) | instskip(NEXT) | instid1(VALU_DEP_2)
	v_add_nc_u32_e32 v4, v4, v6
	v_mul_hi_u32 v6, v0, v5
	s_delay_alu instid0(VALU_DEP_2)
	v_mul_lo_u32 v7, v0, v4
	v_mul_hi_u32 v8, v0, v4
	v_mul_hi_u32 v9, v1, v5
	v_mul_lo_u32 v5, v1, v5
	v_mul_hi_u32 v10, v1, v4
	v_mul_lo_u32 v4, v1, v4
	v_add_co_u32 v6, vcc_lo, v6, v7
	v_add_co_ci_u32_e32 v7, vcc_lo, 0, v8, vcc_lo
	s_delay_alu instid0(VALU_DEP_2) | instskip(NEXT) | instid1(VALU_DEP_2)
	v_add_co_u32 v5, vcc_lo, v6, v5
	v_add_co_ci_u32_e32 v5, vcc_lo, v7, v9, vcc_lo
	v_add_co_ci_u32_e32 v6, vcc_lo, 0, v10, vcc_lo
	v_ashrrev_i32_e32 v9, 31, v3
	s_delay_alu instid0(VALU_DEP_3) | instskip(NEXT) | instid1(VALU_DEP_3)
	v_add_co_u32 v4, vcc_lo, v5, v4
	v_add_co_ci_u32_e32 v5, vcc_lo, 0, v6, vcc_lo
	s_delay_alu instid0(VALU_DEP_2) | instskip(NEXT) | instid1(VALU_DEP_2)
	v_add_co_u32 v0, vcc_lo, v0, v4
	v_add_co_ci_u32_e32 v1, vcc_lo, v1, v5, vcc_lo
	s_delay_alu instid0(VALU_DEP_2) | instskip(SKIP_1) | instid1(VALU_DEP_3)
	v_mul_hi_u32 v4, s2, v0
	v_mul_lo_u32 v6, s5, v0
	v_mul_lo_u32 v5, s2, v1
	s_delay_alu instid0(VALU_DEP_1) | instskip(SKIP_1) | instid1(VALU_DEP_2)
	v_add_nc_u32_e32 v4, v4, v5
	v_mul_lo_u32 v5, s2, v0
	v_add_nc_u32_e32 v4, v4, v6
	s_delay_alu instid0(VALU_DEP_2) | instskip(NEXT) | instid1(VALU_DEP_2)
	v_mul_hi_u32 v6, v0, v5
	v_mul_lo_u32 v7, v0, v4
	v_mul_hi_u32 v8, v0, v4
	v_mul_hi_u32 v10, v1, v5
	v_mul_lo_u32 v5, v1, v5
	v_mul_hi_u32 v11, v1, v4
	v_mul_lo_u32 v4, v1, v4
	v_add_co_u32 v6, vcc_lo, v6, v7
	v_add_co_ci_u32_e32 v7, vcc_lo, 0, v8, vcc_lo
	s_delay_alu instid0(VALU_DEP_2) | instskip(NEXT) | instid1(VALU_DEP_2)
	v_add_co_u32 v5, vcc_lo, v6, v5
	v_add_co_ci_u32_e32 v5, vcc_lo, v7, v10, vcc_lo
	v_add_co_ci_u32_e32 v6, vcc_lo, 0, v11, vcc_lo
	v_add_co_u32 v7, vcc_lo, v2, v9
	v_add_co_ci_u32_e32 v8, vcc_lo, v3, v9, vcc_lo
	s_delay_alu instid0(VALU_DEP_4) | instskip(NEXT) | instid1(VALU_DEP_4)
	v_add_co_u32 v4, vcc_lo, v5, v4
	v_add_co_ci_u32_e32 v5, vcc_lo, 0, v6, vcc_lo
	s_delay_alu instid0(VALU_DEP_4) | instskip(NEXT) | instid1(VALU_DEP_3)
	v_xor_b32_e32 v10, v7, v9
	v_add_co_u32 v6, vcc_lo, v0, v4
	s_delay_alu instid0(VALU_DEP_3) | instskip(SKIP_1) | instid1(VALU_DEP_3)
	v_add_co_ci_u32_e32 v11, vcc_lo, v1, v5, vcc_lo
	v_xor_b32_e32 v8, v8, v9
	v_mul_hi_u32 v12, v10, v6
	s_delay_alu instid0(VALU_DEP_3) | instskip(NEXT) | instid1(VALU_DEP_3)
	v_mad_u64_u32 v[0:1], null, v10, v11, 0
	v_mad_u64_u32 v[4:5], null, v8, v6, 0
	;; [unrolled: 1-line block ×3, first 2 shown]
	s_delay_alu instid0(VALU_DEP_3) | instskip(NEXT) | instid1(VALU_DEP_4)
	v_add_co_u32 v0, vcc_lo, v12, v0
	v_add_co_ci_u32_e32 v1, vcc_lo, 0, v1, vcc_lo
	s_delay_alu instid0(VALU_DEP_2) | instskip(NEXT) | instid1(VALU_DEP_2)
	v_add_co_u32 v0, vcc_lo, v0, v4
	v_add_co_ci_u32_e32 v0, vcc_lo, v1, v5, vcc_lo
	v_add_co_ci_u32_e32 v1, vcc_lo, 0, v7, vcc_lo
	s_delay_alu instid0(VALU_DEP_2) | instskip(NEXT) | instid1(VALU_DEP_2)
	v_add_co_u32 v4, vcc_lo, v0, v6
	v_add_co_ci_u32_e32 v5, vcc_lo, 0, v1, vcc_lo
	s_delay_alu instid0(VALU_DEP_2) | instskip(SKIP_1) | instid1(VALU_DEP_3)
	v_mul_lo_u32 v6, s13, v4
	v_mad_u64_u32 v[0:1], null, s12, v4, 0
	v_mul_lo_u32 v7, s12, v5
	s_delay_alu instid0(VALU_DEP_2) | instskip(NEXT) | instid1(VALU_DEP_2)
	v_sub_co_u32 v0, vcc_lo, v10, v0
	v_add3_u32 v1, v1, v7, v6
	s_delay_alu instid0(VALU_DEP_1) | instskip(NEXT) | instid1(VALU_DEP_1)
	v_sub_nc_u32_e32 v6, v8, v1
	v_subrev_co_ci_u32_e64 v6, s2, s13, v6, vcc_lo
	v_add_co_u32 v7, s2, v4, 2
	s_delay_alu instid0(VALU_DEP_1) | instskip(SKIP_3) | instid1(VALU_DEP_3)
	v_add_co_ci_u32_e64 v10, s2, 0, v5, s2
	v_sub_co_u32 v11, s2, v0, s12
	v_sub_co_ci_u32_e32 v1, vcc_lo, v8, v1, vcc_lo
	v_subrev_co_ci_u32_e64 v6, s2, 0, v6, s2
	v_cmp_le_u32_e32 vcc_lo, s12, v11
	s_delay_alu instid0(VALU_DEP_3) | instskip(SKIP_1) | instid1(VALU_DEP_4)
	v_cmp_eq_u32_e64 s2, s13, v1
	v_cndmask_b32_e64 v8, 0, -1, vcc_lo
	v_cmp_le_u32_e32 vcc_lo, s13, v6
	v_cndmask_b32_e64 v11, 0, -1, vcc_lo
	v_cmp_le_u32_e32 vcc_lo, s12, v0
	;; [unrolled: 2-line block ×3, first 2 shown]
	v_cndmask_b32_e64 v12, 0, -1, vcc_lo
	v_cmp_eq_u32_e32 vcc_lo, s13, v6
	s_delay_alu instid0(VALU_DEP_2) | instskip(SKIP_3) | instid1(VALU_DEP_3)
	v_cndmask_b32_e64 v0, v12, v0, s2
	v_cndmask_b32_e32 v6, v11, v8, vcc_lo
	v_add_co_u32 v8, vcc_lo, v4, 1
	v_add_co_ci_u32_e32 v11, vcc_lo, 0, v5, vcc_lo
	v_cmp_ne_u32_e32 vcc_lo, 0, v6
	s_delay_alu instid0(VALU_DEP_2) | instskip(SKIP_2) | instid1(VALU_DEP_3)
	v_dual_cndmask_b32 v1, v11, v10 :: v_dual_cndmask_b32 v6, v8, v7
	v_cmp_ne_u32_e32 vcc_lo, 0, v0
	v_xor_b32_e32 v0, s4, v9
	v_dual_cndmask_b32 v4, v4, v6 :: v_dual_cndmask_b32 v1, v5, v1
	s_delay_alu instid0(VALU_DEP_1) | instskip(NEXT) | instid1(VALU_DEP_2)
	v_xor_b32_e32 v4, v4, v0
	v_xor_b32_e32 v1, v1, v0
	s_delay_alu instid0(VALU_DEP_2) | instskip(NEXT) | instid1(VALU_DEP_2)
	v_sub_co_u32 v6, vcc_lo, v4, v0
	v_sub_co_ci_u32_e32 v7, vcc_lo, v1, v0, vcc_lo
.LBB3_3:
	s_and_not1_saveexec_b32 s2, s3
	s_cbranch_execz .LBB3_5
; %bb.4:
	v_cvt_f32_u32_e32 v0, s6
	s_sub_i32 s3, 0, s6
	v_mov_b32_e32 v7, 0
	s_delay_alu instid0(VALU_DEP_2) | instskip(SKIP_2) | instid1(VALU_DEP_1)
	v_rcp_iflag_f32_e32 v0, v0
	s_waitcnt_depctr 0xfff
	v_mul_f32_e32 v0, 0x4f7ffffe, v0
	v_cvt_u32_f32_e32 v0, v0
	s_delay_alu instid0(VALU_DEP_1) | instskip(NEXT) | instid1(VALU_DEP_1)
	v_mul_lo_u32 v1, s3, v0
	v_mul_hi_u32 v1, v0, v1
	s_delay_alu instid0(VALU_DEP_1) | instskip(NEXT) | instid1(VALU_DEP_1)
	v_add_nc_u32_e32 v0, v0, v1
	v_mul_hi_u32 v0, v2, v0
	s_delay_alu instid0(VALU_DEP_1) | instskip(SKIP_1) | instid1(VALU_DEP_2)
	v_mul_lo_u32 v1, v0, s6
	v_add_nc_u32_e32 v4, 1, v0
	v_sub_nc_u32_e32 v1, v2, v1
	s_delay_alu instid0(VALU_DEP_1) | instskip(SKIP_1) | instid1(VALU_DEP_2)
	v_subrev_nc_u32_e32 v5, s6, v1
	v_cmp_le_u32_e32 vcc_lo, s6, v1
	v_dual_cndmask_b32 v1, v1, v5 :: v_dual_cndmask_b32 v0, v0, v4
	s_delay_alu instid0(VALU_DEP_1) | instskip(NEXT) | instid1(VALU_DEP_2)
	v_cmp_le_u32_e32 vcc_lo, s6, v1
	v_add_nc_u32_e32 v4, 1, v0
	s_delay_alu instid0(VALU_DEP_1)
	v_cndmask_b32_e32 v6, v0, v4, vcc_lo
.LBB3_5:
	s_or_b32 exec_lo, exec_lo, s2
	s_delay_alu instid0(VALU_DEP_1) | instskip(SKIP_2) | instid1(VALU_DEP_1)
	v_or_b32_e32 v1, s29, v7
	v_mov_b32_e32 v0, 0
                                        ; implicit-def: $vgpr4_vgpr5
	s_mov_b32 s2, exec_lo
	v_cmpx_ne_u64_e32 0, v[0:1]
	s_xor_b32 s3, exec_lo, s2
	s_cbranch_execz .LBB3_7
; %bb.6:
	s_ashr_i32 s4, s29, 31
	s_delay_alu instid0(SALU_CYCLE_1) | instskip(SKIP_2) | instid1(SALU_CYCLE_1)
	s_add_u32 s12, s28, s4
	s_mov_b32 s5, s4
	s_addc_u32 s13, s29, s4
	s_xor_b64 s[12:13], s[12:13], s[4:5]
	s_delay_alu instid0(SALU_CYCLE_1) | instskip(SKIP_3) | instid1(VALU_DEP_1)
	v_cvt_f32_u32_e32 v0, s12
	v_cvt_f32_u32_e32 v1, s13
	s_sub_u32 s2, 0, s12
	s_subb_u32 s5, 0, s13
	v_fmamk_f32 v0, v1, 0x4f800000, v0
	s_delay_alu instid0(VALU_DEP_1) | instskip(SKIP_2) | instid1(VALU_DEP_1)
	v_rcp_f32_e32 v0, v0
	s_waitcnt_depctr 0xfff
	v_mul_f32_e32 v0, 0x5f7ffffc, v0
	v_mul_f32_e32 v1, 0x2f800000, v0
	s_delay_alu instid0(VALU_DEP_1) | instskip(NEXT) | instid1(VALU_DEP_1)
	v_trunc_f32_e32 v1, v1
	v_fmamk_f32 v0, v1, 0xcf800000, v0
	v_cvt_u32_f32_e32 v1, v1
	s_delay_alu instid0(VALU_DEP_2) | instskip(NEXT) | instid1(VALU_DEP_2)
	v_cvt_u32_f32_e32 v0, v0
	v_mul_lo_u32 v4, s2, v1
	s_delay_alu instid0(VALU_DEP_2) | instskip(SKIP_1) | instid1(VALU_DEP_2)
	v_mul_hi_u32 v5, s2, v0
	v_mul_lo_u32 v8, s5, v0
	v_add_nc_u32_e32 v4, v5, v4
	v_mul_lo_u32 v5, s2, v0
	s_delay_alu instid0(VALU_DEP_2) | instskip(NEXT) | instid1(VALU_DEP_2)
	v_add_nc_u32_e32 v4, v4, v8
	v_mul_hi_u32 v8, v0, v5
	s_delay_alu instid0(VALU_DEP_2)
	v_mul_lo_u32 v9, v0, v4
	v_mul_hi_u32 v10, v0, v4
	v_mul_hi_u32 v11, v1, v5
	v_mul_lo_u32 v5, v1, v5
	v_mul_hi_u32 v12, v1, v4
	v_mul_lo_u32 v4, v1, v4
	v_add_co_u32 v8, vcc_lo, v8, v9
	v_add_co_ci_u32_e32 v9, vcc_lo, 0, v10, vcc_lo
	s_delay_alu instid0(VALU_DEP_2) | instskip(NEXT) | instid1(VALU_DEP_2)
	v_add_co_u32 v5, vcc_lo, v8, v5
	v_add_co_ci_u32_e32 v5, vcc_lo, v9, v11, vcc_lo
	v_add_co_ci_u32_e32 v8, vcc_lo, 0, v12, vcc_lo
	v_ashrrev_i32_e32 v11, 31, v7
	s_delay_alu instid0(VALU_DEP_3) | instskip(NEXT) | instid1(VALU_DEP_3)
	v_add_co_u32 v4, vcc_lo, v5, v4
	v_add_co_ci_u32_e32 v5, vcc_lo, 0, v8, vcc_lo
	s_delay_alu instid0(VALU_DEP_2) | instskip(NEXT) | instid1(VALU_DEP_2)
	v_add_co_u32 v0, vcc_lo, v0, v4
	v_add_co_ci_u32_e32 v1, vcc_lo, v1, v5, vcc_lo
	s_delay_alu instid0(VALU_DEP_2) | instskip(SKIP_1) | instid1(VALU_DEP_3)
	v_mul_hi_u32 v4, s2, v0
	v_mul_lo_u32 v8, s5, v0
	v_mul_lo_u32 v5, s2, v1
	s_delay_alu instid0(VALU_DEP_1) | instskip(SKIP_1) | instid1(VALU_DEP_2)
	v_add_nc_u32_e32 v4, v4, v5
	v_mul_lo_u32 v5, s2, v0
	v_add_nc_u32_e32 v4, v4, v8
	s_delay_alu instid0(VALU_DEP_2) | instskip(NEXT) | instid1(VALU_DEP_2)
	v_mul_hi_u32 v8, v0, v5
	v_mul_lo_u32 v9, v0, v4
	v_mul_hi_u32 v10, v0, v4
	v_mul_hi_u32 v12, v1, v5
	v_mul_lo_u32 v5, v1, v5
	v_mul_hi_u32 v13, v1, v4
	v_mul_lo_u32 v4, v1, v4
	v_add_co_u32 v8, vcc_lo, v8, v9
	v_add_co_ci_u32_e32 v9, vcc_lo, 0, v10, vcc_lo
	s_delay_alu instid0(VALU_DEP_2) | instskip(NEXT) | instid1(VALU_DEP_2)
	v_add_co_u32 v5, vcc_lo, v8, v5
	v_add_co_ci_u32_e32 v5, vcc_lo, v9, v12, vcc_lo
	v_add_co_ci_u32_e32 v8, vcc_lo, 0, v13, vcc_lo
	v_add_co_u32 v9, vcc_lo, v6, v11
	v_add_co_ci_u32_e32 v10, vcc_lo, v7, v11, vcc_lo
	s_delay_alu instid0(VALU_DEP_4) | instskip(NEXT) | instid1(VALU_DEP_4)
	v_add_co_u32 v4, vcc_lo, v5, v4
	v_add_co_ci_u32_e32 v5, vcc_lo, 0, v8, vcc_lo
	s_delay_alu instid0(VALU_DEP_4) | instskip(NEXT) | instid1(VALU_DEP_3)
	v_xor_b32_e32 v12, v9, v11
	v_add_co_u32 v8, vcc_lo, v0, v4
	s_delay_alu instid0(VALU_DEP_3) | instskip(SKIP_1) | instid1(VALU_DEP_3)
	v_add_co_ci_u32_e32 v13, vcc_lo, v1, v5, vcc_lo
	v_xor_b32_e32 v10, v10, v11
	v_mul_hi_u32 v14, v12, v8
	s_delay_alu instid0(VALU_DEP_3) | instskip(NEXT) | instid1(VALU_DEP_3)
	v_mad_u64_u32 v[0:1], null, v12, v13, 0
	v_mad_u64_u32 v[4:5], null, v10, v8, 0
	;; [unrolled: 1-line block ×3, first 2 shown]
	s_delay_alu instid0(VALU_DEP_3) | instskip(NEXT) | instid1(VALU_DEP_4)
	v_add_co_u32 v0, vcc_lo, v14, v0
	v_add_co_ci_u32_e32 v1, vcc_lo, 0, v1, vcc_lo
	s_delay_alu instid0(VALU_DEP_2) | instskip(NEXT) | instid1(VALU_DEP_2)
	v_add_co_u32 v0, vcc_lo, v0, v4
	v_add_co_ci_u32_e32 v0, vcc_lo, v1, v5, vcc_lo
	v_add_co_ci_u32_e32 v1, vcc_lo, 0, v9, vcc_lo
	s_delay_alu instid0(VALU_DEP_2) | instskip(NEXT) | instid1(VALU_DEP_2)
	v_add_co_u32 v4, vcc_lo, v0, v8
	v_add_co_ci_u32_e32 v5, vcc_lo, 0, v1, vcc_lo
	s_delay_alu instid0(VALU_DEP_2) | instskip(SKIP_1) | instid1(VALU_DEP_3)
	v_mul_lo_u32 v8, s13, v4
	v_mad_u64_u32 v[0:1], null, s12, v4, 0
	v_mul_lo_u32 v9, s12, v5
	s_delay_alu instid0(VALU_DEP_2) | instskip(NEXT) | instid1(VALU_DEP_2)
	v_sub_co_u32 v0, vcc_lo, v12, v0
	v_add3_u32 v1, v1, v9, v8
	s_delay_alu instid0(VALU_DEP_1) | instskip(NEXT) | instid1(VALU_DEP_1)
	v_sub_nc_u32_e32 v8, v10, v1
	v_subrev_co_ci_u32_e64 v8, s2, s13, v8, vcc_lo
	v_add_co_u32 v9, s2, v4, 2
	s_delay_alu instid0(VALU_DEP_1) | instskip(SKIP_3) | instid1(VALU_DEP_3)
	v_add_co_ci_u32_e64 v12, s2, 0, v5, s2
	v_sub_co_u32 v13, s2, v0, s12
	v_sub_co_ci_u32_e32 v1, vcc_lo, v10, v1, vcc_lo
	v_subrev_co_ci_u32_e64 v8, s2, 0, v8, s2
	v_cmp_le_u32_e32 vcc_lo, s12, v13
	s_delay_alu instid0(VALU_DEP_3) | instskip(SKIP_1) | instid1(VALU_DEP_4)
	v_cmp_eq_u32_e64 s2, s13, v1
	v_cndmask_b32_e64 v10, 0, -1, vcc_lo
	v_cmp_le_u32_e32 vcc_lo, s13, v8
	v_cndmask_b32_e64 v13, 0, -1, vcc_lo
	v_cmp_le_u32_e32 vcc_lo, s12, v0
	;; [unrolled: 2-line block ×3, first 2 shown]
	v_cndmask_b32_e64 v14, 0, -1, vcc_lo
	v_cmp_eq_u32_e32 vcc_lo, s13, v8
	s_delay_alu instid0(VALU_DEP_2) | instskip(SKIP_3) | instid1(VALU_DEP_3)
	v_cndmask_b32_e64 v0, v14, v0, s2
	v_cndmask_b32_e32 v8, v13, v10, vcc_lo
	v_add_co_u32 v10, vcc_lo, v4, 1
	v_add_co_ci_u32_e32 v13, vcc_lo, 0, v5, vcc_lo
	v_cmp_ne_u32_e32 vcc_lo, 0, v8
	s_delay_alu instid0(VALU_DEP_2) | instskip(SKIP_2) | instid1(VALU_DEP_3)
	v_dual_cndmask_b32 v1, v13, v12 :: v_dual_cndmask_b32 v8, v10, v9
	v_cmp_ne_u32_e32 vcc_lo, 0, v0
	v_xor_b32_e32 v0, s4, v11
	v_dual_cndmask_b32 v4, v4, v8 :: v_dual_cndmask_b32 v1, v5, v1
	s_delay_alu instid0(VALU_DEP_1) | instskip(NEXT) | instid1(VALU_DEP_2)
	v_xor_b32_e32 v4, v4, v0
	v_xor_b32_e32 v1, v1, v0
	s_delay_alu instid0(VALU_DEP_2) | instskip(NEXT) | instid1(VALU_DEP_2)
	v_sub_co_u32 v4, vcc_lo, v4, v0
	v_sub_co_ci_u32_e32 v5, vcc_lo, v1, v0, vcc_lo
.LBB3_7:
	s_and_not1_saveexec_b32 s2, s3
	s_cbranch_execz .LBB3_9
; %bb.8:
	v_cvt_f32_u32_e32 v0, s28
	s_sub_i32 s3, 0, s28
	s_delay_alu instid0(VALU_DEP_1) | instskip(SKIP_2) | instid1(VALU_DEP_1)
	v_rcp_iflag_f32_e32 v0, v0
	s_waitcnt_depctr 0xfff
	v_mul_f32_e32 v0, 0x4f7ffffe, v0
	v_cvt_u32_f32_e32 v0, v0
	s_delay_alu instid0(VALU_DEP_1) | instskip(NEXT) | instid1(VALU_DEP_1)
	v_mul_lo_u32 v1, s3, v0
	v_mul_hi_u32 v1, v0, v1
	s_delay_alu instid0(VALU_DEP_1) | instskip(NEXT) | instid1(VALU_DEP_1)
	v_add_nc_u32_e32 v0, v0, v1
	v_mul_hi_u32 v0, v6, v0
	s_delay_alu instid0(VALU_DEP_1) | instskip(SKIP_1) | instid1(VALU_DEP_2)
	v_mul_lo_u32 v1, v0, s28
	v_add_nc_u32_e32 v4, 1, v0
	v_sub_nc_u32_e32 v1, v6, v1
	s_delay_alu instid0(VALU_DEP_1) | instskip(SKIP_1) | instid1(VALU_DEP_2)
	v_subrev_nc_u32_e32 v5, s28, v1
	v_cmp_le_u32_e32 vcc_lo, s28, v1
	v_cndmask_b32_e32 v1, v1, v5, vcc_lo
	v_dual_mov_b32 v5, 0 :: v_dual_cndmask_b32 v0, v0, v4
	s_delay_alu instid0(VALU_DEP_2) | instskip(NEXT) | instid1(VALU_DEP_2)
	v_cmp_le_u32_e32 vcc_lo, s28, v1
	v_add_nc_u32_e32 v4, 1, v0
	s_delay_alu instid0(VALU_DEP_1)
	v_cndmask_b32_e32 v4, v0, v4, vcc_lo
.LBB3_9:
	s_or_b32 exec_lo, exec_lo, s2
	s_delay_alu instid0(VALU_DEP_1) | instskip(NEXT) | instid1(VALU_DEP_2)
	v_mul_lo_u32 v8, v5, s28
	v_mul_lo_u32 v9, v4, s29
	v_mad_u64_u32 v[0:1], null, v4, s28, 0
	s_delay_alu instid0(VALU_DEP_1) | instskip(NEXT) | instid1(VALU_DEP_2)
	v_add3_u32 v1, v1, v9, v8
	v_mul_lo_u32 v8, v0, s31
	v_mad_u64_u32 v[10:11], null, v0, s30, 0
	s_delay_alu instid0(VALU_DEP_3) | instskip(NEXT) | instid1(VALU_DEP_1)
	v_mul_lo_u32 v9, v1, s30
	v_add3_u32 v11, v11, v8, v9
	v_sub_co_u32 v8, vcc_lo, v6, v0
	v_sub_co_ci_u32_e32 v9, vcc_lo, v7, v1, vcc_lo
	s_delay_alu instid0(VALU_DEP_3) | instskip(NEXT) | instid1(VALU_DEP_2)
	v_lshlrev_b64 v[10:11], 2, v[10:11]
	v_lshlrev_b64 v[0:1], 2, v[8:9]
	s_delay_alu instid0(VALU_DEP_2) | instskip(NEXT) | instid1(VALU_DEP_3)
	v_add_co_u32 v10, vcc_lo, s24, v10
	v_add_co_ci_u32_e32 v11, vcc_lo, s25, v11, vcc_lo
	s_delay_alu instid0(VALU_DEP_2) | instskip(NEXT) | instid1(VALU_DEP_2)
	v_add_co_u32 v10, vcc_lo, v10, v0
	v_add_co_ci_u32_e32 v11, vcc_lo, v11, v1, vcc_lo
	global_load_b32 v30, v[10:11], off
	s_waitcnt vmcnt(0)
	v_cmp_ne_u32_e32 vcc_lo, 0, v30
	s_and_b32 exec_lo, exec_lo, vcc_lo
	s_cbranch_execz .LBB3_75
; %bb.10:
	s_load_b256 s[36:43], s[0:1], 0x70
	s_add_u32 s2, s28, 1
	s_addc_u32 s3, s29, 0
	v_mul_lo_u32 v7, v7, s6
	v_mul_lo_u32 v14, v6, s7
	s_load_b32 s12, s[0:1], 0x0
	s_waitcnt lgkmcnt(0)
	s_mul_i32 s4, s2, s41
	s_mul_hi_u32 s5, s2, s40
	s_mul_i32 s3, s3, s40
	s_add_i32 s4, s5, s4
	s_mul_i32 s2, s2, s40
	s_add_i32 s4, s4, s3
	v_mul_lo_u32 v12, s2, v5
	v_mad_u64_u32 v[10:11], null, s2, v4, 0
	v_mul_lo_u32 v13, s4, v4
	s_and_b32 s2, s12, -3
	s_delay_alu instid0(SALU_CYCLE_1) | instskip(NEXT) | instid1(VALU_DEP_1)
	s_cmp_lg_u32 s2, 0
	v_add3_u32 v11, v11, v12, v13
	v_mad_u64_u32 v[12:13], null, v4, s38, v[8:9]
	v_mul_lo_u32 v8, v4, s39
	v_mul_lo_u32 v9, v5, s38
	s_delay_alu instid0(VALU_DEP_4) | instskip(NEXT) | instid1(VALU_DEP_1)
	v_lshlrev_b64 v[10:11], 2, v[10:11]
	v_add_co_u32 v10, vcc_lo, s26, v10
	s_delay_alu instid0(VALU_DEP_2) | instskip(NEXT) | instid1(VALU_DEP_4)
	v_add_co_ci_u32_e32 v11, vcc_lo, s27, v11, vcc_lo
	v_add3_u32 v13, v9, v13, v8
	s_delay_alu instid0(VALU_DEP_3) | instskip(NEXT) | instid1(VALU_DEP_3)
	v_add_co_u32 v0, vcc_lo, v10, v0
	v_add_co_ci_u32_e32 v1, vcc_lo, v11, v1, vcc_lo
	s_delay_alu instid0(VALU_DEP_3) | instskip(SKIP_2) | instid1(VALU_DEP_1)
	v_mul_lo_u32 v13, v13, s36
	global_load_b64 v[10:11], v[0:1], off
	v_mad_u64_u32 v[0:1], null, v6, s6, 0
	v_add3_u32 v1, v1, v14, v7
	s_delay_alu instid0(VALU_DEP_2) | instskip(NEXT) | instid1(VALU_DEP_2)
	v_sub_co_u32 v6, vcc_lo, v2, v0
	v_sub_co_ci_u32_e32 v7, vcc_lo, v3, v1, vcc_lo
	s_delay_alu instid0(VALU_DEP_1) | instskip(SKIP_1) | instid1(VALU_DEP_1)
	v_mad_u64_u32 v[8:9], null, v12, s36, v[6:7]
	v_mul_lo_u32 v12, v12, s37
	v_add3_u32 v9, v13, v9, v12
	s_cbranch_scc0 .LBB3_25
; %bb.11:
	s_cmp_lt_i32 s12, 3
	s_mov_b32 s2, -1
	s_cbranch_scc1 .LBB3_39
; %bb.12:
	s_cmp_lt_i32 s12, 4
	s_cbranch_scc1 .LBB3_28
; %bb.13:
	s_cmp_eq_u32 s12, 4
	s_cbranch_scc0 .LBB3_27
; %bb.14:
	s_mov_b32 s13, exec_lo
	s_waitcnt vmcnt(0)
	v_cmpx_lt_i32_e64 v10, v11
	s_cbranch_execz .LBB3_26
; %bb.15:
	v_lshlrev_b64 v[14:15], 1, v[8:9]
	v_mul_lo_u32 v16, v5, s10
	v_mul_lo_u32 v17, v4, s11
	v_mad_u64_u32 v[18:19], null, v4, s10, 0
	s_load_b32 s1, s[0:1], 0x48
	s_delay_alu instid0(VALU_DEP_4)
	v_add_co_u32 v12, vcc_lo, s18, v14
	v_add_co_ci_u32_e32 v13, vcc_lo, s19, v15, vcc_lo
	v_add_co_u32 v14, vcc_lo, s20, v14
	v_add_co_ci_u32_e32 v15, vcc_lo, s21, v15, vcc_lo
	v_add3_u32 v19, v19, v17, v16
	global_load_u16 v24, v[12:13], off
	global_load_u16 v25, v[14:15], off
	v_ashrrev_i32_e32 v15, 31, v10
	v_mov_b32_e32 v14, v10
	v_lshlrev_b64 v[20:21], 1, v[18:19]
	v_mul_lo_u32 v27, v18, s9
	s_lshl_b64 s[2:3], s[8:9], 1
	s_mov_b64 s[4:5], 0
	v_lshlrev_b64 v[16:17], 1, v[14:15]
	s_mov_b32 s14, 0
	s_delay_alu instid0(VALU_DEP_1) | instskip(NEXT) | instid1(VALU_DEP_2)
	v_add_co_u32 v26, vcc_lo, v20, v16
	v_add_co_ci_u32_e32 v22, vcc_lo, v21, v17, vcc_lo
	v_lshlrev_b64 v[20:21], 1, v[2:3]
	s_delay_alu instid0(VALU_DEP_3) | instskip(SKIP_1) | instid1(VALU_DEP_4)
	v_mul_lo_u32 v29, s9, v26
	v_mad_u64_u32 v[16:17], null, v18, s8, v[6:7]
	v_mul_lo_u32 v28, s8, v22
	v_mov_b32_e32 v18, v11
	v_mad_u64_u32 v[22:23], null, s8, v26, v[20:21]
	v_lshlrev_b64 v[20:21], 1, v[0:1]
	v_mul_lo_u32 v26, v19, s8
	v_ashrrev_i32_e32 v19, 31, v11
	s_delay_alu instid0(VALU_DEP_4) | instskip(NEXT) | instid1(VALU_DEP_4)
	v_add3_u32 v23, v29, v23, v28
	v_sub_co_u32 v20, vcc_lo, v22, v20
	s_delay_alu instid0(VALU_DEP_4) | instskip(NEXT) | instid1(VALU_DEP_3)
	v_add3_u32 v17, v26, v17, v27
	v_sub_co_ci_u32_e32 v21, vcc_lo, v23, v21, vcc_lo
	s_delay_alu instid0(VALU_DEP_3) | instskip(SKIP_1) | instid1(VALU_DEP_3)
	v_add_co_u32 v20, vcc_lo, s22, v20
	v_dual_mov_b32 v23, v15 :: v_dual_mov_b32 v22, v14
	v_add_co_ci_u32_e32 v21, vcc_lo, s23, v21, vcc_lo
	s_waitcnt vmcnt(0)
	v_mul_f16_e32 v31, v24, v25
	s_delay_alu instid0(VALU_DEP_1)
	v_cvt_f32_f16_e32 v32, v31
	s_branch .LBB3_18
.LBB3_16:                               ;   in Loop: Header=BB3_18 Depth=1
	s_or_b32 exec_lo, exec_lo, s24
	global_load_u16 v26, v[12:13], off
	s_waitcnt vmcnt(0)
	v_mul_f16_e32 v26, v26, v33
.LBB3_17:                               ;   in Loop: Header=BB3_18 Depth=1
	s_or_b32 exec_lo, exec_lo, s15
	v_add_co_u32 v22, vcc_lo, v22, 1
	v_add_co_ci_u32_e32 v23, vcc_lo, 0, v23, vcc_lo
	v_add_co_u32 v24, s0, s16, v24
	s_delay_alu instid0(VALU_DEP_1) | instskip(NEXT) | instid1(VALU_DEP_3)
	v_add_co_ci_u32_e64 v25, s0, s17, v25, s0
	v_cmp_ge_i64_e32 vcc_lo, v[22:23], v[18:19]
	s_add_u32 s4, s4, 1
	s_addc_u32 s5, s5, 0
	global_store_b16 v[24:25], v26, off
	s_or_b32 s14, vcc_lo, s14
	s_delay_alu instid0(SALU_CYCLE_1)
	s_and_not1_b32 exec_lo, exec_lo, s14
	s_cbranch_execz .LBB3_26
.LBB3_18:                               ; =>This Loop Header: Depth=1
                                        ;     Child Loop BB3_23 Depth 2
	v_mad_u64_u32 v[24:25], null, v22, s8, v[16:17]
	v_mul_lo_u32 v26, v22, s9
	v_mul_lo_u32 v27, v23, s8
	s_mov_b32 s0, exec_lo
	s_delay_alu instid0(VALU_DEP_1) | instskip(NEXT) | instid1(VALU_DEP_1)
	v_add3_u32 v25, v27, v25, v26
	v_lshlrev_b64 v[24:25], 1, v[24:25]
	s_delay_alu instid0(VALU_DEP_1) | instskip(NEXT) | instid1(VALU_DEP_2)
	v_add_co_u32 v26, vcc_lo, s22, v24
	v_add_co_ci_u32_e32 v27, vcc_lo, s23, v25, vcc_lo
	global_load_u16 v27, v[26:27], off
                                        ; implicit-def: $vgpr26
	s_waitcnt vmcnt(0)
	v_cmpx_lg_f16_e32 0, v27
	s_xor_b32 s0, exec_lo, s0
; %bb.19:                               ;   in Loop: Header=BB3_18 Depth=1
	v_cvt_f32_f16_e32 v26, v27
	s_delay_alu instid0(VALU_DEP_1) | instskip(SKIP_2) | instid1(VALU_DEP_1)
	v_rcp_f32_e32 v26, v26
	s_waitcnt_depctr 0xfff
	v_mul_f32_e32 v28, v32, v26
	v_fma_mix_f32 v29, -v27, v28, v31 op_sel_hi:[1,0,1]
	s_delay_alu instid0(VALU_DEP_1) | instskip(NEXT) | instid1(VALU_DEP_1)
	v_fmac_f32_e32 v28, v29, v26
	v_fma_mix_f32 v29, -v27, v28, v31 op_sel_hi:[1,0,1]
	s_delay_alu instid0(VALU_DEP_1) | instskip(NEXT) | instid1(VALU_DEP_1)
	v_mul_f32_e32 v26, v29, v26
	v_and_b32_e32 v26, 0xff800000, v26
	s_delay_alu instid0(VALU_DEP_1) | instskip(NEXT) | instid1(VALU_DEP_1)
	v_add_f32_e32 v26, v26, v28
	v_cvt_f16_f32_e32 v26, v26
	s_delay_alu instid0(VALU_DEP_1)
	v_div_fixup_f16 v26, v26, v27, v31
; %bb.20:                               ;   in Loop: Header=BB3_18 Depth=1
	s_and_not1_saveexec_b32 s15, s0
	s_cbranch_execz .LBB3_17
; %bb.21:                               ;   in Loop: Header=BB3_18 Depth=1
	v_mov_b32_e32 v27, v21
	v_dual_mov_b32 v29, v15 :: v_dual_mov_b32 v28, v14
	s_waitcnt lgkmcnt(0)
	v_dual_mov_b32 v33, s1 :: v_dual_mov_b32 v26, v20
	s_mov_b32 s24, 0
	s_mov_b64 s[6:7], s[4:5]
	s_branch .LBB3_23
	.p2align	6
.LBB3_22:                               ;   in Loop: Header=BB3_23 Depth=2
	v_add_co_u32 v28, vcc_lo, v28, 1
	v_add_co_ci_u32_e32 v29, vcc_lo, 0, v29, vcc_lo
	v_add_co_u32 v26, s0, v26, s2
	s_delay_alu instid0(VALU_DEP_1) | instskip(NEXT) | instid1(VALU_DEP_3)
	v_add_co_ci_u32_e64 v27, s0, s3, v27, s0
	v_cmp_ge_i64_e32 vcc_lo, v[28:29], v[18:19]
	s_add_u32 s6, s6, -1
	s_addc_u32 s7, s7, -1
	s_or_b32 s24, vcc_lo, s24
	s_delay_alu instid0(SALU_CYCLE_1)
	s_and_not1_b32 exec_lo, exec_lo, s24
	s_cbranch_execz .LBB3_16
.LBB3_23:                               ;   Parent Loop BB3_18 Depth=1
                                        ; =>  This Inner Loop Header: Depth=2
	s_cmp_eq_u64 s[6:7], 0
	s_cbranch_scc1 .LBB3_22
; %bb.24:                               ;   in Loop: Header=BB3_23 Depth=2
	global_load_u16 v34, v[26:27], off
	s_waitcnt vmcnt(0)
	v_mul_f16_e32 v33, v34, v33
	s_branch .LBB3_22
.LBB3_25:
	s_cbranch_execnz .LBB3_51
	s_branch .LBB3_75
.LBB3_26:
	s_or_b32 exec_lo, exec_lo, s13
.LBB3_27:
	s_mov_b32 s2, 0
.LBB3_28:
	s_delay_alu instid0(SALU_CYCLE_1)
	s_and_not1_b32 vcc_lo, exec_lo, s2
	s_cbranch_vccnz .LBB3_38
; %bb.29:
	s_waitcnt lgkmcnt(0)
	s_mov_b32 s1, exec_lo
	s_waitcnt vmcnt(0)
	v_cmpx_lt_i32_e64 v10, v11
	s_cbranch_execz .LBB3_37
; %bb.30:
	v_lshlrev_b64 v[12:13], 1, v[8:9]
	v_mov_b32_e32 v14, v10
	v_ashrrev_i32_e32 v15, 31, v10
	v_mul_lo_u32 v20, v5, s10
	v_mul_lo_u32 v21, v4, s11
	v_mad_u64_u32 v[16:17], null, v4, s10, 0
	v_add_co_u32 v12, vcc_lo, s18, v12
	v_add_co_ci_u32_e32 v13, vcc_lo, s19, v13, vcc_lo
	s_cmp_eq_u64 s[8:9], 1
	s_delay_alu instid0(VALU_DEP_3) | instskip(SKIP_4) | instid1(VALU_DEP_2)
	v_add3_u32 v17, v17, v21, v20
	global_load_u16 v26, v[12:13], off
	v_mov_b32_e32 v12, v11
	v_ashrrev_i32_e32 v13, 31, v11
	s_cselect_b32 s0, -1, 0
	v_sub_co_u32 v18, vcc_lo, v12, v14
	s_delay_alu instid0(VALU_DEP_2) | instskip(NEXT) | instid1(VALU_DEP_1)
	v_sub_co_ci_u32_e32 v19, vcc_lo, v13, v15, vcc_lo
	v_cmp_lt_u64_e32 vcc_lo, 1, v[18:19]
	s_and_b32 s3, vcc_lo, s0
	s_mov_b32 s0, -1
	s_and_saveexec_b32 s2, s3
	s_cbranch_execz .LBB3_34
; %bb.31:
	v_mul_lo_u32 v22, v17, s8
	v_mul_lo_u32 v23, v16, s9
	v_mad_u64_u32 v[20:21], null, v16, s8, 0
	v_lshlrev_b64 v[24:25], 1, v[6:7]
	s_mov_b32 s3, 0
	s_delay_alu instid0(VALU_DEP_2) | instskip(NEXT) | instid1(VALU_DEP_1)
	v_add3_u32 v21, v21, v23, v22
	v_lshlrev_b64 v[22:23], 1, v[20:21]
	v_dual_mov_b32 v21, v19 :: v_dual_and_b32 v20, -2, v18
	s_delay_alu instid0(VALU_DEP_2) | instskip(NEXT) | instid1(VALU_DEP_3)
	v_add_co_u32 v27, vcc_lo, s16, v22
	v_add_co_ci_u32_e32 v28, vcc_lo, s17, v23, vcc_lo
	v_lshlrev_b64 v[22:23], 1, v[14:15]
	s_delay_alu instid0(VALU_DEP_3) | instskip(NEXT) | instid1(VALU_DEP_3)
	v_add_co_u32 v24, vcc_lo, v27, v24
	v_add_co_ci_u32_e32 v25, vcc_lo, v28, v25, vcc_lo
	s_waitcnt vmcnt(0)
	v_perm_b32 v27, v26, v26, 0x5040100
	s_delay_alu instid0(VALU_DEP_3) | instskip(NEXT) | instid1(VALU_DEP_3)
	v_add_co_u32 v22, vcc_lo, v24, v22
	v_add_co_ci_u32_e32 v23, vcc_lo, v25, v23, vcc_lo
	v_dual_mov_b32 v25, v21 :: v_dual_mov_b32 v24, v20
.LBB3_32:                               ; =>This Inner Loop Header: Depth=1
	s_delay_alu instid0(VALU_DEP_1) | instskip(NEXT) | instid1(VALU_DEP_2)
	v_add_co_u32 v24, vcc_lo, v24, -2
	v_add_co_ci_u32_e32 v25, vcc_lo, -1, v25, vcc_lo
	global_store_b32 v[22:23], v27, off
	v_add_co_u32 v22, s0, v22, 4
	v_cmp_eq_u64_e32 vcc_lo, 0, v[24:25]
	v_add_co_ci_u32_e64 v23, s0, 0, v23, s0
	s_or_b32 s3, vcc_lo, s3
	s_delay_alu instid0(SALU_CYCLE_1)
	s_and_not1_b32 exec_lo, exec_lo, s3
	s_cbranch_execnz .LBB3_32
; %bb.33:
	s_or_b32 exec_lo, exec_lo, s3
	v_cmp_ne_u64_e32 vcc_lo, v[18:19], v[20:21]
	v_add_co_u32 v14, s0, v20, v14
	s_delay_alu instid0(VALU_DEP_1)
	v_add_co_ci_u32_e64 v15, s0, v21, v15, s0
	s_or_not1_b32 s0, vcc_lo, exec_lo
.LBB3_34:
	s_or_b32 exec_lo, exec_lo, s2
	s_delay_alu instid0(SALU_CYCLE_1)
	s_and_b32 exec_lo, exec_lo, s0
	s_cbranch_execz .LBB3_37
; %bb.35:
	v_lshlrev_b64 v[16:17], 1, v[16:17]
	v_lshlrev_b64 v[18:19], 1, v[14:15]
	s_lshl_b64 s[2:3], s[8:9], 1
	s_mov_b32 s4, 0
	s_delay_alu instid0(VALU_DEP_1) | instskip(NEXT) | instid1(VALU_DEP_2)
	v_add_co_u32 v20, vcc_lo, v16, v18
	v_add_co_ci_u32_e32 v18, vcc_lo, v17, v19, vcc_lo
	v_lshlrev_b64 v[16:17], 1, v[2:3]
	s_delay_alu instid0(VALU_DEP_3) | instskip(NEXT) | instid1(VALU_DEP_3)
	v_mul_lo_u32 v22, s9, v20
	v_mul_lo_u32 v21, s8, v18
	s_delay_alu instid0(VALU_DEP_3) | instskip(SKIP_1) | instid1(VALU_DEP_2)
	v_mad_u64_u32 v[18:19], null, s8, v20, v[16:17]
	v_lshlrev_b64 v[16:17], 1, v[0:1]
	v_add3_u32 v19, v22, v19, v21
	s_delay_alu instid0(VALU_DEP_2) | instskip(NEXT) | instid1(VALU_DEP_2)
	v_sub_co_u32 v16, vcc_lo, v18, v16
	v_sub_co_ci_u32_e32 v17, vcc_lo, v19, v17, vcc_lo
	s_delay_alu instid0(VALU_DEP_2) | instskip(NEXT) | instid1(VALU_DEP_2)
	v_add_co_u32 v16, vcc_lo, s16, v16
	v_add_co_ci_u32_e32 v17, vcc_lo, s17, v17, vcc_lo
.LBB3_36:                               ; =>This Inner Loop Header: Depth=1
	v_add_co_u32 v14, vcc_lo, v14, 1
	v_add_co_ci_u32_e32 v15, vcc_lo, 0, v15, vcc_lo
	s_waitcnt vmcnt(0)
	global_store_b16 v[16:17], v26, off
	v_add_co_u32 v16, s0, v16, s2
	v_cmp_ge_i64_e32 vcc_lo, v[14:15], v[12:13]
	v_add_co_ci_u32_e64 v17, s0, s3, v17, s0
	s_or_b32 s4, vcc_lo, s4
	s_delay_alu instid0(SALU_CYCLE_1)
	s_and_not1_b32 exec_lo, exec_lo, s4
	s_cbranch_execnz .LBB3_36
.LBB3_37:
	s_or_b32 exec_lo, exec_lo, s1
.LBB3_38:
	s_mov_b32 s2, 0
.LBB3_39:
	s_delay_alu instid0(SALU_CYCLE_1)
	s_and_not1_b32 vcc_lo, exec_lo, s2
	s_cbranch_vccnz .LBB3_50
; %bb.40:
	s_cmp_lg_u32 s12, 1
	s_cbranch_scc1 .LBB3_50
; %bb.41:
	s_waitcnt lgkmcnt(0)
	s_mov_b32 s1, exec_lo
	s_waitcnt vmcnt(0)
	v_cmpx_lt_i32_e64 v10, v11
	s_cbranch_execz .LBB3_49
; %bb.42:
	v_lshlrev_b64 v[12:13], 1, v[8:9]
	v_mov_b32_e32 v14, v10
	v_ashrrev_i32_e32 v15, 31, v10
	v_mul_lo_u32 v22, v5, s10
	v_mul_lo_u32 v23, v4, s11
	s_cmp_eq_u64 s[8:9], 1
	v_add_co_u32 v12, vcc_lo, s18, v12
	v_add_co_ci_u32_e32 v13, vcc_lo, s19, v13, vcc_lo
	s_cselect_b32 s0, -1, 0
	global_load_u16 v20, v[12:13], off
	v_cvt_f32_i32_e32 v12, v30
	s_delay_alu instid0(VALU_DEP_1) | instskip(NEXT) | instid1(VALU_DEP_1)
	v_cvt_f16_f32_e32 v21, v12
	v_cvt_f32_f16_e32 v12, v21
	s_delay_alu instid0(VALU_DEP_1) | instskip(SKIP_4) | instid1(VALU_DEP_1)
	v_rcp_f32_e32 v12, v12
	s_waitcnt vmcnt(0)
	v_cvt_f32_f16_e32 v13, v20
	s_waitcnt_depctr 0xfff
	v_mul_f32_e32 v18, v13, v12
	v_fma_mix_f32 v13, -v21, v18, v20 op_sel_hi:[1,0,1]
	s_delay_alu instid0(VALU_DEP_1) | instskip(NEXT) | instid1(VALU_DEP_1)
	v_fmac_f32_e32 v18, v13, v12
	v_fma_mix_f32 v13, -v21, v18, v20 op_sel_hi:[1,0,1]
	s_delay_alu instid0(VALU_DEP_1) | instskip(SKIP_2) | instid1(VALU_DEP_3)
	v_mul_f32_e32 v16, v13, v12
	v_mov_b32_e32 v12, v11
	v_ashrrev_i32_e32 v13, 31, v11
	v_and_b32_e32 v19, 0xff800000, v16
	v_mad_u64_u32 v[16:17], null, v4, s10, 0
	s_delay_alu instid0(VALU_DEP_2) | instskip(SKIP_2) | instid1(VALU_DEP_3)
	v_add_f32_e32 v24, v19, v18
	v_sub_co_u32 v18, vcc_lo, v12, v14
	v_sub_co_ci_u32_e32 v19, vcc_lo, v13, v15, vcc_lo
	v_cvt_f16_f32_e32 v24, v24
	v_add3_u32 v17, v17, v23, v22
	s_delay_alu instid0(VALU_DEP_3) | instskip(NEXT) | instid1(VALU_DEP_3)
	v_cmp_lt_u64_e32 vcc_lo, 1, v[18:19]
	v_div_fixup_f16 v26, v24, v21, v20
	s_and_b32 s3, vcc_lo, s0
	s_mov_b32 s0, -1
	s_and_saveexec_b32 s2, s3
	s_cbranch_execz .LBB3_46
; %bb.43:
	v_mul_lo_u32 v22, v17, s8
	v_mul_lo_u32 v23, v16, s9
	v_mad_u64_u32 v[20:21], null, v16, s8, 0
	v_lshlrev_b64 v[24:25], 1, v[6:7]
	s_mov_b32 s3, 0
	s_delay_alu instid0(VALU_DEP_2) | instskip(NEXT) | instid1(VALU_DEP_1)
	v_add3_u32 v21, v21, v23, v22
	v_lshlrev_b64 v[22:23], 1, v[20:21]
	v_dual_mov_b32 v21, v19 :: v_dual_and_b32 v20, -2, v18
	s_delay_alu instid0(VALU_DEP_2) | instskip(NEXT) | instid1(VALU_DEP_3)
	v_add_co_u32 v27, vcc_lo, s16, v22
	v_add_co_ci_u32_e32 v28, vcc_lo, s17, v23, vcc_lo
	v_lshlrev_b64 v[22:23], 1, v[14:15]
	s_delay_alu instid0(VALU_DEP_3) | instskip(NEXT) | instid1(VALU_DEP_3)
	v_add_co_u32 v24, vcc_lo, v27, v24
	v_add_co_ci_u32_e32 v25, vcc_lo, v28, v25, vcc_lo
	v_perm_b32 v27, v26, v26, 0x5040100
	s_delay_alu instid0(VALU_DEP_3) | instskip(NEXT) | instid1(VALU_DEP_3)
	v_add_co_u32 v22, vcc_lo, v24, v22
	v_add_co_ci_u32_e32 v23, vcc_lo, v25, v23, vcc_lo
	v_dual_mov_b32 v25, v21 :: v_dual_mov_b32 v24, v20
.LBB3_44:                               ; =>This Inner Loop Header: Depth=1
	s_delay_alu instid0(VALU_DEP_1) | instskip(NEXT) | instid1(VALU_DEP_2)
	v_add_co_u32 v24, vcc_lo, v24, -2
	v_add_co_ci_u32_e32 v25, vcc_lo, -1, v25, vcc_lo
	global_store_b32 v[22:23], v27, off
	v_add_co_u32 v22, s0, v22, 4
	v_cmp_eq_u64_e32 vcc_lo, 0, v[24:25]
	v_add_co_ci_u32_e64 v23, s0, 0, v23, s0
	s_or_b32 s3, vcc_lo, s3
	s_delay_alu instid0(SALU_CYCLE_1)
	s_and_not1_b32 exec_lo, exec_lo, s3
	s_cbranch_execnz .LBB3_44
; %bb.45:
	s_or_b32 exec_lo, exec_lo, s3
	v_cmp_ne_u64_e32 vcc_lo, v[18:19], v[20:21]
	v_add_co_u32 v14, s0, v20, v14
	s_delay_alu instid0(VALU_DEP_1)
	v_add_co_ci_u32_e64 v15, s0, v21, v15, s0
	s_or_not1_b32 s0, vcc_lo, exec_lo
.LBB3_46:
	s_or_b32 exec_lo, exec_lo, s2
	s_delay_alu instid0(SALU_CYCLE_1)
	s_and_b32 exec_lo, exec_lo, s0
	s_cbranch_execz .LBB3_49
; %bb.47:
	v_lshlrev_b64 v[16:17], 1, v[16:17]
	v_lshlrev_b64 v[18:19], 1, v[14:15]
	s_lshl_b64 s[2:3], s[8:9], 1
	s_mov_b32 s4, 0
	s_delay_alu instid0(VALU_DEP_1) | instskip(NEXT) | instid1(VALU_DEP_2)
	v_add_co_u32 v20, vcc_lo, v16, v18
	v_add_co_ci_u32_e32 v18, vcc_lo, v17, v19, vcc_lo
	v_lshlrev_b64 v[16:17], 1, v[2:3]
	s_delay_alu instid0(VALU_DEP_3) | instskip(NEXT) | instid1(VALU_DEP_3)
	v_mul_lo_u32 v22, s9, v20
	v_mul_lo_u32 v21, s8, v18
	s_delay_alu instid0(VALU_DEP_3) | instskip(SKIP_1) | instid1(VALU_DEP_2)
	v_mad_u64_u32 v[18:19], null, s8, v20, v[16:17]
	v_lshlrev_b64 v[16:17], 1, v[0:1]
	v_add3_u32 v19, v22, v19, v21
	s_delay_alu instid0(VALU_DEP_2) | instskip(NEXT) | instid1(VALU_DEP_2)
	v_sub_co_u32 v16, vcc_lo, v18, v16
	v_sub_co_ci_u32_e32 v17, vcc_lo, v19, v17, vcc_lo
	s_delay_alu instid0(VALU_DEP_2) | instskip(NEXT) | instid1(VALU_DEP_2)
	v_add_co_u32 v16, vcc_lo, s16, v16
	v_add_co_ci_u32_e32 v17, vcc_lo, s17, v17, vcc_lo
.LBB3_48:                               ; =>This Inner Loop Header: Depth=1
	v_add_co_u32 v14, vcc_lo, v14, 1
	v_add_co_ci_u32_e32 v15, vcc_lo, 0, v15, vcc_lo
	global_store_b16 v[16:17], v26, off
	v_add_co_u32 v16, s0, v16, s2
	v_cmp_ge_i64_e32 vcc_lo, v[14:15], v[12:13]
	v_add_co_ci_u32_e64 v17, s0, s3, v17, s0
	s_or_b32 s4, vcc_lo, s4
	s_delay_alu instid0(SALU_CYCLE_1)
	s_and_not1_b32 exec_lo, exec_lo, s4
	s_cbranch_execnz .LBB3_48
.LBB3_49:
	s_or_b32 exec_lo, exec_lo, s1
.LBB3_50:
	s_branch .LBB3_75
.LBB3_51:
	v_mov_b32_e32 v16, 0
	s_waitcnt vmcnt(0)
	v_ashrrev_i32_e32 v13, 31, v10
	v_dual_mov_b32 v12, v10 :: v_dual_mov_b32 v17, 0
	v_ashrrev_i32_e32 v15, 31, v11
	v_mov_b32_e32 v14, v11
	v_cmp_ge_i32_e32 vcc_lo, v10, v11
	s_mov_b32 s4, exec_lo
	v_cmpx_lt_i32_e64 v10, v11
	s_cbranch_execz .LBB3_59
; %bb.52:
	v_mad_u64_u32 v[10:11], null, v4, s10, v[12:13]
	v_mul_lo_u32 v16, v4, s11
	v_mul_lo_u32 v17, v5, s10
	s_lshl_b64 s[2:3], s[8:9], 1
	s_mov_b32 s5, 0
	v_dual_mov_b32 v21, v13 :: v_dual_mov_b32 v20, v12
	s_delay_alu instid0(VALU_DEP_4) | instskip(NEXT) | instid1(VALU_DEP_3)
	v_mul_lo_u32 v18, s9, v10
	v_add3_u32 v11, v17, v11, v16
	v_mad_u64_u32 v[16:17], null, s8, v10, v[2:3]
	s_delay_alu instid0(VALU_DEP_2) | instskip(SKIP_1) | instid1(VALU_DEP_1)
	v_mul_lo_u32 v19, s8, v11
	v_lshlrev_b64 v[10:11], 1, v[8:9]
	v_add_co_u32 v8, s0, s20, v10
	s_delay_alu instid0(VALU_DEP_3) | instskip(NEXT) | instid1(VALU_DEP_3)
	v_add3_u32 v17, v18, v17, v19
	v_add_co_ci_u32_e64 v9, s0, s21, v11, s0
	v_sub_co_u32 v16, s0, v16, v0
	s_delay_alu instid0(VALU_DEP_1) | instskip(SKIP_1) | instid1(VALU_DEP_1)
	v_sub_co_ci_u32_e64 v17, s0, v17, v1, s0
	v_add_co_u32 v10, s0, s18, v10
	v_add_co_ci_u32_e64 v11, s0, s19, v11, s0
	s_delay_alu instid0(VALU_DEP_3)
	v_lshlrev_b64 v[18:19], 1, v[16:17]
	v_mov_b32_e32 v16, 0
	v_mov_b32_e32 v17, 0
	s_set_inst_prefetch_distance 0x1
	s_branch .LBB3_54
	.p2align	6
.LBB3_53:                               ;   in Loop: Header=BB3_54 Depth=1
	s_or_b32 exec_lo, exec_lo, s1
	v_add_co_u32 v20, s0, v20, 1
	s_delay_alu instid0(VALU_DEP_1) | instskip(SKIP_1) | instid1(VALU_DEP_1)
	v_add_co_ci_u32_e64 v21, s0, 0, v21, s0
	v_add_co_u32 v18, s1, v18, s2
	v_add_co_ci_u32_e64 v19, s1, s3, v19, s1
	s_delay_alu instid0(VALU_DEP_3) | instskip(NEXT) | instid1(VALU_DEP_1)
	v_cmp_ge_i64_e64 s0, v[20:21], v[14:15]
	s_or_b32 s5, s0, s5
	s_delay_alu instid0(SALU_CYCLE_1)
	s_and_not1_b32 exec_lo, exec_lo, s5
	s_cbranch_execz .LBB3_58
.LBB3_54:                               ; =>This Inner Loop Header: Depth=1
	s_delay_alu instid0(VALU_DEP_3) | instskip(NEXT) | instid1(VALU_DEP_1)
	v_add_co_u32 v22, s0, s22, v18
	v_add_co_ci_u32_e64 v23, s0, s23, v19, s0
	s_waitcnt lgkmcnt(0)
	s_mov_b32 s1, exec_lo
	global_load_u16 v22, v[22:23], off
	s_waitcnt vmcnt(0)
	v_cmp_u_f16_e64 s6, v22, v22
	v_cmpx_o_f16_e32 v22, v22
	s_cbranch_execz .LBB3_56
; %bb.55:                               ;   in Loop: Header=BB3_54 Depth=1
	global_load_u16 v23, v[8:9], off
	s_and_not1_b32 s6, s6, exec_lo
	s_waitcnt vmcnt(0)
	v_cmp_eq_f16_e64 s0, v22, v23
	s_delay_alu instid0(VALU_DEP_1) | instskip(NEXT) | instid1(SALU_CYCLE_1)
	s_and_b32 s0, s0, exec_lo
	s_or_b32 s6, s6, s0
.LBB3_56:                               ;   in Loop: Header=BB3_54 Depth=1
	s_or_b32 exec_lo, exec_lo, s1
	s_delay_alu instid0(VALU_DEP_2)
	s_and_saveexec_b32 s1, s6
	s_cbranch_execz .LBB3_53
; %bb.57:                               ;   in Loop: Header=BB3_54 Depth=1
	global_load_u16 v24, v[10:11], off
	v_add_co_u32 v22, s0, s16, v18
	s_delay_alu instid0(VALU_DEP_1) | instskip(SKIP_1) | instid1(VALU_DEP_1)
	v_add_co_ci_u32_e64 v23, s0, s17, v19, s0
	v_add_co_u32 v16, s0, v16, 1
	v_add_co_ci_u32_e64 v17, s0, 0, v17, s0
	s_waitcnt vmcnt(0)
	global_store_b16 v[22:23], v24, off
	s_branch .LBB3_53
.LBB3_58:
	s_set_inst_prefetch_distance 0x2
	s_or_b32 exec_lo, exec_lo, s5
.LBB3_59:
	s_delay_alu instid0(SALU_CYCLE_1)
	s_or_b32 exec_lo, exec_lo, s4
	v_cmp_lt_i64_e64 s0, 1, v[16:17]
	s_waitcnt lgkmcnt(0)
	s_xor_b32 s1, vcc_lo, -1
	s_delay_alu instid0(VALU_DEP_1) | instid1(SALU_CYCLE_1)
	s_and_b32 s0, s0, s1
	s_delay_alu instid0(SALU_CYCLE_1)
	s_and_b32 exec_lo, exec_lo, s0
	s_cbranch_execz .LBB3_75
; %bb.60:
	v_clz_i32_u32_e32 v8, v17
	v_mul_lo_u32 v11, v5, s10
	s_mov_b32 s2, exec_lo
	s_delay_alu instid0(VALU_DEP_2) | instskip(NEXT) | instid1(VALU_DEP_1)
	v_min_u32_e32 v10, 32, v8
	v_lshlrev_b64 v[8:9], v10, v[16:17]
	v_sub_nc_u32_e32 v10, 32, v10
	v_mul_lo_u32 v16, v4, s11
	s_delay_alu instid0(VALU_DEP_3) | instskip(NEXT) | instid1(VALU_DEP_1)
	v_min_u32_e32 v8, 1, v8
	v_or_b32_e32 v5, v9, v8
	v_mad_u64_u32 v[8:9], null, v4, s10, 0
	v_sub_co_u32 v4, vcc_lo, v14, v12
	s_delay_alu instid0(VALU_DEP_3) | instskip(SKIP_1) | instid1(VALU_DEP_4)
	v_cvt_f32_u32_e32 v17, v5
	v_sub_co_ci_u32_e32 v5, vcc_lo, v15, v13, vcc_lo
	v_add3_u32 v9, v9, v16, v11
	s_delay_alu instid0(VALU_DEP_3) | instskip(NEXT) | instid1(VALU_DEP_3)
	v_ldexp_f32 v10, v17, v10
	v_cmp_gt_u64_e32 vcc_lo, 34, v[4:5]
	s_delay_alu instid0(VALU_DEP_2)
	v_cvt_f16_f32_e32 v18, v10
	v_cmpx_lt_u64_e32 33, v[4:5]
	s_cbranch_execz .LBB3_70
; %bb.61:
	v_add_co_u32 v6, s0, v8, v6
	s_delay_alu instid0(VALU_DEP_1) | instskip(SKIP_1) | instid1(VALU_DEP_3)
	v_add_co_ci_u32_e64 v7, s0, v9, v7, s0
	v_not_b32_e32 v10, v12
	v_add_co_u32 v6, s0, v6, v12
	v_not_b32_e32 v11, v13
	s_delay_alu instid0(VALU_DEP_4) | instskip(NEXT) | instid1(VALU_DEP_4)
	v_add_co_ci_u32_e64 v7, s0, v7, v13, s0
	v_add_co_u32 v10, s0, v10, v14
	s_delay_alu instid0(VALU_DEP_1) | instskip(NEXT) | instid1(VALU_DEP_3)
	v_add_co_ci_u32_e64 v11, s0, v11, v15, s0
	v_lshlrev_b64 v[6:7], 1, v[6:7]
	s_cmp_eq_u64 s[8:9], 1
	s_delay_alu instid0(VALU_DEP_2) | instskip(SKIP_1) | instid1(VALU_DEP_2)
	v_lshlrev_b64 v[16:17], 1, v[10:11]
	s_cselect_b32 s3, -1, 0
	v_add_co_u32 v6, s0, s16, v6
	s_delay_alu instid0(VALU_DEP_1) | instskip(NEXT) | instid1(VALU_DEP_2)
	v_add_co_ci_u32_e64 v7, s0, s17, v7, s0
	v_add_co_u32 v16, s0, v6, v16
	s_delay_alu instid0(VALU_DEP_1) | instskip(SKIP_1) | instid1(VALU_DEP_2)
	v_add_co_ci_u32_e64 v17, s0, v7, v17, s0
	v_cmp_lt_i64_e64 s0, -1, v[10:11]
	v_cmp_ge_u64_e64 s1, v[16:17], v[6:7]
	s_delay_alu instid0(VALU_DEP_1) | instskip(NEXT) | instid1(SALU_CYCLE_1)
	s_and_b32 s0, s1, s0
	s_and_b32 s1, s3, s0
	s_mov_b32 s0, -1
	s_and_saveexec_b32 s3, s1
	s_cbranch_execz .LBB3_69
; %bb.62:
	v_lshlrev_b64 v[10:11], 1, v[8:9]
	v_lshlrev_b64 v[16:17], 1, v[2:3]
	;; [unrolled: 1-line block ×3, first 2 shown]
	v_and_b32_e32 v6, -2, v4
	s_mov_b32 s4, 0
	s_delay_alu instid0(VALU_DEP_3) | instskip(NEXT) | instid1(VALU_DEP_1)
	v_add_co_u32 v7, s0, v10, v16
	v_add_co_ci_u32_e64 v16, s0, v11, v17, s0
	v_lshlrev_b64 v[10:11], 1, v[0:1]
	s_delay_alu instid0(VALU_DEP_3) | instskip(SKIP_1) | instid1(VALU_DEP_4)
	v_add_co_u32 v17, s0, v7, v19
	v_mov_b32_e32 v7, v5
	v_add_co_ci_u32_e64 v16, s0, v16, v20, s0
	s_delay_alu instid0(VALU_DEP_3) | instskip(NEXT) | instid1(VALU_DEP_1)
	v_sub_co_u32 v10, s0, v17, v10
	v_sub_co_ci_u32_e64 v11, s0, v16, v11, s0
	v_cvt_f32_f16_e32 v16, v18
	s_delay_alu instid0(VALU_DEP_3) | instskip(NEXT) | instid1(VALU_DEP_1)
	v_add_co_u32 v10, s0, v10, s16
	v_add_co_ci_u32_e64 v11, s0, s17, v11, s0
	s_delay_alu instid0(VALU_DEP_3) | instskip(NEXT) | instid1(VALU_DEP_2)
	v_rcp_f32_e32 v19, v16
	v_add_co_u32 v10, s0, v10, 2
	s_delay_alu instid0(VALU_DEP_1)
	v_add_co_ci_u32_e64 v11, s0, 0, v11, s0
	v_dual_mov_b32 v17, v7 :: v_dual_mov_b32 v16, v6
	s_branch .LBB3_64
.LBB3_63:                               ;   in Loop: Header=BB3_64 Depth=1
	s_or_b32 exec_lo, exec_lo, s1
	v_add_co_u32 v16, s0, v16, -2
	s_delay_alu instid0(VALU_DEP_1) | instskip(SKIP_1) | instid1(VALU_DEP_1)
	v_add_co_ci_u32_e64 v17, s0, -1, v17, s0
	v_add_co_u32 v10, s1, v10, 4
	v_add_co_ci_u32_e64 v11, s1, 0, v11, s1
	s_delay_alu instid0(VALU_DEP_3) | instskip(NEXT) | instid1(VALU_DEP_1)
	v_cmp_eq_u64_e64 s0, 0, v[16:17]
	s_or_b32 s4, s0, s4
	s_delay_alu instid0(SALU_CYCLE_1)
	s_and_not1_b32 exec_lo, exec_lo, s4
	s_cbranch_execz .LBB3_68
.LBB3_64:                               ; =>This Inner Loop Header: Depth=1
	global_load_b32 v21, v[10:11], off offset:-2
	s_mov_b32 s5, exec_lo
	s_waitcnt vmcnt(0)
	v_lshrrev_b32_e32 v20, 16, v21
	s_delay_alu instid0(VALU_DEP_1)
	v_cmp_lt_f16_e64 s0, 0, v20
	v_cmpx_lt_f16_e32 0, v21
	s_cbranch_execz .LBB3_66
; %bb.65:                               ;   in Loop: Header=BB3_64 Depth=1
	v_cvt_f32_f16_e32 v22, v21
	s_delay_alu instid0(VALU_DEP_1) | instskip(NEXT) | instid1(VALU_DEP_1)
	v_mul_f32_e32 v22, v22, v19
	v_fma_mix_f32 v23, -v18, v22, v21 op_sel_hi:[1,0,1]
	s_delay_alu instid0(VALU_DEP_1) | instskip(NEXT) | instid1(VALU_DEP_1)
	v_fmac_f32_e32 v22, v23, v19
	v_fma_mix_f32 v23, -v18, v22, v21 op_sel_hi:[1,0,1]
	s_delay_alu instid0(VALU_DEP_1) | instskip(NEXT) | instid1(VALU_DEP_1)
	v_mul_f32_e32 v23, v23, v19
	v_and_b32_e32 v23, 0xff800000, v23
	s_delay_alu instid0(VALU_DEP_1) | instskip(NEXT) | instid1(VALU_DEP_1)
	v_add_f32_e32 v22, v23, v22
	v_cvt_f16_f32_e32 v22, v22
	s_delay_alu instid0(VALU_DEP_1)
	v_div_fixup_f16 v22, v22, v18, v21
	global_store_b16 v[10:11], v22, off offset:-2
.LBB3_66:                               ;   in Loop: Header=BB3_64 Depth=1
	s_or_b32 exec_lo, exec_lo, s5
	s_delay_alu instid0(VALU_DEP_2)
	s_and_saveexec_b32 s1, s0
	s_cbranch_execz .LBB3_63
; %bb.67:                               ;   in Loop: Header=BB3_64 Depth=1
	v_cvt_f32_f16_e32 v22, v20
	s_delay_alu instid0(VALU_DEP_1) | instskip(NEXT) | instid1(VALU_DEP_1)
	v_mul_f32_e32 v22, v22, v19
	v_fma_mix_f32 v23, -v18, v22, v21 op_sel:[0,0,1] op_sel_hi:[1,0,1]
	s_delay_alu instid0(VALU_DEP_1) | instskip(NEXT) | instid1(VALU_DEP_1)
	v_fmac_f32_e32 v22, v23, v19
	v_fma_mix_f32 v21, -v18, v22, v21 op_sel:[0,0,1] op_sel_hi:[1,0,1]
	s_delay_alu instid0(VALU_DEP_1) | instskip(NEXT) | instid1(VALU_DEP_1)
	v_mul_f32_e32 v21, v21, v19
	v_and_b32_e32 v21, 0xff800000, v21
	s_delay_alu instid0(VALU_DEP_1) | instskip(NEXT) | instid1(VALU_DEP_1)
	v_add_f32_e32 v21, v21, v22
	v_cvt_f16_f32_e32 v21, v21
	s_delay_alu instid0(VALU_DEP_1)
	v_div_fixup_f16 v20, v21, v18, v20
	global_store_b16 v[10:11], v20, off
	s_branch .LBB3_63
.LBB3_68:
	s_or_b32 exec_lo, exec_lo, s4
	v_cmp_ne_u64_e64 s0, v[4:5], v[6:7]
	v_add_co_u32 v12, s1, v6, v12
	s_delay_alu instid0(VALU_DEP_1) | instskip(NEXT) | instid1(VALU_DEP_3)
	v_add_co_ci_u32_e64 v13, s1, v7, v13, s1
	s_or_not1_b32 s0, s0, exec_lo
.LBB3_69:
	s_or_b32 exec_lo, exec_lo, s3
	s_delay_alu instid0(SALU_CYCLE_1) | instskip(SKIP_1) | instid1(SALU_CYCLE_1)
	s_and_not1_b32 s1, vcc_lo, exec_lo
	s_and_b32 s0, s0, exec_lo
	s_or_b32 vcc_lo, s1, s0
.LBB3_70:
	s_or_b32 exec_lo, exec_lo, s2
	s_delay_alu instid0(SALU_CYCLE_1)
	s_and_b32 exec_lo, exec_lo, vcc_lo
	s_cbranch_execz .LBB3_75
; %bb.71:
	v_lshlrev_b64 v[4:5], 1, v[8:9]
	v_lshlrev_b64 v[6:7], 1, v[12:13]
	;; [unrolled: 1-line block ×4, first 2 shown]
	s_lshl_b64 s[2:3], s[8:9], 1
	s_mov_b32 s1, 0
	s_delay_alu instid0(VALU_DEP_3) | instskip(SKIP_1) | instid1(VALU_DEP_2)
	v_add_co_u32 v6, vcc_lo, v4, v6
	v_add_co_ci_u32_e32 v4, vcc_lo, v5, v7, vcc_lo
	v_mul_lo_u32 v8, s9, v6
	s_delay_alu instid0(VALU_DEP_2) | instskip(SKIP_2) | instid1(VALU_DEP_2)
	v_mul_lo_u32 v7, s8, v4
	v_mad_u64_u32 v[4:5], null, s8, v6, v[2:3]
	v_cvt_f32_f16_e32 v3, v18
	v_add3_u32 v2, v8, v5, v7
	s_delay_alu instid0(VALU_DEP_3) | instskip(NEXT) | instid1(VALU_DEP_2)
	v_sub_co_u32 v0, vcc_lo, v4, v0
	v_sub_co_ci_u32_e32 v1, vcc_lo, v2, v1, vcc_lo
	s_delay_alu instid0(VALU_DEP_4) | instskip(NEXT) | instid1(VALU_DEP_2)
	v_rcp_f32_e32 v2, v3
	v_add_co_u32 v0, vcc_lo, s16, v0
	s_delay_alu instid0(VALU_DEP_2)
	v_add_co_ci_u32_e32 v1, vcc_lo, s17, v1, vcc_lo
	s_set_inst_prefetch_distance 0x1
	s_branch .LBB3_73
	.p2align	6
.LBB3_72:                               ;   in Loop: Header=BB3_73 Depth=1
	s_or_b32 exec_lo, exec_lo, s0
	v_add_co_u32 v12, vcc_lo, v12, 1
	v_add_co_ci_u32_e32 v13, vcc_lo, 0, v13, vcc_lo
	v_add_co_u32 v0, s0, v0, s2
	s_delay_alu instid0(VALU_DEP_1) | instskip(NEXT) | instid1(VALU_DEP_3)
	v_add_co_ci_u32_e64 v1, s0, s3, v1, s0
	v_cmp_ge_i64_e32 vcc_lo, v[12:13], v[14:15]
	s_or_b32 s1, vcc_lo, s1
	s_delay_alu instid0(SALU_CYCLE_1)
	s_and_not1_b32 exec_lo, exec_lo, s1
	s_cbranch_execz .LBB3_75
.LBB3_73:                               ; =>This Inner Loop Header: Depth=1
	global_load_u16 v3, v[0:1], off
	s_mov_b32 s0, exec_lo
	s_waitcnt vmcnt(0)
	v_cmpx_lt_f16_e32 0, v3
	s_cbranch_execz .LBB3_72
; %bb.74:                               ;   in Loop: Header=BB3_73 Depth=1
	v_cvt_f32_f16_e32 v4, v3
	s_delay_alu instid0(VALU_DEP_1) | instskip(NEXT) | instid1(VALU_DEP_1)
	v_mul_f32_e32 v4, v4, v2
	v_fma_mix_f32 v5, -v18, v4, v3 op_sel_hi:[1,0,1]
	s_delay_alu instid0(VALU_DEP_1) | instskip(NEXT) | instid1(VALU_DEP_1)
	v_fmac_f32_e32 v4, v5, v2
	v_fma_mix_f32 v5, -v18, v4, v3 op_sel_hi:[1,0,1]
	s_delay_alu instid0(VALU_DEP_1) | instskip(NEXT) | instid1(VALU_DEP_1)
	v_mul_f32_e32 v5, v5, v2
	v_and_b32_e32 v5, 0xff800000, v5
	s_delay_alu instid0(VALU_DEP_1) | instskip(NEXT) | instid1(VALU_DEP_1)
	v_add_f32_e32 v4, v5, v4
	v_cvt_f16_f32_e32 v4, v4
	s_delay_alu instid0(VALU_DEP_1)
	v_div_fixup_f16 v3, v4, v18, v3
	global_store_b16 v[0:1], v3, off
	s_branch .LBB3_72
.LBB3_75:
	s_set_inst_prefetch_distance 0x2
	s_nop 0
	s_sendmsg sendmsg(MSG_DEALLOC_VGPRS)
	s_endpgm
	.section	.rodata,"a",@progbits
	.p2align	6, 0x0
	.amdhsa_kernel _ZN2at6native12_GLOBAL__N_130segment_reduce_backward_kernelIN3c104HalfEiEEvNS0_13ReductionTypeEPT_PKS6_S9_S9_PKT0_SC_llS6_lllllll
		.amdhsa_group_segment_fixed_size 0
		.amdhsa_private_segment_fixed_size 0
		.amdhsa_kernarg_size 392
		.amdhsa_user_sgpr_count 15
		.amdhsa_user_sgpr_dispatch_ptr 0
		.amdhsa_user_sgpr_queue_ptr 0
		.amdhsa_user_sgpr_kernarg_segment_ptr 1
		.amdhsa_user_sgpr_dispatch_id 0
		.amdhsa_user_sgpr_private_segment_size 0
		.amdhsa_wavefront_size32 1
		.amdhsa_uses_dynamic_stack 0
		.amdhsa_enable_private_segment 0
		.amdhsa_system_sgpr_workgroup_id_x 1
		.amdhsa_system_sgpr_workgroup_id_y 0
		.amdhsa_system_sgpr_workgroup_id_z 0
		.amdhsa_system_sgpr_workgroup_info 0
		.amdhsa_system_vgpr_workitem_id 0
		.amdhsa_next_free_vgpr 35
		.amdhsa_next_free_sgpr 44
		.amdhsa_reserve_vcc 1
		.amdhsa_float_round_mode_32 0
		.amdhsa_float_round_mode_16_64 0
		.amdhsa_float_denorm_mode_32 3
		.amdhsa_float_denorm_mode_16_64 3
		.amdhsa_dx10_clamp 1
		.amdhsa_ieee_mode 1
		.amdhsa_fp16_overflow 0
		.amdhsa_workgroup_processor_mode 1
		.amdhsa_memory_ordered 1
		.amdhsa_forward_progress 0
		.amdhsa_shared_vgpr_count 0
		.amdhsa_exception_fp_ieee_invalid_op 0
		.amdhsa_exception_fp_denorm_src 0
		.amdhsa_exception_fp_ieee_div_zero 0
		.amdhsa_exception_fp_ieee_overflow 0
		.amdhsa_exception_fp_ieee_underflow 0
		.amdhsa_exception_fp_ieee_inexact 0
		.amdhsa_exception_int_div_zero 0
	.end_amdhsa_kernel
	.section	.text._ZN2at6native12_GLOBAL__N_130segment_reduce_backward_kernelIN3c104HalfEiEEvNS0_13ReductionTypeEPT_PKS6_S9_S9_PKT0_SC_llS6_lllllll,"axG",@progbits,_ZN2at6native12_GLOBAL__N_130segment_reduce_backward_kernelIN3c104HalfEiEEvNS0_13ReductionTypeEPT_PKS6_S9_S9_PKT0_SC_llS6_lllllll,comdat
.Lfunc_end3:
	.size	_ZN2at6native12_GLOBAL__N_130segment_reduce_backward_kernelIN3c104HalfEiEEvNS0_13ReductionTypeEPT_PKS6_S9_S9_PKT0_SC_llS6_lllllll, .Lfunc_end3-_ZN2at6native12_GLOBAL__N_130segment_reduce_backward_kernelIN3c104HalfEiEEvNS0_13ReductionTypeEPT_PKS6_S9_S9_PKT0_SC_llS6_lllllll
                                        ; -- End function
	.section	.AMDGPU.csdata,"",@progbits
; Kernel info:
; codeLenInByte = 6296
; NumSgprs: 46
; NumVgprs: 35
; ScratchSize: 0
; MemoryBound: 0
; FloatMode: 240
; IeeeMode: 1
; LDSByteSize: 0 bytes/workgroup (compile time only)
; SGPRBlocks: 5
; VGPRBlocks: 4
; NumSGPRsForWavesPerEU: 46
; NumVGPRsForWavesPerEU: 35
; Occupancy: 16
; WaveLimiterHint : 1
; COMPUTE_PGM_RSRC2:SCRATCH_EN: 0
; COMPUTE_PGM_RSRC2:USER_SGPR: 15
; COMPUTE_PGM_RSRC2:TRAP_HANDLER: 0
; COMPUTE_PGM_RSRC2:TGID_X_EN: 1
; COMPUTE_PGM_RSRC2:TGID_Y_EN: 0
; COMPUTE_PGM_RSRC2:TGID_Z_EN: 0
; COMPUTE_PGM_RSRC2:TIDIG_COMP_CNT: 0
	.section	.text._ZN2at6native12_GLOBAL__N_130segment_reduce_backward_kernelIdlEEvNS0_13ReductionTypeEPT_PKS4_S7_S7_PKT0_SA_llS4_lllllll,"axG",@progbits,_ZN2at6native12_GLOBAL__N_130segment_reduce_backward_kernelIdlEEvNS0_13ReductionTypeEPT_PKS4_S7_S7_PKT0_SA_llS4_lllllll,comdat
	.globl	_ZN2at6native12_GLOBAL__N_130segment_reduce_backward_kernelIdlEEvNS0_13ReductionTypeEPT_PKS4_S7_S7_PKT0_SA_llS4_lllllll ; -- Begin function _ZN2at6native12_GLOBAL__N_130segment_reduce_backward_kernelIdlEEvNS0_13ReductionTypeEPT_PKS4_S7_S7_PKT0_SA_llS4_lllllll
	.p2align	8
	.type	_ZN2at6native12_GLOBAL__N_130segment_reduce_backward_kernelIdlEEvNS0_13ReductionTypeEPT_PKS4_S7_S7_PKT0_SA_llS4_lllllll,@function
_ZN2at6native12_GLOBAL__N_130segment_reduce_backward_kernelIdlEEvNS0_13ReductionTypeEPT_PKS4_S7_S7_PKT0_SA_llS4_lllllll: ; @_ZN2at6native12_GLOBAL__N_130segment_reduce_backward_kernelIdlEEvNS0_13ReductionTypeEPT_PKS4_S7_S7_PKT0_SA_llS4_lllllll
; %bb.0:
	s_clause 0x2
	s_load_b512 s[16:31], s[0:1], 0x8
	s_load_b32 s2, s[0:1], 0x94
	s_load_b512 s[36:51], s[0:1], 0x48
	v_mov_b32_e32 v2, 0
	s_delay_alu instid0(VALU_DEP_1)
	v_mov_b32_e32 v1, v2
	s_waitcnt lgkmcnt(0)
	s_and_b32 s2, s2, 0xffff
	s_mul_i32 s3, s38, s29
	s_mul_hi_u32 s4, s38, s28
	s_mul_i32 s5, s39, s28
	s_mul_i32 s6, s38, s28
	v_mad_u64_u32 v[4:5], null, s2, s15, v[0:1]
	s_add_i32 s2, s4, s3
	s_mul_i32 s3, s6, s41
	s_mul_hi_u32 s4, s6, s40
	s_add_i32 s2, s2, s5
	s_add_i32 s3, s4, s3
	s_mul_i32 s2, s2, s40
	s_delay_alu instid0(SALU_CYCLE_1) | instskip(SKIP_1) | instid1(SALU_CYCLE_1)
	s_add_i32 s3, s3, s2
	s_mul_i32 s2, s6, s40
	v_cmp_gt_i64_e32 vcc_lo, s[2:3], v[4:5]
	s_and_saveexec_b32 s2, vcc_lo
	s_cbranch_execz .LBB4_54
; %bb.1:
	v_or_b32_e32 v3, s41, v5
                                        ; implicit-def: $vgpr10_vgpr11
	s_mov_b32 s2, exec_lo
	s_delay_alu instid0(VALU_DEP_1)
	v_cmpx_ne_u64_e32 0, v[2:3]
	s_xor_b32 s3, exec_lo, s2
	s_cbranch_execz .LBB4_3
; %bb.2:
	s_ashr_i32 s4, s41, 31
	s_delay_alu instid0(SALU_CYCLE_1) | instskip(SKIP_2) | instid1(SALU_CYCLE_1)
	s_add_u32 s6, s40, s4
	s_mov_b32 s5, s4
	s_addc_u32 s7, s41, s4
	s_xor_b64 s[6:7], s[6:7], s[4:5]
	s_delay_alu instid0(SALU_CYCLE_1) | instskip(SKIP_3) | instid1(VALU_DEP_1)
	v_cvt_f32_u32_e32 v0, s6
	v_cvt_f32_u32_e32 v1, s7
	s_sub_u32 s2, 0, s6
	s_subb_u32 s5, 0, s7
	v_fmamk_f32 v0, v1, 0x4f800000, v0
	s_delay_alu instid0(VALU_DEP_1) | instskip(SKIP_2) | instid1(VALU_DEP_1)
	v_rcp_f32_e32 v0, v0
	s_waitcnt_depctr 0xfff
	v_mul_f32_e32 v0, 0x5f7ffffc, v0
	v_mul_f32_e32 v1, 0x2f800000, v0
	s_delay_alu instid0(VALU_DEP_1) | instskip(NEXT) | instid1(VALU_DEP_1)
	v_trunc_f32_e32 v1, v1
	v_fmamk_f32 v0, v1, 0xcf800000, v0
	v_cvt_u32_f32_e32 v1, v1
	s_delay_alu instid0(VALU_DEP_2) | instskip(NEXT) | instid1(VALU_DEP_2)
	v_cvt_u32_f32_e32 v0, v0
	v_mul_lo_u32 v2, s2, v1
	s_delay_alu instid0(VALU_DEP_2) | instskip(SKIP_1) | instid1(VALU_DEP_2)
	v_mul_hi_u32 v3, s2, v0
	v_mul_lo_u32 v6, s5, v0
	v_add_nc_u32_e32 v2, v3, v2
	v_mul_lo_u32 v3, s2, v0
	s_delay_alu instid0(VALU_DEP_2) | instskip(NEXT) | instid1(VALU_DEP_2)
	v_add_nc_u32_e32 v2, v2, v6
	v_mul_hi_u32 v6, v0, v3
	s_delay_alu instid0(VALU_DEP_2)
	v_mul_lo_u32 v7, v0, v2
	v_mul_hi_u32 v8, v0, v2
	v_mul_hi_u32 v9, v1, v3
	v_mul_lo_u32 v3, v1, v3
	v_mul_hi_u32 v10, v1, v2
	v_mul_lo_u32 v2, v1, v2
	v_add_co_u32 v6, vcc_lo, v6, v7
	v_add_co_ci_u32_e32 v7, vcc_lo, 0, v8, vcc_lo
	s_delay_alu instid0(VALU_DEP_2) | instskip(NEXT) | instid1(VALU_DEP_2)
	v_add_co_u32 v3, vcc_lo, v6, v3
	v_add_co_ci_u32_e32 v3, vcc_lo, v7, v9, vcc_lo
	v_add_co_ci_u32_e32 v6, vcc_lo, 0, v10, vcc_lo
	v_ashrrev_i32_e32 v9, 31, v5
	s_delay_alu instid0(VALU_DEP_3) | instskip(NEXT) | instid1(VALU_DEP_3)
	v_add_co_u32 v2, vcc_lo, v3, v2
	v_add_co_ci_u32_e32 v3, vcc_lo, 0, v6, vcc_lo
	s_delay_alu instid0(VALU_DEP_2) | instskip(NEXT) | instid1(VALU_DEP_2)
	v_add_co_u32 v0, vcc_lo, v0, v2
	v_add_co_ci_u32_e32 v1, vcc_lo, v1, v3, vcc_lo
	s_delay_alu instid0(VALU_DEP_2) | instskip(SKIP_1) | instid1(VALU_DEP_3)
	v_mul_hi_u32 v2, s2, v0
	v_mul_lo_u32 v6, s5, v0
	v_mul_lo_u32 v3, s2, v1
	s_delay_alu instid0(VALU_DEP_1) | instskip(SKIP_1) | instid1(VALU_DEP_2)
	v_add_nc_u32_e32 v2, v2, v3
	v_mul_lo_u32 v3, s2, v0
	v_add_nc_u32_e32 v2, v2, v6
	s_delay_alu instid0(VALU_DEP_2) | instskip(NEXT) | instid1(VALU_DEP_2)
	v_mul_hi_u32 v6, v0, v3
	v_mul_lo_u32 v7, v0, v2
	v_mul_hi_u32 v8, v0, v2
	v_mul_hi_u32 v10, v1, v3
	v_mul_lo_u32 v3, v1, v3
	v_mul_hi_u32 v11, v1, v2
	v_mul_lo_u32 v2, v1, v2
	v_add_co_u32 v6, vcc_lo, v6, v7
	v_add_co_ci_u32_e32 v7, vcc_lo, 0, v8, vcc_lo
	s_delay_alu instid0(VALU_DEP_2) | instskip(NEXT) | instid1(VALU_DEP_2)
	v_add_co_u32 v3, vcc_lo, v6, v3
	v_add_co_ci_u32_e32 v3, vcc_lo, v7, v10, vcc_lo
	v_add_co_ci_u32_e32 v6, vcc_lo, 0, v11, vcc_lo
	v_add_co_u32 v7, vcc_lo, v4, v9
	v_add_co_ci_u32_e32 v8, vcc_lo, v5, v9, vcc_lo
	s_delay_alu instid0(VALU_DEP_4) | instskip(NEXT) | instid1(VALU_DEP_4)
	v_add_co_u32 v2, vcc_lo, v3, v2
	v_add_co_ci_u32_e32 v3, vcc_lo, 0, v6, vcc_lo
	s_delay_alu instid0(VALU_DEP_4) | instskip(NEXT) | instid1(VALU_DEP_3)
	v_xor_b32_e32 v10, v7, v9
	v_add_co_u32 v6, vcc_lo, v0, v2
	s_delay_alu instid0(VALU_DEP_3) | instskip(SKIP_1) | instid1(VALU_DEP_3)
	v_add_co_ci_u32_e32 v11, vcc_lo, v1, v3, vcc_lo
	v_xor_b32_e32 v8, v8, v9
	v_mul_hi_u32 v12, v10, v6
	s_delay_alu instid0(VALU_DEP_3) | instskip(NEXT) | instid1(VALU_DEP_3)
	v_mad_u64_u32 v[0:1], null, v10, v11, 0
	v_mad_u64_u32 v[2:3], null, v8, v6, 0
	;; [unrolled: 1-line block ×3, first 2 shown]
	s_delay_alu instid0(VALU_DEP_3) | instskip(NEXT) | instid1(VALU_DEP_4)
	v_add_co_u32 v0, vcc_lo, v12, v0
	v_add_co_ci_u32_e32 v1, vcc_lo, 0, v1, vcc_lo
	s_delay_alu instid0(VALU_DEP_2) | instskip(NEXT) | instid1(VALU_DEP_2)
	v_add_co_u32 v0, vcc_lo, v0, v2
	v_add_co_ci_u32_e32 v0, vcc_lo, v1, v3, vcc_lo
	v_add_co_ci_u32_e32 v1, vcc_lo, 0, v7, vcc_lo
	s_delay_alu instid0(VALU_DEP_2) | instskip(NEXT) | instid1(VALU_DEP_2)
	v_add_co_u32 v2, vcc_lo, v0, v6
	v_add_co_ci_u32_e32 v3, vcc_lo, 0, v1, vcc_lo
	s_delay_alu instid0(VALU_DEP_2) | instskip(SKIP_1) | instid1(VALU_DEP_3)
	v_mul_lo_u32 v6, s7, v2
	v_mad_u64_u32 v[0:1], null, s6, v2, 0
	v_mul_lo_u32 v7, s6, v3
	s_delay_alu instid0(VALU_DEP_2) | instskip(NEXT) | instid1(VALU_DEP_2)
	v_sub_co_u32 v0, vcc_lo, v10, v0
	v_add3_u32 v1, v1, v7, v6
	s_delay_alu instid0(VALU_DEP_1) | instskip(NEXT) | instid1(VALU_DEP_1)
	v_sub_nc_u32_e32 v6, v8, v1
	v_subrev_co_ci_u32_e64 v6, s2, s7, v6, vcc_lo
	v_add_co_u32 v7, s2, v2, 2
	s_delay_alu instid0(VALU_DEP_1) | instskip(SKIP_3) | instid1(VALU_DEP_3)
	v_add_co_ci_u32_e64 v10, s2, 0, v3, s2
	v_sub_co_u32 v11, s2, v0, s6
	v_sub_co_ci_u32_e32 v1, vcc_lo, v8, v1, vcc_lo
	v_subrev_co_ci_u32_e64 v6, s2, 0, v6, s2
	v_cmp_le_u32_e32 vcc_lo, s6, v11
	s_delay_alu instid0(VALU_DEP_3) | instskip(SKIP_1) | instid1(VALU_DEP_4)
	v_cmp_eq_u32_e64 s2, s7, v1
	v_cndmask_b32_e64 v8, 0, -1, vcc_lo
	v_cmp_le_u32_e32 vcc_lo, s7, v6
	v_cndmask_b32_e64 v11, 0, -1, vcc_lo
	v_cmp_le_u32_e32 vcc_lo, s6, v0
	;; [unrolled: 2-line block ×3, first 2 shown]
	v_cndmask_b32_e64 v12, 0, -1, vcc_lo
	v_cmp_eq_u32_e32 vcc_lo, s7, v6
	s_delay_alu instid0(VALU_DEP_2) | instskip(SKIP_3) | instid1(VALU_DEP_3)
	v_cndmask_b32_e64 v0, v12, v0, s2
	v_cndmask_b32_e32 v6, v11, v8, vcc_lo
	v_add_co_u32 v8, vcc_lo, v2, 1
	v_add_co_ci_u32_e32 v11, vcc_lo, 0, v3, vcc_lo
	v_cmp_ne_u32_e32 vcc_lo, 0, v6
	s_delay_alu instid0(VALU_DEP_2) | instskip(SKIP_2) | instid1(VALU_DEP_3)
	v_dual_cndmask_b32 v1, v11, v10 :: v_dual_cndmask_b32 v6, v8, v7
	v_cmp_ne_u32_e32 vcc_lo, 0, v0
	v_xor_b32_e32 v0, s4, v9
	v_dual_cndmask_b32 v2, v2, v6 :: v_dual_cndmask_b32 v1, v3, v1
	s_delay_alu instid0(VALU_DEP_1) | instskip(NEXT) | instid1(VALU_DEP_2)
	v_xor_b32_e32 v2, v2, v0
	v_xor_b32_e32 v1, v1, v0
	s_delay_alu instid0(VALU_DEP_2) | instskip(NEXT) | instid1(VALU_DEP_2)
	v_sub_co_u32 v10, vcc_lo, v2, v0
	v_sub_co_ci_u32_e32 v11, vcc_lo, v1, v0, vcc_lo
.LBB4_3:
	s_and_not1_saveexec_b32 s2, s3
	s_cbranch_execz .LBB4_5
; %bb.4:
	v_cvt_f32_u32_e32 v0, s40
	s_sub_i32 s3, 0, s40
	v_mov_b32_e32 v11, 0
	s_delay_alu instid0(VALU_DEP_2) | instskip(SKIP_2) | instid1(VALU_DEP_1)
	v_rcp_iflag_f32_e32 v0, v0
	s_waitcnt_depctr 0xfff
	v_mul_f32_e32 v0, 0x4f7ffffe, v0
	v_cvt_u32_f32_e32 v0, v0
	s_delay_alu instid0(VALU_DEP_1) | instskip(NEXT) | instid1(VALU_DEP_1)
	v_mul_lo_u32 v1, s3, v0
	v_mul_hi_u32 v1, v0, v1
	s_delay_alu instid0(VALU_DEP_1) | instskip(NEXT) | instid1(VALU_DEP_1)
	v_add_nc_u32_e32 v0, v0, v1
	v_mul_hi_u32 v0, v4, v0
	s_delay_alu instid0(VALU_DEP_1) | instskip(SKIP_1) | instid1(VALU_DEP_2)
	v_mul_lo_u32 v1, v0, s40
	v_add_nc_u32_e32 v2, 1, v0
	v_sub_nc_u32_e32 v1, v4, v1
	s_delay_alu instid0(VALU_DEP_1) | instskip(SKIP_1) | instid1(VALU_DEP_2)
	v_subrev_nc_u32_e32 v3, s40, v1
	v_cmp_le_u32_e32 vcc_lo, s40, v1
	v_dual_cndmask_b32 v1, v1, v3 :: v_dual_cndmask_b32 v0, v0, v2
	s_delay_alu instid0(VALU_DEP_1) | instskip(NEXT) | instid1(VALU_DEP_2)
	v_cmp_le_u32_e32 vcc_lo, s40, v1
	v_add_nc_u32_e32 v2, 1, v0
	s_delay_alu instid0(VALU_DEP_1)
	v_cndmask_b32_e32 v10, v0, v2, vcc_lo
.LBB4_5:
	s_or_b32 exec_lo, exec_lo, s2
	s_delay_alu instid0(VALU_DEP_1) | instskip(SKIP_2) | instid1(VALU_DEP_1)
	v_or_b32_e32 v1, s29, v11
	v_mov_b32_e32 v0, 0
                                        ; implicit-def: $vgpr6_vgpr7
	s_mov_b32 s2, exec_lo
	v_cmpx_ne_u64_e32 0, v[0:1]
	s_xor_b32 s3, exec_lo, s2
	s_cbranch_execz .LBB4_7
; %bb.6:
	s_ashr_i32 s4, s29, 31
	s_delay_alu instid0(SALU_CYCLE_1) | instskip(SKIP_2) | instid1(SALU_CYCLE_1)
	s_add_u32 s6, s28, s4
	s_mov_b32 s5, s4
	s_addc_u32 s7, s29, s4
	s_xor_b64 s[6:7], s[6:7], s[4:5]
	s_delay_alu instid0(SALU_CYCLE_1) | instskip(SKIP_3) | instid1(VALU_DEP_1)
	v_cvt_f32_u32_e32 v0, s6
	v_cvt_f32_u32_e32 v1, s7
	s_sub_u32 s2, 0, s6
	s_subb_u32 s5, 0, s7
	v_fmamk_f32 v0, v1, 0x4f800000, v0
	s_delay_alu instid0(VALU_DEP_1) | instskip(SKIP_2) | instid1(VALU_DEP_1)
	v_rcp_f32_e32 v0, v0
	s_waitcnt_depctr 0xfff
	v_mul_f32_e32 v0, 0x5f7ffffc, v0
	v_mul_f32_e32 v1, 0x2f800000, v0
	s_delay_alu instid0(VALU_DEP_1) | instskip(NEXT) | instid1(VALU_DEP_1)
	v_trunc_f32_e32 v1, v1
	v_fmamk_f32 v0, v1, 0xcf800000, v0
	v_cvt_u32_f32_e32 v1, v1
	s_delay_alu instid0(VALU_DEP_2) | instskip(NEXT) | instid1(VALU_DEP_2)
	v_cvt_u32_f32_e32 v0, v0
	v_mul_lo_u32 v2, s2, v1
	s_delay_alu instid0(VALU_DEP_2) | instskip(SKIP_1) | instid1(VALU_DEP_2)
	v_mul_hi_u32 v3, s2, v0
	v_mul_lo_u32 v6, s5, v0
	v_add_nc_u32_e32 v2, v3, v2
	v_mul_lo_u32 v3, s2, v0
	s_delay_alu instid0(VALU_DEP_2) | instskip(NEXT) | instid1(VALU_DEP_2)
	v_add_nc_u32_e32 v2, v2, v6
	v_mul_hi_u32 v6, v0, v3
	s_delay_alu instid0(VALU_DEP_2)
	v_mul_lo_u32 v7, v0, v2
	v_mul_hi_u32 v8, v0, v2
	v_mul_hi_u32 v9, v1, v3
	v_mul_lo_u32 v3, v1, v3
	v_mul_hi_u32 v12, v1, v2
	v_mul_lo_u32 v2, v1, v2
	v_add_co_u32 v6, vcc_lo, v6, v7
	v_add_co_ci_u32_e32 v7, vcc_lo, 0, v8, vcc_lo
	s_delay_alu instid0(VALU_DEP_2) | instskip(NEXT) | instid1(VALU_DEP_2)
	v_add_co_u32 v3, vcc_lo, v6, v3
	v_add_co_ci_u32_e32 v3, vcc_lo, v7, v9, vcc_lo
	v_add_co_ci_u32_e32 v6, vcc_lo, 0, v12, vcc_lo
	v_ashrrev_i32_e32 v9, 31, v11
	s_delay_alu instid0(VALU_DEP_3) | instskip(NEXT) | instid1(VALU_DEP_3)
	v_add_co_u32 v2, vcc_lo, v3, v2
	v_add_co_ci_u32_e32 v3, vcc_lo, 0, v6, vcc_lo
	s_delay_alu instid0(VALU_DEP_2) | instskip(NEXT) | instid1(VALU_DEP_2)
	v_add_co_u32 v0, vcc_lo, v0, v2
	v_add_co_ci_u32_e32 v1, vcc_lo, v1, v3, vcc_lo
	s_delay_alu instid0(VALU_DEP_2) | instskip(SKIP_1) | instid1(VALU_DEP_3)
	v_mul_hi_u32 v2, s2, v0
	v_mul_lo_u32 v6, s5, v0
	v_mul_lo_u32 v3, s2, v1
	s_delay_alu instid0(VALU_DEP_1) | instskip(SKIP_1) | instid1(VALU_DEP_2)
	v_add_nc_u32_e32 v2, v2, v3
	v_mul_lo_u32 v3, s2, v0
	v_add_nc_u32_e32 v2, v2, v6
	s_delay_alu instid0(VALU_DEP_2) | instskip(NEXT) | instid1(VALU_DEP_2)
	v_mul_hi_u32 v6, v0, v3
	v_mul_lo_u32 v7, v0, v2
	v_mul_hi_u32 v8, v0, v2
	v_mul_hi_u32 v12, v1, v3
	v_mul_lo_u32 v3, v1, v3
	v_mul_hi_u32 v13, v1, v2
	v_mul_lo_u32 v2, v1, v2
	v_add_co_u32 v6, vcc_lo, v6, v7
	v_add_co_ci_u32_e32 v7, vcc_lo, 0, v8, vcc_lo
	s_delay_alu instid0(VALU_DEP_2) | instskip(NEXT) | instid1(VALU_DEP_2)
	v_add_co_u32 v3, vcc_lo, v6, v3
	v_add_co_ci_u32_e32 v3, vcc_lo, v7, v12, vcc_lo
	v_add_co_ci_u32_e32 v6, vcc_lo, 0, v13, vcc_lo
	v_add_co_u32 v7, vcc_lo, v10, v9
	v_add_co_ci_u32_e32 v8, vcc_lo, v11, v9, vcc_lo
	s_delay_alu instid0(VALU_DEP_4) | instskip(NEXT) | instid1(VALU_DEP_4)
	v_add_co_u32 v2, vcc_lo, v3, v2
	v_add_co_ci_u32_e32 v3, vcc_lo, 0, v6, vcc_lo
	s_delay_alu instid0(VALU_DEP_4) | instskip(NEXT) | instid1(VALU_DEP_3)
	v_xor_b32_e32 v12, v7, v9
	v_add_co_u32 v6, vcc_lo, v0, v2
	s_delay_alu instid0(VALU_DEP_3) | instskip(SKIP_1) | instid1(VALU_DEP_3)
	v_add_co_ci_u32_e32 v13, vcc_lo, v1, v3, vcc_lo
	v_xor_b32_e32 v8, v8, v9
	v_mul_hi_u32 v14, v12, v6
	s_delay_alu instid0(VALU_DEP_3) | instskip(NEXT) | instid1(VALU_DEP_3)
	v_mad_u64_u32 v[0:1], null, v12, v13, 0
	v_mad_u64_u32 v[2:3], null, v8, v6, 0
	;; [unrolled: 1-line block ×3, first 2 shown]
	s_delay_alu instid0(VALU_DEP_3) | instskip(NEXT) | instid1(VALU_DEP_4)
	v_add_co_u32 v0, vcc_lo, v14, v0
	v_add_co_ci_u32_e32 v1, vcc_lo, 0, v1, vcc_lo
	s_delay_alu instid0(VALU_DEP_2) | instskip(NEXT) | instid1(VALU_DEP_2)
	v_add_co_u32 v0, vcc_lo, v0, v2
	v_add_co_ci_u32_e32 v0, vcc_lo, v1, v3, vcc_lo
	v_add_co_ci_u32_e32 v1, vcc_lo, 0, v7, vcc_lo
	s_delay_alu instid0(VALU_DEP_2) | instskip(NEXT) | instid1(VALU_DEP_2)
	v_add_co_u32 v2, vcc_lo, v0, v6
	v_add_co_ci_u32_e32 v3, vcc_lo, 0, v1, vcc_lo
	s_delay_alu instid0(VALU_DEP_2) | instskip(SKIP_1) | instid1(VALU_DEP_3)
	v_mul_lo_u32 v6, s7, v2
	v_mad_u64_u32 v[0:1], null, s6, v2, 0
	v_mul_lo_u32 v7, s6, v3
	s_delay_alu instid0(VALU_DEP_2) | instskip(NEXT) | instid1(VALU_DEP_2)
	v_sub_co_u32 v0, vcc_lo, v12, v0
	v_add3_u32 v1, v1, v7, v6
	s_delay_alu instid0(VALU_DEP_1) | instskip(NEXT) | instid1(VALU_DEP_1)
	v_sub_nc_u32_e32 v6, v8, v1
	v_subrev_co_ci_u32_e64 v6, s2, s7, v6, vcc_lo
	v_add_co_u32 v7, s2, v2, 2
	s_delay_alu instid0(VALU_DEP_1) | instskip(SKIP_3) | instid1(VALU_DEP_3)
	v_add_co_ci_u32_e64 v12, s2, 0, v3, s2
	v_sub_co_u32 v13, s2, v0, s6
	v_sub_co_ci_u32_e32 v1, vcc_lo, v8, v1, vcc_lo
	v_subrev_co_ci_u32_e64 v6, s2, 0, v6, s2
	v_cmp_le_u32_e32 vcc_lo, s6, v13
	s_delay_alu instid0(VALU_DEP_3) | instskip(SKIP_1) | instid1(VALU_DEP_4)
	v_cmp_eq_u32_e64 s2, s7, v1
	v_cndmask_b32_e64 v8, 0, -1, vcc_lo
	v_cmp_le_u32_e32 vcc_lo, s7, v6
	v_cndmask_b32_e64 v13, 0, -1, vcc_lo
	v_cmp_le_u32_e32 vcc_lo, s6, v0
	v_cndmask_b32_e64 v0, 0, -1, vcc_lo
	v_cmp_le_u32_e32 vcc_lo, s7, v1
	v_cndmask_b32_e64 v14, 0, -1, vcc_lo
	v_cmp_eq_u32_e32 vcc_lo, s7, v6
	s_delay_alu instid0(VALU_DEP_2) | instskip(SKIP_3) | instid1(VALU_DEP_3)
	v_cndmask_b32_e64 v0, v14, v0, s2
	v_cndmask_b32_e32 v6, v13, v8, vcc_lo
	v_add_co_u32 v8, vcc_lo, v2, 1
	v_add_co_ci_u32_e32 v13, vcc_lo, 0, v3, vcc_lo
	v_cmp_ne_u32_e32 vcc_lo, 0, v6
	s_delay_alu instid0(VALU_DEP_2) | instskip(SKIP_2) | instid1(VALU_DEP_3)
	v_dual_cndmask_b32 v1, v13, v12 :: v_dual_cndmask_b32 v6, v8, v7
	v_cmp_ne_u32_e32 vcc_lo, 0, v0
	v_xor_b32_e32 v0, s4, v9
	v_dual_cndmask_b32 v2, v2, v6 :: v_dual_cndmask_b32 v1, v3, v1
	s_delay_alu instid0(VALU_DEP_1) | instskip(NEXT) | instid1(VALU_DEP_2)
	v_xor_b32_e32 v2, v2, v0
	v_xor_b32_e32 v1, v1, v0
	s_delay_alu instid0(VALU_DEP_2) | instskip(NEXT) | instid1(VALU_DEP_2)
	v_sub_co_u32 v6, vcc_lo, v2, v0
	v_sub_co_ci_u32_e32 v7, vcc_lo, v1, v0, vcc_lo
.LBB4_7:
	s_and_not1_saveexec_b32 s2, s3
	s_cbranch_execz .LBB4_9
; %bb.8:
	v_cvt_f32_u32_e32 v0, s28
	s_sub_i32 s3, 0, s28
	v_mov_b32_e32 v7, 0
	s_delay_alu instid0(VALU_DEP_2) | instskip(SKIP_2) | instid1(VALU_DEP_1)
	v_rcp_iflag_f32_e32 v0, v0
	s_waitcnt_depctr 0xfff
	v_mul_f32_e32 v0, 0x4f7ffffe, v0
	v_cvt_u32_f32_e32 v0, v0
	s_delay_alu instid0(VALU_DEP_1) | instskip(NEXT) | instid1(VALU_DEP_1)
	v_mul_lo_u32 v1, s3, v0
	v_mul_hi_u32 v1, v0, v1
	s_delay_alu instid0(VALU_DEP_1) | instskip(NEXT) | instid1(VALU_DEP_1)
	v_add_nc_u32_e32 v0, v0, v1
	v_mul_hi_u32 v0, v10, v0
	s_delay_alu instid0(VALU_DEP_1) | instskip(SKIP_1) | instid1(VALU_DEP_2)
	v_mul_lo_u32 v1, v0, s28
	v_add_nc_u32_e32 v2, 1, v0
	v_sub_nc_u32_e32 v1, v10, v1
	s_delay_alu instid0(VALU_DEP_1) | instskip(SKIP_1) | instid1(VALU_DEP_2)
	v_subrev_nc_u32_e32 v3, s28, v1
	v_cmp_le_u32_e32 vcc_lo, s28, v1
	v_dual_cndmask_b32 v1, v1, v3 :: v_dual_cndmask_b32 v0, v0, v2
	s_delay_alu instid0(VALU_DEP_1) | instskip(NEXT) | instid1(VALU_DEP_2)
	v_cmp_le_u32_e32 vcc_lo, s28, v1
	v_add_nc_u32_e32 v2, 1, v0
	s_delay_alu instid0(VALU_DEP_1)
	v_cndmask_b32_e32 v6, v0, v2, vcc_lo
.LBB4_9:
	s_or_b32 exec_lo, exec_lo, s2
	s_delay_alu instid0(VALU_DEP_1) | instskip(NEXT) | instid1(VALU_DEP_2)
	v_mul_lo_u32 v2, v7, s28
	v_mul_lo_u32 v3, v6, s29
	v_mad_u64_u32 v[0:1], null, v6, s28, 0
	s_delay_alu instid0(VALU_DEP_1) | instskip(NEXT) | instid1(VALU_DEP_2)
	v_add3_u32 v3, v1, v3, v2
	v_mul_lo_u32 v8, v0, s31
	v_mad_u64_u32 v[1:2], null, v0, s30, 0
	v_sub_co_u32 v14, vcc_lo, v10, v0
	s_delay_alu instid0(VALU_DEP_4) | instskip(SKIP_1) | instid1(VALU_DEP_2)
	v_mul_lo_u32 v9, v3, s30
	v_sub_co_ci_u32_e32 v15, vcc_lo, v11, v3, vcc_lo
	v_add3_u32 v2, v2, v8, v9
	s_delay_alu instid0(VALU_DEP_1) | instskip(NEXT) | instid1(VALU_DEP_3)
	v_lshlrev_b64 v[2:3], 3, v[1:2]
	v_lshlrev_b64 v[0:1], 3, v[14:15]
	s_delay_alu instid0(VALU_DEP_2) | instskip(NEXT) | instid1(VALU_DEP_3)
	v_add_co_u32 v2, vcc_lo, s24, v2
	v_add_co_ci_u32_e32 v3, vcc_lo, s25, v3, vcc_lo
	s_delay_alu instid0(VALU_DEP_2) | instskip(NEXT) | instid1(VALU_DEP_2)
	v_add_co_u32 v2, vcc_lo, v2, v0
	v_add_co_ci_u32_e32 v3, vcc_lo, v3, v1, vcc_lo
	global_load_b64 v[12:13], v[2:3], off
	s_waitcnt vmcnt(0)
	v_cmp_ne_u64_e32 vcc_lo, 0, v[12:13]
	s_and_b32 exec_lo, exec_lo, vcc_lo
	s_cbranch_execz .LBB4_54
; %bb.10:
	s_add_u32 s2, s28, 1
	s_addc_u32 s5, s29, 0
	s_mul_i32 s3, s2, s51
	s_mul_hi_u32 s4, s2, s50
	s_mul_i32 s5, s5, s50
	s_add_i32 s3, s4, s3
	s_mul_i32 s2, s2, s50
	s_add_i32 s3, s3, s5
	v_mul_lo_u32 v8, s2, v7
	v_mad_u64_u32 v[2:3], null, s2, v6, 0
	v_mul_lo_u32 v9, s3, v6
	v_mul_lo_u32 v11, v11, s40
	v_mul_lo_u32 v18, v10, s41
	v_mad_u64_u32 v[16:17], null, v6, s48, v[14:15]
	v_mul_lo_u32 v14, v7, s48
	s_load_b32 s1, s[0:1], 0x0
	v_add3_u32 v3, v3, v8, v9
	v_mad_u64_u32 v[8:9], null, v10, s40, 0
	v_mul_lo_u32 v10, v6, s49
	v_mul_lo_u32 v15, v16, s47
	s_delay_alu instid0(VALU_DEP_4) | instskip(NEXT) | instid1(VALU_DEP_4)
	v_lshlrev_b64 v[2:3], 3, v[2:3]
	v_add3_u32 v9, v9, v18, v11
	s_delay_alu instid0(VALU_DEP_2) | instskip(NEXT) | instid1(VALU_DEP_3)
	v_add_co_u32 v2, vcc_lo, s26, v2
	v_add_co_ci_u32_e32 v3, vcc_lo, s27, v3, vcc_lo
	v_add3_u32 v14, v14, v17, v10
	s_delay_alu instid0(VALU_DEP_3) | instskip(NEXT) | instid1(VALU_DEP_3)
	v_add_co_u32 v0, vcc_lo, v2, v0
	v_add_co_ci_u32_e32 v1, vcc_lo, v3, v1, vcc_lo
	v_sub_co_u32 v20, vcc_lo, v4, v8
	v_sub_co_ci_u32_e32 v21, vcc_lo, v5, v9, vcc_lo
	global_load_b128 v[0:3], v[0:1], off
	v_mul_lo_u32 v14, v14, s46
	s_waitcnt lgkmcnt(0)
	s_and_b32 s0, s1, -3
	v_mad_u64_u32 v[10:11], null, v16, s46, v[20:21]
	s_cmp_lg_u32 s0, 0
	s_delay_alu instid0(VALU_DEP_1)
	v_add3_u32 v11, v14, v11, v15
	s_cbranch_scc0 .LBB4_25
; %bb.11:
	s_cmp_lt_i32 s1, 3
	s_mov_b32 s0, -1
	s_cbranch_scc1 .LBB4_34
; %bb.12:
	s_cmp_lt_i32 s1, 4
	s_cbranch_scc1 .LBB4_28
; %bb.13:
	s_cmp_eq_u32 s1, 4
	s_cbranch_scc0 .LBB4_27
; %bb.14:
	s_mov_b32 s8, exec_lo
	s_waitcnt vmcnt(0)
	v_cmpx_lt_i64_e64 v[0:1], v[2:3]
	s_cbranch_execz .LBB4_26
; %bb.15:
	v_lshlrev_b64 v[16:17], 3, v[10:11]
	v_mul_lo_u32 v24, v7, s44
	v_mul_lo_u32 v25, v6, s45
	v_mad_u64_u32 v[22:23], null, v6, s44, 0
	v_lshlrev_b64 v[26:27], 3, v[0:1]
	v_add_co_u32 v14, vcc_lo, s18, v16
	v_add_co_ci_u32_e32 v15, vcc_lo, s19, v17, vcc_lo
	v_add_co_u32 v16, vcc_lo, s20, v16
	v_add_co_ci_u32_e32 v17, vcc_lo, s21, v17, vcc_lo
	v_add3_u32 v23, v23, v25, v24
	global_load_b64 v[18:19], v[14:15], off
	global_load_b64 v[16:17], v[16:17], off
	v_mul_lo_u32 v30, v22, s43
	s_lshl_b64 s[2:3], s[42:43], 3
	v_lshlrev_b64 v[24:25], 3, v[22:23]
	v_mul_lo_u32 v23, v23, s42
	s_mov_b64 s[4:5], 0
	s_mov_b32 s9, 0
	s_delay_alu instid0(VALU_DEP_2) | instskip(NEXT) | instid1(VALU_DEP_3)
	v_add_co_u32 v26, vcc_lo, v24, v26
	v_add_co_ci_u32_e32 v24, vcc_lo, v25, v27, vcc_lo
	s_delay_alu instid0(VALU_DEP_2) | instskip(NEXT) | instid1(VALU_DEP_2)
	v_mul_lo_u32 v29, s43, v26
	v_mul_lo_u32 v28, s42, v24
	s_waitcnt vmcnt(0)
	v_mul_f64 v[16:17], v[18:19], v[16:17]
	v_lshlrev_b64 v[18:19], 3, v[4:5]
	s_delay_alu instid0(VALU_DEP_1) | instskip(SKIP_2) | instid1(VALU_DEP_3)
	v_mad_u64_u32 v[24:25], null, s42, v26, v[18:19]
	v_lshlrev_b64 v[26:27], 3, v[8:9]
	v_mad_u64_u32 v[18:19], null, v22, s42, v[20:21]
	v_add3_u32 v20, v29, v25, v28
	s_delay_alu instid0(VALU_DEP_3) | instskip(NEXT) | instid1(VALU_DEP_3)
	v_sub_co_u32 v21, vcc_lo, v24, v26
	v_add3_u32 v19, v23, v19, v30
	s_delay_alu instid0(VALU_DEP_3) | instskip(NEXT) | instid1(VALU_DEP_3)
	v_sub_co_ci_u32_e32 v22, vcc_lo, v20, v27, vcc_lo
	v_add_co_u32 v20, vcc_lo, s22, v21
	s_delay_alu instid0(VALU_DEP_2)
	v_add_co_ci_u32_e32 v21, vcc_lo, s23, v22, vcc_lo
	v_dual_mov_b32 v23, v1 :: v_dual_mov_b32 v22, v0
	s_branch .LBB4_18
.LBB4_16:                               ;   in Loop: Header=BB4_18 Depth=1
	s_or_b32 exec_lo, exec_lo, s11
	global_load_b64 v[28:29], v[14:15], off
	s_waitcnt vmcnt(0)
	v_mul_f64 v[26:27], v[26:27], v[28:29]
.LBB4_17:                               ;   in Loop: Header=BB4_18 Depth=1
	s_or_b32 exec_lo, exec_lo, s10
	v_add_co_u32 v22, vcc_lo, v22, 1
	v_add_co_ci_u32_e32 v23, vcc_lo, 0, v23, vcc_lo
	v_add_co_u32 v24, s0, s16, v24
	s_delay_alu instid0(VALU_DEP_1) | instskip(NEXT) | instid1(VALU_DEP_3)
	v_add_co_ci_u32_e64 v25, s0, s17, v25, s0
	v_cmp_ge_i64_e32 vcc_lo, v[22:23], v[2:3]
	s_add_u32 s4, s4, 1
	s_addc_u32 s5, s5, 0
	global_store_b64 v[24:25], v[26:27], off
	s_or_b32 s9, vcc_lo, s9
	s_delay_alu instid0(SALU_CYCLE_1)
	s_and_not1_b32 exec_lo, exec_lo, s9
	s_cbranch_execz .LBB4_26
.LBB4_18:                               ; =>This Loop Header: Depth=1
                                        ;     Child Loop BB4_23 Depth 2
	s_delay_alu instid0(VALU_DEP_1) | instskip(SKIP_1) | instid1(VALU_DEP_3)
	v_mad_u64_u32 v[24:25], null, v22, s42, v[18:19]
	v_mul_lo_u32 v26, v22, s43
	v_mul_lo_u32 v27, v23, s42
	s_mov_b32 s0, exec_lo
	s_delay_alu instid0(VALU_DEP_1) | instskip(NEXT) | instid1(VALU_DEP_1)
	v_add3_u32 v25, v27, v25, v26
	v_lshlrev_b64 v[24:25], 3, v[24:25]
	s_delay_alu instid0(VALU_DEP_1) | instskip(NEXT) | instid1(VALU_DEP_2)
	v_add_co_u32 v26, vcc_lo, s22, v24
	v_add_co_ci_u32_e32 v27, vcc_lo, s23, v25, vcc_lo
	global_load_b64 v[28:29], v[26:27], off
                                        ; implicit-def: $vgpr26_vgpr27
	s_waitcnt vmcnt(0)
	v_cmpx_lg_f64_e32 0, v[28:29]
	s_xor_b32 s0, exec_lo, s0
; %bb.19:                               ;   in Loop: Header=BB4_18 Depth=1
	v_div_scale_f64 v[26:27], null, v[28:29], v[28:29], v[16:17]
	s_delay_alu instid0(VALU_DEP_1) | instskip(SKIP_2) | instid1(VALU_DEP_1)
	v_rcp_f64_e32 v[30:31], v[26:27]
	s_waitcnt_depctr 0xfff
	v_fma_f64 v[32:33], -v[26:27], v[30:31], 1.0
	v_fma_f64 v[30:31], v[30:31], v[32:33], v[30:31]
	s_delay_alu instid0(VALU_DEP_1) | instskip(NEXT) | instid1(VALU_DEP_1)
	v_fma_f64 v[32:33], -v[26:27], v[30:31], 1.0
	v_fma_f64 v[30:31], v[30:31], v[32:33], v[30:31]
	v_div_scale_f64 v[32:33], vcc_lo, v[16:17], v[28:29], v[16:17]
	s_delay_alu instid0(VALU_DEP_1) | instskip(NEXT) | instid1(VALU_DEP_1)
	v_mul_f64 v[34:35], v[32:33], v[30:31]
	v_fma_f64 v[26:27], -v[26:27], v[34:35], v[32:33]
	s_delay_alu instid0(VALU_DEP_1) | instskip(NEXT) | instid1(VALU_DEP_1)
	v_div_fmas_f64 v[26:27], v[26:27], v[30:31], v[34:35]
	v_div_fixup_f64 v[26:27], v[26:27], v[28:29], v[16:17]
; %bb.20:                               ;   in Loop: Header=BB4_18 Depth=1
	s_and_not1_saveexec_b32 s10, s0
	s_cbranch_execz .LBB4_17
; %bb.21:                               ;   in Loop: Header=BB4_18 Depth=1
	v_dual_mov_b32 v26, s36 :: v_dual_mov_b32 v27, s37
	v_dual_mov_b32 v29, v21 :: v_dual_mov_b32 v28, v20
	;; [unrolled: 1-line block ×3, first 2 shown]
	s_mov_b32 s11, 0
	s_mov_b64 s[6:7], s[4:5]
	s_branch .LBB4_23
	.p2align	6
.LBB4_22:                               ;   in Loop: Header=BB4_23 Depth=2
	v_add_co_u32 v30, vcc_lo, v30, 1
	v_add_co_ci_u32_e32 v31, vcc_lo, 0, v31, vcc_lo
	v_add_co_u32 v28, s0, v28, s2
	s_delay_alu instid0(VALU_DEP_1) | instskip(NEXT) | instid1(VALU_DEP_3)
	v_add_co_ci_u32_e64 v29, s0, s3, v29, s0
	v_cmp_ge_i64_e32 vcc_lo, v[30:31], v[2:3]
	s_add_u32 s6, s6, -1
	s_addc_u32 s7, s7, -1
	s_or_b32 s11, vcc_lo, s11
	s_delay_alu instid0(SALU_CYCLE_1)
	s_and_not1_b32 exec_lo, exec_lo, s11
	s_cbranch_execz .LBB4_16
.LBB4_23:                               ;   Parent Loop BB4_18 Depth=1
                                        ; =>  This Inner Loop Header: Depth=2
	s_cmp_eq_u64 s[6:7], 0
	s_cbranch_scc1 .LBB4_22
; %bb.24:                               ;   in Loop: Header=BB4_23 Depth=2
	global_load_b64 v[32:33], v[28:29], off
	s_waitcnt vmcnt(0)
	v_mul_f64 v[26:27], v[26:27], v[32:33]
	s_branch .LBB4_22
.LBB4_25:
	s_cbranch_execnz .LBB4_41
	s_branch .LBB4_54
.LBB4_26:
	s_or_b32 exec_lo, exec_lo, s8
.LBB4_27:
	s_mov_b32 s0, 0
.LBB4_28:
	s_delay_alu instid0(SALU_CYCLE_1)
	s_and_not1_b32 vcc_lo, exec_lo, s0
	s_cbranch_vccnz .LBB4_33
; %bb.29:
	s_mov_b32 s4, exec_lo
	s_waitcnt vmcnt(0)
	v_cmpx_lt_i64_e64 v[0:1], v[2:3]
	s_cbranch_execz .LBB4_32
; %bb.30:
	v_lshlrev_b64 v[14:15], 3, v[10:11]
	v_mul_lo_u32 v18, v7, s44
	v_mul_lo_u32 v19, v6, s45
	v_mad_u64_u32 v[16:17], null, v6, s44, 0
	s_lshl_b64 s[2:3], s[42:43], 3
	s_delay_alu instid0(VALU_DEP_4) | instskip(SKIP_2) | instid1(VALU_DEP_3)
	v_add_co_u32 v14, vcc_lo, s18, v14
	v_add_co_ci_u32_e32 v15, vcc_lo, s19, v15, vcc_lo
	s_mov_b32 s5, 0
	v_add3_u32 v17, v17, v19, v18
	v_lshlrev_b64 v[18:19], 3, v[0:1]
	global_load_b64 v[14:15], v[14:15], off
	v_lshlrev_b64 v[16:17], 3, v[16:17]
	s_delay_alu instid0(VALU_DEP_1) | instskip(NEXT) | instid1(VALU_DEP_2)
	v_add_co_u32 v20, vcc_lo, v16, v18
	v_add_co_ci_u32_e32 v18, vcc_lo, v17, v19, vcc_lo
	v_lshlrev_b64 v[16:17], 3, v[4:5]
	s_delay_alu instid0(VALU_DEP_3) | instskip(NEXT) | instid1(VALU_DEP_3)
	v_mul_lo_u32 v22, s43, v20
	v_mul_lo_u32 v21, s42, v18
	s_delay_alu instid0(VALU_DEP_3) | instskip(SKIP_1) | instid1(VALU_DEP_2)
	v_mad_u64_u32 v[18:19], null, s42, v20, v[16:17]
	v_lshlrev_b64 v[16:17], 3, v[8:9]
	v_add3_u32 v19, v22, v19, v21
	s_delay_alu instid0(VALU_DEP_2) | instskip(NEXT) | instid1(VALU_DEP_2)
	v_sub_co_u32 v16, vcc_lo, v18, v16
	v_sub_co_ci_u32_e32 v17, vcc_lo, v19, v17, vcc_lo
	s_delay_alu instid0(VALU_DEP_2) | instskip(SKIP_1) | instid1(VALU_DEP_3)
	v_add_co_u32 v16, vcc_lo, s16, v16
	v_dual_mov_b32 v19, v1 :: v_dual_mov_b32 v18, v0
	v_add_co_ci_u32_e32 v17, vcc_lo, s17, v17, vcc_lo
.LBB4_31:                               ; =>This Inner Loop Header: Depth=1
	s_delay_alu instid0(VALU_DEP_2) | instskip(NEXT) | instid1(VALU_DEP_3)
	v_add_co_u32 v18, vcc_lo, v18, 1
	v_add_co_ci_u32_e32 v19, vcc_lo, 0, v19, vcc_lo
	s_waitcnt vmcnt(0)
	global_store_b64 v[16:17], v[14:15], off
	v_add_co_u32 v16, s0, v16, s2
	v_cmp_ge_i64_e32 vcc_lo, v[18:19], v[2:3]
	v_add_co_ci_u32_e64 v17, s0, s3, v17, s0
	s_or_b32 s5, vcc_lo, s5
	s_delay_alu instid0(SALU_CYCLE_1)
	s_and_not1_b32 exec_lo, exec_lo, s5
	s_cbranch_execnz .LBB4_31
.LBB4_32:
	s_or_b32 exec_lo, exec_lo, s4
.LBB4_33:
	s_mov_b32 s0, 0
.LBB4_34:
	s_delay_alu instid0(SALU_CYCLE_1)
	s_and_not1_b32 vcc_lo, exec_lo, s0
	s_cbranch_vccnz .LBB4_40
; %bb.35:
	s_cmp_lg_u32 s1, 1
	s_cbranch_scc1 .LBB4_40
; %bb.36:
	s_mov_b32 s1, exec_lo
	s_waitcnt vmcnt(0)
	v_cmpx_lt_i64_e64 v[0:1], v[2:3]
	s_cbranch_execz .LBB4_39
; %bb.37:
	v_lshlrev_b64 v[14:15], 3, v[10:11]
	v_cvt_f64_i32_e32 v[16:17], v13
	v_cvt_f64_u32_e32 v[12:13], v12
	s_lshl_b64 s[2:3], s[42:43], 3
	s_mov_b32 s4, 0
	s_delay_alu instid0(VALU_DEP_3) | instskip(SKIP_3) | instid1(VALU_DEP_1)
	v_add_co_u32 v14, vcc_lo, s18, v14
	v_add_co_ci_u32_e32 v15, vcc_lo, s19, v15, vcc_lo
	global_load_b64 v[14:15], v[14:15], off
	v_ldexp_f64 v[16:17], v[16:17], 32
	v_add_f64 v[12:13], v[16:17], v[12:13]
	s_waitcnt vmcnt(0)
	s_delay_alu instid0(VALU_DEP_1) | instskip(NEXT) | instid1(VALU_DEP_1)
	v_div_scale_f64 v[16:17], null, v[12:13], v[12:13], v[14:15]
	v_rcp_f64_e32 v[18:19], v[16:17]
	s_waitcnt_depctr 0xfff
	v_fma_f64 v[20:21], -v[16:17], v[18:19], 1.0
	s_delay_alu instid0(VALU_DEP_1) | instskip(NEXT) | instid1(VALU_DEP_1)
	v_fma_f64 v[18:19], v[18:19], v[20:21], v[18:19]
	v_fma_f64 v[20:21], -v[16:17], v[18:19], 1.0
	s_delay_alu instid0(VALU_DEP_1) | instskip(SKIP_1) | instid1(VALU_DEP_1)
	v_fma_f64 v[18:19], v[18:19], v[20:21], v[18:19]
	v_div_scale_f64 v[20:21], vcc_lo, v[14:15], v[12:13], v[14:15]
	v_mul_f64 v[22:23], v[20:21], v[18:19]
	s_delay_alu instid0(VALU_DEP_1) | instskip(SKIP_2) | instid1(VALU_DEP_3)
	v_fma_f64 v[16:17], -v[16:17], v[22:23], v[20:21]
	v_mul_lo_u32 v20, v7, s44
	v_mul_lo_u32 v21, v6, s45
	v_div_fmas_f64 v[16:17], v[16:17], v[18:19], v[22:23]
	v_mad_u64_u32 v[18:19], null, v6, s44, 0
	s_delay_alu instid0(VALU_DEP_1) | instskip(SKIP_1) | instid1(VALU_DEP_2)
	v_add3_u32 v19, v19, v21, v20
	v_lshlrev_b64 v[20:21], 3, v[0:1]
	v_lshlrev_b64 v[18:19], 3, v[18:19]
	s_delay_alu instid0(VALU_DEP_1) | instskip(NEXT) | instid1(VALU_DEP_1)
	v_add_co_u32 v18, vcc_lo, v18, v20
	v_mul_lo_u32 v20, s43, v18
	v_div_fixup_f64 v[12:13], v[16:17], v[12:13], v[14:15]
	v_lshlrev_b64 v[14:15], 3, v[4:5]
	v_add_co_ci_u32_e32 v16, vcc_lo, v19, v21, vcc_lo
	s_delay_alu instid0(VALU_DEP_1) | instskip(NEXT) | instid1(VALU_DEP_3)
	v_mul_lo_u32 v19, s42, v16
	v_mad_u64_u32 v[16:17], null, s42, v18, v[14:15]
	v_lshlrev_b64 v[14:15], 3, v[8:9]
	s_delay_alu instid0(VALU_DEP_2) | instskip(NEXT) | instid1(VALU_DEP_2)
	v_add3_u32 v17, v20, v17, v19
	v_sub_co_u32 v14, vcc_lo, v16, v14
	s_delay_alu instid0(VALU_DEP_2) | instskip(NEXT) | instid1(VALU_DEP_2)
	v_sub_co_ci_u32_e32 v15, vcc_lo, v17, v15, vcc_lo
	v_add_co_u32 v14, vcc_lo, s16, v14
	v_dual_mov_b32 v17, v1 :: v_dual_mov_b32 v16, v0
	s_delay_alu instid0(VALU_DEP_3)
	v_add_co_ci_u32_e32 v15, vcc_lo, s17, v15, vcc_lo
.LBB4_38:                               ; =>This Inner Loop Header: Depth=1
	s_delay_alu instid0(VALU_DEP_2) | instskip(NEXT) | instid1(VALU_DEP_3)
	v_add_co_u32 v16, vcc_lo, v16, 1
	v_add_co_ci_u32_e32 v17, vcc_lo, 0, v17, vcc_lo
	global_store_b64 v[14:15], v[12:13], off
	v_add_co_u32 v14, s0, v14, s2
	v_cmp_ge_i64_e32 vcc_lo, v[16:17], v[2:3]
	v_add_co_ci_u32_e64 v15, s0, s3, v15, s0
	s_or_b32 s4, vcc_lo, s4
	s_delay_alu instid0(SALU_CYCLE_1)
	s_and_not1_b32 exec_lo, exec_lo, s4
	s_cbranch_execnz .LBB4_38
.LBB4_39:
	s_or_b32 exec_lo, exec_lo, s1
.LBB4_40:
	s_branch .LBB4_54
.LBB4_41:
	s_waitcnt vmcnt(0)
	v_cmp_ge_i64_e32 vcc_lo, v[0:1], v[2:3]
	v_mov_b32_e32 v12, 0
	v_mov_b32_e32 v13, 0
	s_mov_b32 s4, exec_lo
	v_cmpx_lt_i64_e64 v[0:1], v[2:3]
	s_cbranch_execz .LBB4_49
; %bb.42:
	v_mad_u64_u32 v[12:13], null, v6, s44, v[0:1]
	v_mul_lo_u32 v14, v6, s45
	v_mul_lo_u32 v15, v7, s44
	s_lshl_b64 s[2:3], s[42:43], 3
	s_mov_b32 s5, 0
	v_dual_mov_b32 v19, v1 :: v_dual_mov_b32 v18, v0
	s_delay_alu instid0(VALU_DEP_4) | instskip(NEXT) | instid1(VALU_DEP_3)
	v_mul_lo_u32 v17, s43, v12
	v_add3_u32 v15, v15, v13, v14
	v_mad_u64_u32 v[13:14], null, s42, v12, v[4:5]
	s_delay_alu instid0(VALU_DEP_2) | instskip(SKIP_1) | instid1(VALU_DEP_1)
	v_mul_lo_u32 v12, s42, v15
	v_lshlrev_b64 v[15:16], 3, v[10:11]
	v_add_co_u32 v10, s0, s20, v15
	s_delay_alu instid0(VALU_DEP_3) | instskip(NEXT) | instid1(VALU_DEP_3)
	v_add3_u32 v14, v17, v14, v12
	v_add_co_ci_u32_e64 v11, s0, s21, v16, s0
	v_sub_co_u32 v12, s0, v13, v8
	s_delay_alu instid0(VALU_DEP_1) | instskip(SKIP_1) | instid1(VALU_DEP_1)
	v_sub_co_ci_u32_e64 v13, s0, v14, v9, s0
	v_add_co_u32 v14, s0, s18, v15
	v_add_co_ci_u32_e64 v15, s0, s19, v16, s0
	s_delay_alu instid0(VALU_DEP_3)
	v_lshlrev_b64 v[16:17], 3, v[12:13]
	v_mov_b32_e32 v12, 0
	v_mov_b32_e32 v13, 0
	s_set_inst_prefetch_distance 0x1
	s_branch .LBB4_44
	.p2align	6
.LBB4_43:                               ;   in Loop: Header=BB4_44 Depth=1
	s_or_b32 exec_lo, exec_lo, s6
	v_add_co_u32 v18, s0, v18, 1
	s_delay_alu instid0(VALU_DEP_1) | instskip(SKIP_1) | instid1(VALU_DEP_1)
	v_add_co_ci_u32_e64 v19, s0, 0, v19, s0
	v_add_co_u32 v16, s1, v16, s2
	v_add_co_ci_u32_e64 v17, s1, s3, v17, s1
	s_delay_alu instid0(VALU_DEP_3) | instskip(NEXT) | instid1(VALU_DEP_1)
	v_cmp_ge_i64_e64 s0, v[18:19], v[2:3]
	s_or_b32 s5, s0, s5
	s_delay_alu instid0(SALU_CYCLE_1)
	s_and_not1_b32 exec_lo, exec_lo, s5
	s_cbranch_execz .LBB4_48
.LBB4_44:                               ; =>This Inner Loop Header: Depth=1
	s_delay_alu instid0(VALU_DEP_3) | instskip(NEXT) | instid1(VALU_DEP_1)
	v_add_co_u32 v20, s0, s22, v16
	v_add_co_ci_u32_e64 v21, s0, s23, v17, s0
	s_mov_b32 s6, exec_lo
	global_load_b64 v[20:21], v[20:21], off
	s_waitcnt vmcnt(0)
	v_cmp_u_f64_e64 s1, v[20:21], v[20:21]
	v_cmpx_o_f64_e32 v[20:21], v[20:21]
	s_cbranch_execz .LBB4_46
; %bb.45:                               ;   in Loop: Header=BB4_44 Depth=1
	global_load_b64 v[22:23], v[10:11], off
	s_and_not1_b32 s1, s1, exec_lo
	s_waitcnt vmcnt(0)
	v_cmp_eq_f64_e64 s0, v[20:21], v[22:23]
	s_delay_alu instid0(VALU_DEP_1) | instskip(NEXT) | instid1(SALU_CYCLE_1)
	s_and_b32 s0, s0, exec_lo
	s_or_b32 s1, s1, s0
.LBB4_46:                               ;   in Loop: Header=BB4_44 Depth=1
	s_or_b32 exec_lo, exec_lo, s6
	s_delay_alu instid0(VALU_DEP_2)
	s_and_saveexec_b32 s6, s1
	s_cbranch_execz .LBB4_43
; %bb.47:                               ;   in Loop: Header=BB4_44 Depth=1
	global_load_b64 v[20:21], v[14:15], off
	v_add_co_u32 v22, s0, s16, v16
	s_delay_alu instid0(VALU_DEP_1) | instskip(SKIP_1) | instid1(VALU_DEP_1)
	v_add_co_ci_u32_e64 v23, s0, s17, v17, s0
	v_add_co_u32 v12, s0, v12, 1
	v_add_co_ci_u32_e64 v13, s0, 0, v13, s0
	s_waitcnt vmcnt(0)
	global_store_b64 v[22:23], v[20:21], off
	s_branch .LBB4_43
.LBB4_48:
	s_set_inst_prefetch_distance 0x2
	s_or_b32 exec_lo, exec_lo, s5
.LBB4_49:
	s_delay_alu instid0(SALU_CYCLE_1)
	s_or_b32 exec_lo, exec_lo, s4
	v_cmp_lt_i64_e64 s0, 1, v[12:13]
	s_xor_b32 s1, vcc_lo, -1
	s_delay_alu instid0(VALU_DEP_1) | instid1(SALU_CYCLE_1)
	s_and_b32 s0, s0, s1
	s_delay_alu instid0(SALU_CYCLE_1)
	s_and_b32 exec_lo, exec_lo, s0
	s_cbranch_execz .LBB4_54
; %bb.50:
	v_cvt_f64_u32_e32 v[10:11], v13
	v_cvt_f64_u32_e32 v[12:13], v12
	v_mul_lo_u32 v7, v7, s44
	v_mul_lo_u32 v16, v6, s45
	v_mad_u64_u32 v[14:15], null, v6, s44, 0
	v_lshlrev_b64 v[4:5], 3, v[4:5]
	s_lshl_b64 s[2:3], s[42:43], 3
	s_mov_b32 s1, 0
	s_delay_alu instid0(VALU_DEP_2) | instskip(SKIP_1) | instid1(VALU_DEP_2)
	v_add3_u32 v15, v15, v16, v7
	v_lshlrev_b64 v[16:17], 3, v[0:1]
	v_lshlrev_b64 v[14:15], 3, v[14:15]
	v_ldexp_f64 v[10:11], v[10:11], 32
	s_delay_alu instid0(VALU_DEP_1) | instskip(NEXT) | instid1(VALU_DEP_3)
	v_add_f64 v[6:7], v[10:11], v[12:13]
	v_add_co_u32 v12, vcc_lo, v14, v16
	s_delay_alu instid0(VALU_DEP_4) | instskip(NEXT) | instid1(VALU_DEP_2)
	v_add_co_ci_u32_e32 v10, vcc_lo, v15, v17, vcc_lo
	v_mul_lo_u32 v14, s43, v12
	s_delay_alu instid0(VALU_DEP_2) | instskip(SKIP_2) | instid1(VALU_DEP_2)
	v_mul_lo_u32 v13, s42, v10
	v_mad_u64_u32 v[10:11], null, s42, v12, v[4:5]
	v_lshlrev_b64 v[4:5], 3, v[8:9]
	v_add3_u32 v8, v14, v11, v13
	s_delay_alu instid0(VALU_DEP_2) | instskip(NEXT) | instid1(VALU_DEP_2)
	v_sub_co_u32 v4, vcc_lo, v10, v4
	v_sub_co_ci_u32_e32 v5, vcc_lo, v8, v5, vcc_lo
	s_delay_alu instid0(VALU_DEP_2) | instskip(NEXT) | instid1(VALU_DEP_2)
	v_add_co_u32 v4, vcc_lo, s16, v4
	v_add_co_ci_u32_e32 v5, vcc_lo, s17, v5, vcc_lo
	s_set_inst_prefetch_distance 0x1
	s_branch .LBB4_52
	.p2align	6
.LBB4_51:                               ;   in Loop: Header=BB4_52 Depth=1
	s_or_b32 exec_lo, exec_lo, s0
	v_add_co_u32 v0, vcc_lo, v0, 1
	v_add_co_ci_u32_e32 v1, vcc_lo, 0, v1, vcc_lo
	v_add_co_u32 v4, s0, v4, s2
	s_delay_alu instid0(VALU_DEP_1) | instskip(NEXT) | instid1(VALU_DEP_3)
	v_add_co_ci_u32_e64 v5, s0, s3, v5, s0
	v_cmp_ge_i64_e32 vcc_lo, v[0:1], v[2:3]
	s_or_b32 s1, vcc_lo, s1
	s_delay_alu instid0(SALU_CYCLE_1)
	s_and_not1_b32 exec_lo, exec_lo, s1
	s_cbranch_execz .LBB4_54
.LBB4_52:                               ; =>This Inner Loop Header: Depth=1
	global_load_b64 v[8:9], v[4:5], off
	s_mov_b32 s0, exec_lo
	s_waitcnt vmcnt(0)
	v_cmpx_lt_f64_e32 0, v[8:9]
	s_cbranch_execz .LBB4_51
; %bb.53:                               ;   in Loop: Header=BB4_52 Depth=1
	v_div_scale_f64 v[10:11], null, v[6:7], v[6:7], v[8:9]
	s_delay_alu instid0(VALU_DEP_1) | instskip(SKIP_2) | instid1(VALU_DEP_1)
	v_rcp_f64_e32 v[12:13], v[10:11]
	s_waitcnt_depctr 0xfff
	v_fma_f64 v[14:15], -v[10:11], v[12:13], 1.0
	v_fma_f64 v[12:13], v[12:13], v[14:15], v[12:13]
	s_delay_alu instid0(VALU_DEP_1) | instskip(NEXT) | instid1(VALU_DEP_1)
	v_fma_f64 v[14:15], -v[10:11], v[12:13], 1.0
	v_fma_f64 v[12:13], v[12:13], v[14:15], v[12:13]
	v_div_scale_f64 v[14:15], vcc_lo, v[8:9], v[6:7], v[8:9]
	s_delay_alu instid0(VALU_DEP_1) | instskip(NEXT) | instid1(VALU_DEP_1)
	v_mul_f64 v[16:17], v[14:15], v[12:13]
	v_fma_f64 v[10:11], -v[10:11], v[16:17], v[14:15]
	s_delay_alu instid0(VALU_DEP_1) | instskip(NEXT) | instid1(VALU_DEP_1)
	v_div_fmas_f64 v[10:11], v[10:11], v[12:13], v[16:17]
	v_div_fixup_f64 v[8:9], v[10:11], v[6:7], v[8:9]
	global_store_b64 v[4:5], v[8:9], off
	s_branch .LBB4_51
.LBB4_54:
	s_set_inst_prefetch_distance 0x2
	s_nop 0
	s_sendmsg sendmsg(MSG_DEALLOC_VGPRS)
	s_endpgm
	.section	.rodata,"a",@progbits
	.p2align	6, 0x0
	.amdhsa_kernel _ZN2at6native12_GLOBAL__N_130segment_reduce_backward_kernelIdlEEvNS0_13ReductionTypeEPT_PKS4_S7_S7_PKT0_SA_llS4_lllllll
		.amdhsa_group_segment_fixed_size 0
		.amdhsa_private_segment_fixed_size 0
		.amdhsa_kernarg_size 392
		.amdhsa_user_sgpr_count 15
		.amdhsa_user_sgpr_dispatch_ptr 0
		.amdhsa_user_sgpr_queue_ptr 0
		.amdhsa_user_sgpr_kernarg_segment_ptr 1
		.amdhsa_user_sgpr_dispatch_id 0
		.amdhsa_user_sgpr_private_segment_size 0
		.amdhsa_wavefront_size32 1
		.amdhsa_uses_dynamic_stack 0
		.amdhsa_enable_private_segment 0
		.amdhsa_system_sgpr_workgroup_id_x 1
		.amdhsa_system_sgpr_workgroup_id_y 0
		.amdhsa_system_sgpr_workgroup_id_z 0
		.amdhsa_system_sgpr_workgroup_info 0
		.amdhsa_system_vgpr_workitem_id 0
		.amdhsa_next_free_vgpr 36
		.amdhsa_next_free_sgpr 52
		.amdhsa_reserve_vcc 1
		.amdhsa_float_round_mode_32 0
		.amdhsa_float_round_mode_16_64 0
		.amdhsa_float_denorm_mode_32 3
		.amdhsa_float_denorm_mode_16_64 3
		.amdhsa_dx10_clamp 1
		.amdhsa_ieee_mode 1
		.amdhsa_fp16_overflow 0
		.amdhsa_workgroup_processor_mode 1
		.amdhsa_memory_ordered 1
		.amdhsa_forward_progress 0
		.amdhsa_shared_vgpr_count 0
		.amdhsa_exception_fp_ieee_invalid_op 0
		.amdhsa_exception_fp_denorm_src 0
		.amdhsa_exception_fp_ieee_div_zero 0
		.amdhsa_exception_fp_ieee_overflow 0
		.amdhsa_exception_fp_ieee_underflow 0
		.amdhsa_exception_fp_ieee_inexact 0
		.amdhsa_exception_int_div_zero 0
	.end_amdhsa_kernel
	.section	.text._ZN2at6native12_GLOBAL__N_130segment_reduce_backward_kernelIdlEEvNS0_13ReductionTypeEPT_PKS4_S7_S7_PKT0_SA_llS4_lllllll,"axG",@progbits,_ZN2at6native12_GLOBAL__N_130segment_reduce_backward_kernelIdlEEvNS0_13ReductionTypeEPT_PKS4_S7_S7_PKT0_SA_llS4_lllllll,comdat
.Lfunc_end4:
	.size	_ZN2at6native12_GLOBAL__N_130segment_reduce_backward_kernelIdlEEvNS0_13ReductionTypeEPT_PKS4_S7_S7_PKT0_SA_llS4_lllllll, .Lfunc_end4-_ZN2at6native12_GLOBAL__N_130segment_reduce_backward_kernelIdlEEvNS0_13ReductionTypeEPT_PKS4_S7_S7_PKT0_SA_llS4_lllllll
                                        ; -- End function
	.section	.AMDGPU.csdata,"",@progbits
; Kernel info:
; codeLenInByte = 4936
; NumSgprs: 54
; NumVgprs: 36
; ScratchSize: 0
; MemoryBound: 1
; FloatMode: 240
; IeeeMode: 1
; LDSByteSize: 0 bytes/workgroup (compile time only)
; SGPRBlocks: 6
; VGPRBlocks: 4
; NumSGPRsForWavesPerEU: 54
; NumVGPRsForWavesPerEU: 36
; Occupancy: 16
; WaveLimiterHint : 0
; COMPUTE_PGM_RSRC2:SCRATCH_EN: 0
; COMPUTE_PGM_RSRC2:USER_SGPR: 15
; COMPUTE_PGM_RSRC2:TRAP_HANDLER: 0
; COMPUTE_PGM_RSRC2:TGID_X_EN: 1
; COMPUTE_PGM_RSRC2:TGID_Y_EN: 0
; COMPUTE_PGM_RSRC2:TGID_Z_EN: 0
; COMPUTE_PGM_RSRC2:TIDIG_COMP_CNT: 0
	.section	.text._ZN2at6native12_GLOBAL__N_130segment_reduce_backward_kernelIflEEvNS0_13ReductionTypeEPT_PKS4_S7_S7_PKT0_SA_llS4_lllllll,"axG",@progbits,_ZN2at6native12_GLOBAL__N_130segment_reduce_backward_kernelIflEEvNS0_13ReductionTypeEPT_PKS4_S7_S7_PKT0_SA_llS4_lllllll,comdat
	.globl	_ZN2at6native12_GLOBAL__N_130segment_reduce_backward_kernelIflEEvNS0_13ReductionTypeEPT_PKS4_S7_S7_PKT0_SA_llS4_lllllll ; -- Begin function _ZN2at6native12_GLOBAL__N_130segment_reduce_backward_kernelIflEEvNS0_13ReductionTypeEPT_PKS4_S7_S7_PKT0_SA_llS4_lllllll
	.p2align	8
	.type	_ZN2at6native12_GLOBAL__N_130segment_reduce_backward_kernelIflEEvNS0_13ReductionTypeEPT_PKS4_S7_S7_PKT0_SA_llS4_lllllll,@function
_ZN2at6native12_GLOBAL__N_130segment_reduce_backward_kernelIflEEvNS0_13ReductionTypeEPT_PKS4_S7_S7_PKT0_SA_llS4_lllllll: ; @_ZN2at6native12_GLOBAL__N_130segment_reduce_backward_kernelIflEEvNS0_13ReductionTypeEPT_PKS4_S7_S7_PKT0_SA_llS4_lllllll
; %bb.0:
	s_clause 0x2
	s_load_b512 s[16:31], s[0:1], 0x8
	s_load_b32 s2, s[0:1], 0x94
	s_load_b256 s[4:11], s[0:1], 0x50
	v_mov_b32_e32 v2, 0
	s_delay_alu instid0(VALU_DEP_1)
	v_mov_b32_e32 v1, v2
	s_waitcnt lgkmcnt(0)
	s_and_b32 s2, s2, 0xffff
	s_mul_i32 s3, s4, s29
	s_mul_hi_u32 s12, s4, s28
	s_mul_i32 s5, s5, s28
	s_mul_i32 s4, s4, s28
	v_mad_u64_u32 v[4:5], null, s2, s15, v[0:1]
	s_add_i32 s2, s12, s3
	s_mul_i32 s3, s4, s7
	s_mul_hi_u32 s12, s4, s6
	s_add_i32 s2, s2, s5
	s_add_i32 s3, s12, s3
	s_mul_i32 s2, s2, s6
	s_delay_alu instid0(SALU_CYCLE_1) | instskip(SKIP_1) | instid1(SALU_CYCLE_1)
	s_add_i32 s3, s3, s2
	s_mul_i32 s2, s4, s6
	v_cmp_gt_i64_e32 vcc_lo, s[2:3], v[4:5]
	s_and_saveexec_b32 s2, vcc_lo
	s_cbranch_execz .LBB5_54
; %bb.1:
	v_or_b32_e32 v3, s7, v5
                                        ; implicit-def: $vgpr10_vgpr11
	s_mov_b32 s2, exec_lo
	s_delay_alu instid0(VALU_DEP_1)
	v_cmpx_ne_u64_e32 0, v[2:3]
	s_xor_b32 s3, exec_lo, s2
	s_cbranch_execz .LBB5_3
; %bb.2:
	s_ashr_i32 s4, s7, 31
	s_delay_alu instid0(SALU_CYCLE_1) | instskip(SKIP_2) | instid1(SALU_CYCLE_1)
	s_add_u32 s12, s6, s4
	s_mov_b32 s5, s4
	s_addc_u32 s13, s7, s4
	s_xor_b64 s[12:13], s[12:13], s[4:5]
	s_delay_alu instid0(SALU_CYCLE_1) | instskip(SKIP_3) | instid1(VALU_DEP_1)
	v_cvt_f32_u32_e32 v0, s12
	v_cvt_f32_u32_e32 v1, s13
	s_sub_u32 s2, 0, s12
	s_subb_u32 s5, 0, s13
	v_fmamk_f32 v0, v1, 0x4f800000, v0
	s_delay_alu instid0(VALU_DEP_1) | instskip(SKIP_2) | instid1(VALU_DEP_1)
	v_rcp_f32_e32 v0, v0
	s_waitcnt_depctr 0xfff
	v_mul_f32_e32 v0, 0x5f7ffffc, v0
	v_mul_f32_e32 v1, 0x2f800000, v0
	s_delay_alu instid0(VALU_DEP_1) | instskip(NEXT) | instid1(VALU_DEP_1)
	v_trunc_f32_e32 v1, v1
	v_fmamk_f32 v0, v1, 0xcf800000, v0
	v_cvt_u32_f32_e32 v1, v1
	s_delay_alu instid0(VALU_DEP_2) | instskip(NEXT) | instid1(VALU_DEP_2)
	v_cvt_u32_f32_e32 v0, v0
	v_mul_lo_u32 v2, s2, v1
	s_delay_alu instid0(VALU_DEP_2) | instskip(SKIP_1) | instid1(VALU_DEP_2)
	v_mul_hi_u32 v3, s2, v0
	v_mul_lo_u32 v6, s5, v0
	v_add_nc_u32_e32 v2, v3, v2
	v_mul_lo_u32 v3, s2, v0
	s_delay_alu instid0(VALU_DEP_2) | instskip(NEXT) | instid1(VALU_DEP_2)
	v_add_nc_u32_e32 v2, v2, v6
	v_mul_hi_u32 v6, v0, v3
	s_delay_alu instid0(VALU_DEP_2)
	v_mul_lo_u32 v7, v0, v2
	v_mul_hi_u32 v8, v0, v2
	v_mul_hi_u32 v9, v1, v3
	v_mul_lo_u32 v3, v1, v3
	v_mul_hi_u32 v10, v1, v2
	v_mul_lo_u32 v2, v1, v2
	v_add_co_u32 v6, vcc_lo, v6, v7
	v_add_co_ci_u32_e32 v7, vcc_lo, 0, v8, vcc_lo
	s_delay_alu instid0(VALU_DEP_2) | instskip(NEXT) | instid1(VALU_DEP_2)
	v_add_co_u32 v3, vcc_lo, v6, v3
	v_add_co_ci_u32_e32 v3, vcc_lo, v7, v9, vcc_lo
	v_add_co_ci_u32_e32 v6, vcc_lo, 0, v10, vcc_lo
	v_ashrrev_i32_e32 v9, 31, v5
	s_delay_alu instid0(VALU_DEP_3) | instskip(NEXT) | instid1(VALU_DEP_3)
	v_add_co_u32 v2, vcc_lo, v3, v2
	v_add_co_ci_u32_e32 v3, vcc_lo, 0, v6, vcc_lo
	s_delay_alu instid0(VALU_DEP_2) | instskip(NEXT) | instid1(VALU_DEP_2)
	v_add_co_u32 v0, vcc_lo, v0, v2
	v_add_co_ci_u32_e32 v1, vcc_lo, v1, v3, vcc_lo
	s_delay_alu instid0(VALU_DEP_2) | instskip(SKIP_1) | instid1(VALU_DEP_3)
	v_mul_hi_u32 v2, s2, v0
	v_mul_lo_u32 v6, s5, v0
	v_mul_lo_u32 v3, s2, v1
	s_delay_alu instid0(VALU_DEP_1) | instskip(SKIP_1) | instid1(VALU_DEP_2)
	v_add_nc_u32_e32 v2, v2, v3
	v_mul_lo_u32 v3, s2, v0
	v_add_nc_u32_e32 v2, v2, v6
	s_delay_alu instid0(VALU_DEP_2) | instskip(NEXT) | instid1(VALU_DEP_2)
	v_mul_hi_u32 v6, v0, v3
	v_mul_lo_u32 v7, v0, v2
	v_mul_hi_u32 v8, v0, v2
	v_mul_hi_u32 v10, v1, v3
	v_mul_lo_u32 v3, v1, v3
	v_mul_hi_u32 v11, v1, v2
	v_mul_lo_u32 v2, v1, v2
	v_add_co_u32 v6, vcc_lo, v6, v7
	v_add_co_ci_u32_e32 v7, vcc_lo, 0, v8, vcc_lo
	s_delay_alu instid0(VALU_DEP_2) | instskip(NEXT) | instid1(VALU_DEP_2)
	v_add_co_u32 v3, vcc_lo, v6, v3
	v_add_co_ci_u32_e32 v3, vcc_lo, v7, v10, vcc_lo
	v_add_co_ci_u32_e32 v6, vcc_lo, 0, v11, vcc_lo
	v_add_co_u32 v7, vcc_lo, v4, v9
	v_add_co_ci_u32_e32 v8, vcc_lo, v5, v9, vcc_lo
	s_delay_alu instid0(VALU_DEP_4) | instskip(NEXT) | instid1(VALU_DEP_4)
	v_add_co_u32 v2, vcc_lo, v3, v2
	v_add_co_ci_u32_e32 v3, vcc_lo, 0, v6, vcc_lo
	s_delay_alu instid0(VALU_DEP_4) | instskip(NEXT) | instid1(VALU_DEP_3)
	v_xor_b32_e32 v10, v7, v9
	v_add_co_u32 v6, vcc_lo, v0, v2
	s_delay_alu instid0(VALU_DEP_3) | instskip(SKIP_1) | instid1(VALU_DEP_3)
	v_add_co_ci_u32_e32 v11, vcc_lo, v1, v3, vcc_lo
	v_xor_b32_e32 v8, v8, v9
	v_mul_hi_u32 v12, v10, v6
	s_delay_alu instid0(VALU_DEP_3) | instskip(NEXT) | instid1(VALU_DEP_3)
	v_mad_u64_u32 v[0:1], null, v10, v11, 0
	v_mad_u64_u32 v[2:3], null, v8, v6, 0
	;; [unrolled: 1-line block ×3, first 2 shown]
	s_delay_alu instid0(VALU_DEP_3) | instskip(NEXT) | instid1(VALU_DEP_4)
	v_add_co_u32 v0, vcc_lo, v12, v0
	v_add_co_ci_u32_e32 v1, vcc_lo, 0, v1, vcc_lo
	s_delay_alu instid0(VALU_DEP_2) | instskip(NEXT) | instid1(VALU_DEP_2)
	v_add_co_u32 v0, vcc_lo, v0, v2
	v_add_co_ci_u32_e32 v0, vcc_lo, v1, v3, vcc_lo
	v_add_co_ci_u32_e32 v1, vcc_lo, 0, v7, vcc_lo
	s_delay_alu instid0(VALU_DEP_2) | instskip(NEXT) | instid1(VALU_DEP_2)
	v_add_co_u32 v2, vcc_lo, v0, v6
	v_add_co_ci_u32_e32 v3, vcc_lo, 0, v1, vcc_lo
	s_delay_alu instid0(VALU_DEP_2) | instskip(SKIP_1) | instid1(VALU_DEP_3)
	v_mul_lo_u32 v6, s13, v2
	v_mad_u64_u32 v[0:1], null, s12, v2, 0
	v_mul_lo_u32 v7, s12, v3
	s_delay_alu instid0(VALU_DEP_2) | instskip(NEXT) | instid1(VALU_DEP_2)
	v_sub_co_u32 v0, vcc_lo, v10, v0
	v_add3_u32 v1, v1, v7, v6
	s_delay_alu instid0(VALU_DEP_1) | instskip(NEXT) | instid1(VALU_DEP_1)
	v_sub_nc_u32_e32 v6, v8, v1
	v_subrev_co_ci_u32_e64 v6, s2, s13, v6, vcc_lo
	v_add_co_u32 v7, s2, v2, 2
	s_delay_alu instid0(VALU_DEP_1) | instskip(SKIP_3) | instid1(VALU_DEP_3)
	v_add_co_ci_u32_e64 v10, s2, 0, v3, s2
	v_sub_co_u32 v11, s2, v0, s12
	v_sub_co_ci_u32_e32 v1, vcc_lo, v8, v1, vcc_lo
	v_subrev_co_ci_u32_e64 v6, s2, 0, v6, s2
	v_cmp_le_u32_e32 vcc_lo, s12, v11
	s_delay_alu instid0(VALU_DEP_3) | instskip(SKIP_1) | instid1(VALU_DEP_4)
	v_cmp_eq_u32_e64 s2, s13, v1
	v_cndmask_b32_e64 v8, 0, -1, vcc_lo
	v_cmp_le_u32_e32 vcc_lo, s13, v6
	v_cndmask_b32_e64 v11, 0, -1, vcc_lo
	v_cmp_le_u32_e32 vcc_lo, s12, v0
	;; [unrolled: 2-line block ×3, first 2 shown]
	v_cndmask_b32_e64 v12, 0, -1, vcc_lo
	v_cmp_eq_u32_e32 vcc_lo, s13, v6
	s_delay_alu instid0(VALU_DEP_2) | instskip(SKIP_3) | instid1(VALU_DEP_3)
	v_cndmask_b32_e64 v0, v12, v0, s2
	v_cndmask_b32_e32 v6, v11, v8, vcc_lo
	v_add_co_u32 v8, vcc_lo, v2, 1
	v_add_co_ci_u32_e32 v11, vcc_lo, 0, v3, vcc_lo
	v_cmp_ne_u32_e32 vcc_lo, 0, v6
	s_delay_alu instid0(VALU_DEP_2) | instskip(SKIP_2) | instid1(VALU_DEP_3)
	v_dual_cndmask_b32 v1, v11, v10 :: v_dual_cndmask_b32 v6, v8, v7
	v_cmp_ne_u32_e32 vcc_lo, 0, v0
	v_xor_b32_e32 v0, s4, v9
	v_dual_cndmask_b32 v2, v2, v6 :: v_dual_cndmask_b32 v1, v3, v1
	s_delay_alu instid0(VALU_DEP_1) | instskip(NEXT) | instid1(VALU_DEP_2)
	v_xor_b32_e32 v2, v2, v0
	v_xor_b32_e32 v1, v1, v0
	s_delay_alu instid0(VALU_DEP_2) | instskip(NEXT) | instid1(VALU_DEP_2)
	v_sub_co_u32 v10, vcc_lo, v2, v0
	v_sub_co_ci_u32_e32 v11, vcc_lo, v1, v0, vcc_lo
.LBB5_3:
	s_and_not1_saveexec_b32 s2, s3
	s_cbranch_execz .LBB5_5
; %bb.4:
	v_cvt_f32_u32_e32 v0, s6
	s_sub_i32 s3, 0, s6
	v_mov_b32_e32 v11, 0
	s_delay_alu instid0(VALU_DEP_2) | instskip(SKIP_2) | instid1(VALU_DEP_1)
	v_rcp_iflag_f32_e32 v0, v0
	s_waitcnt_depctr 0xfff
	v_mul_f32_e32 v0, 0x4f7ffffe, v0
	v_cvt_u32_f32_e32 v0, v0
	s_delay_alu instid0(VALU_DEP_1) | instskip(NEXT) | instid1(VALU_DEP_1)
	v_mul_lo_u32 v1, s3, v0
	v_mul_hi_u32 v1, v0, v1
	s_delay_alu instid0(VALU_DEP_1) | instskip(NEXT) | instid1(VALU_DEP_1)
	v_add_nc_u32_e32 v0, v0, v1
	v_mul_hi_u32 v0, v4, v0
	s_delay_alu instid0(VALU_DEP_1) | instskip(SKIP_1) | instid1(VALU_DEP_2)
	v_mul_lo_u32 v1, v0, s6
	v_add_nc_u32_e32 v2, 1, v0
	v_sub_nc_u32_e32 v1, v4, v1
	s_delay_alu instid0(VALU_DEP_1) | instskip(SKIP_1) | instid1(VALU_DEP_2)
	v_subrev_nc_u32_e32 v3, s6, v1
	v_cmp_le_u32_e32 vcc_lo, s6, v1
	v_dual_cndmask_b32 v1, v1, v3 :: v_dual_cndmask_b32 v0, v0, v2
	s_delay_alu instid0(VALU_DEP_1) | instskip(NEXT) | instid1(VALU_DEP_2)
	v_cmp_le_u32_e32 vcc_lo, s6, v1
	v_add_nc_u32_e32 v2, 1, v0
	s_delay_alu instid0(VALU_DEP_1)
	v_cndmask_b32_e32 v10, v0, v2, vcc_lo
.LBB5_5:
	s_or_b32 exec_lo, exec_lo, s2
	s_delay_alu instid0(VALU_DEP_1) | instskip(SKIP_2) | instid1(VALU_DEP_1)
	v_or_b32_e32 v1, s29, v11
	v_mov_b32_e32 v0, 0
                                        ; implicit-def: $vgpr6_vgpr7
	s_mov_b32 s2, exec_lo
	v_cmpx_ne_u64_e32 0, v[0:1]
	s_xor_b32 s3, exec_lo, s2
	s_cbranch_execz .LBB5_7
; %bb.6:
	s_ashr_i32 s4, s29, 31
	s_delay_alu instid0(SALU_CYCLE_1) | instskip(SKIP_2) | instid1(SALU_CYCLE_1)
	s_add_u32 s12, s28, s4
	s_mov_b32 s5, s4
	s_addc_u32 s13, s29, s4
	s_xor_b64 s[12:13], s[12:13], s[4:5]
	s_delay_alu instid0(SALU_CYCLE_1) | instskip(SKIP_3) | instid1(VALU_DEP_1)
	v_cvt_f32_u32_e32 v0, s12
	v_cvt_f32_u32_e32 v1, s13
	s_sub_u32 s2, 0, s12
	s_subb_u32 s5, 0, s13
	v_fmamk_f32 v0, v1, 0x4f800000, v0
	s_delay_alu instid0(VALU_DEP_1) | instskip(SKIP_2) | instid1(VALU_DEP_1)
	v_rcp_f32_e32 v0, v0
	s_waitcnt_depctr 0xfff
	v_mul_f32_e32 v0, 0x5f7ffffc, v0
	v_mul_f32_e32 v1, 0x2f800000, v0
	s_delay_alu instid0(VALU_DEP_1) | instskip(NEXT) | instid1(VALU_DEP_1)
	v_trunc_f32_e32 v1, v1
	v_fmamk_f32 v0, v1, 0xcf800000, v0
	v_cvt_u32_f32_e32 v1, v1
	s_delay_alu instid0(VALU_DEP_2) | instskip(NEXT) | instid1(VALU_DEP_2)
	v_cvt_u32_f32_e32 v0, v0
	v_mul_lo_u32 v2, s2, v1
	s_delay_alu instid0(VALU_DEP_2) | instskip(SKIP_1) | instid1(VALU_DEP_2)
	v_mul_hi_u32 v3, s2, v0
	v_mul_lo_u32 v6, s5, v0
	v_add_nc_u32_e32 v2, v3, v2
	v_mul_lo_u32 v3, s2, v0
	s_delay_alu instid0(VALU_DEP_2) | instskip(NEXT) | instid1(VALU_DEP_2)
	v_add_nc_u32_e32 v2, v2, v6
	v_mul_hi_u32 v6, v0, v3
	s_delay_alu instid0(VALU_DEP_2)
	v_mul_lo_u32 v7, v0, v2
	v_mul_hi_u32 v8, v0, v2
	v_mul_hi_u32 v9, v1, v3
	v_mul_lo_u32 v3, v1, v3
	v_mul_hi_u32 v12, v1, v2
	v_mul_lo_u32 v2, v1, v2
	v_add_co_u32 v6, vcc_lo, v6, v7
	v_add_co_ci_u32_e32 v7, vcc_lo, 0, v8, vcc_lo
	s_delay_alu instid0(VALU_DEP_2) | instskip(NEXT) | instid1(VALU_DEP_2)
	v_add_co_u32 v3, vcc_lo, v6, v3
	v_add_co_ci_u32_e32 v3, vcc_lo, v7, v9, vcc_lo
	v_add_co_ci_u32_e32 v6, vcc_lo, 0, v12, vcc_lo
	v_ashrrev_i32_e32 v9, 31, v11
	s_delay_alu instid0(VALU_DEP_3) | instskip(NEXT) | instid1(VALU_DEP_3)
	v_add_co_u32 v2, vcc_lo, v3, v2
	v_add_co_ci_u32_e32 v3, vcc_lo, 0, v6, vcc_lo
	s_delay_alu instid0(VALU_DEP_2) | instskip(NEXT) | instid1(VALU_DEP_2)
	v_add_co_u32 v0, vcc_lo, v0, v2
	v_add_co_ci_u32_e32 v1, vcc_lo, v1, v3, vcc_lo
	s_delay_alu instid0(VALU_DEP_2) | instskip(SKIP_1) | instid1(VALU_DEP_3)
	v_mul_hi_u32 v2, s2, v0
	v_mul_lo_u32 v6, s5, v0
	v_mul_lo_u32 v3, s2, v1
	s_delay_alu instid0(VALU_DEP_1) | instskip(SKIP_1) | instid1(VALU_DEP_2)
	v_add_nc_u32_e32 v2, v2, v3
	v_mul_lo_u32 v3, s2, v0
	v_add_nc_u32_e32 v2, v2, v6
	s_delay_alu instid0(VALU_DEP_2) | instskip(NEXT) | instid1(VALU_DEP_2)
	v_mul_hi_u32 v6, v0, v3
	v_mul_lo_u32 v7, v0, v2
	v_mul_hi_u32 v8, v0, v2
	v_mul_hi_u32 v12, v1, v3
	v_mul_lo_u32 v3, v1, v3
	v_mul_hi_u32 v13, v1, v2
	v_mul_lo_u32 v2, v1, v2
	v_add_co_u32 v6, vcc_lo, v6, v7
	v_add_co_ci_u32_e32 v7, vcc_lo, 0, v8, vcc_lo
	s_delay_alu instid0(VALU_DEP_2) | instskip(NEXT) | instid1(VALU_DEP_2)
	v_add_co_u32 v3, vcc_lo, v6, v3
	v_add_co_ci_u32_e32 v3, vcc_lo, v7, v12, vcc_lo
	v_add_co_ci_u32_e32 v6, vcc_lo, 0, v13, vcc_lo
	v_add_co_u32 v7, vcc_lo, v10, v9
	v_add_co_ci_u32_e32 v8, vcc_lo, v11, v9, vcc_lo
	s_delay_alu instid0(VALU_DEP_4) | instskip(NEXT) | instid1(VALU_DEP_4)
	v_add_co_u32 v2, vcc_lo, v3, v2
	v_add_co_ci_u32_e32 v3, vcc_lo, 0, v6, vcc_lo
	s_delay_alu instid0(VALU_DEP_4) | instskip(NEXT) | instid1(VALU_DEP_3)
	v_xor_b32_e32 v12, v7, v9
	v_add_co_u32 v6, vcc_lo, v0, v2
	s_delay_alu instid0(VALU_DEP_3) | instskip(SKIP_1) | instid1(VALU_DEP_3)
	v_add_co_ci_u32_e32 v13, vcc_lo, v1, v3, vcc_lo
	v_xor_b32_e32 v8, v8, v9
	v_mul_hi_u32 v14, v12, v6
	s_delay_alu instid0(VALU_DEP_3) | instskip(NEXT) | instid1(VALU_DEP_3)
	v_mad_u64_u32 v[0:1], null, v12, v13, 0
	v_mad_u64_u32 v[2:3], null, v8, v6, 0
	;; [unrolled: 1-line block ×3, first 2 shown]
	s_delay_alu instid0(VALU_DEP_3) | instskip(NEXT) | instid1(VALU_DEP_4)
	v_add_co_u32 v0, vcc_lo, v14, v0
	v_add_co_ci_u32_e32 v1, vcc_lo, 0, v1, vcc_lo
	s_delay_alu instid0(VALU_DEP_2) | instskip(NEXT) | instid1(VALU_DEP_2)
	v_add_co_u32 v0, vcc_lo, v0, v2
	v_add_co_ci_u32_e32 v0, vcc_lo, v1, v3, vcc_lo
	v_add_co_ci_u32_e32 v1, vcc_lo, 0, v7, vcc_lo
	s_delay_alu instid0(VALU_DEP_2) | instskip(NEXT) | instid1(VALU_DEP_2)
	v_add_co_u32 v2, vcc_lo, v0, v6
	v_add_co_ci_u32_e32 v3, vcc_lo, 0, v1, vcc_lo
	s_delay_alu instid0(VALU_DEP_2) | instskip(SKIP_1) | instid1(VALU_DEP_3)
	v_mul_lo_u32 v6, s13, v2
	v_mad_u64_u32 v[0:1], null, s12, v2, 0
	v_mul_lo_u32 v7, s12, v3
	s_delay_alu instid0(VALU_DEP_2) | instskip(NEXT) | instid1(VALU_DEP_2)
	v_sub_co_u32 v0, vcc_lo, v12, v0
	v_add3_u32 v1, v1, v7, v6
	s_delay_alu instid0(VALU_DEP_1) | instskip(NEXT) | instid1(VALU_DEP_1)
	v_sub_nc_u32_e32 v6, v8, v1
	v_subrev_co_ci_u32_e64 v6, s2, s13, v6, vcc_lo
	v_add_co_u32 v7, s2, v2, 2
	s_delay_alu instid0(VALU_DEP_1) | instskip(SKIP_3) | instid1(VALU_DEP_3)
	v_add_co_ci_u32_e64 v12, s2, 0, v3, s2
	v_sub_co_u32 v13, s2, v0, s12
	v_sub_co_ci_u32_e32 v1, vcc_lo, v8, v1, vcc_lo
	v_subrev_co_ci_u32_e64 v6, s2, 0, v6, s2
	v_cmp_le_u32_e32 vcc_lo, s12, v13
	s_delay_alu instid0(VALU_DEP_3) | instskip(SKIP_1) | instid1(VALU_DEP_4)
	v_cmp_eq_u32_e64 s2, s13, v1
	v_cndmask_b32_e64 v8, 0, -1, vcc_lo
	v_cmp_le_u32_e32 vcc_lo, s13, v6
	v_cndmask_b32_e64 v13, 0, -1, vcc_lo
	v_cmp_le_u32_e32 vcc_lo, s12, v0
	;; [unrolled: 2-line block ×3, first 2 shown]
	v_cndmask_b32_e64 v14, 0, -1, vcc_lo
	v_cmp_eq_u32_e32 vcc_lo, s13, v6
	s_delay_alu instid0(VALU_DEP_2) | instskip(SKIP_3) | instid1(VALU_DEP_3)
	v_cndmask_b32_e64 v0, v14, v0, s2
	v_cndmask_b32_e32 v6, v13, v8, vcc_lo
	v_add_co_u32 v8, vcc_lo, v2, 1
	v_add_co_ci_u32_e32 v13, vcc_lo, 0, v3, vcc_lo
	v_cmp_ne_u32_e32 vcc_lo, 0, v6
	s_delay_alu instid0(VALU_DEP_2) | instskip(SKIP_2) | instid1(VALU_DEP_3)
	v_dual_cndmask_b32 v1, v13, v12 :: v_dual_cndmask_b32 v6, v8, v7
	v_cmp_ne_u32_e32 vcc_lo, 0, v0
	v_xor_b32_e32 v0, s4, v9
	v_dual_cndmask_b32 v2, v2, v6 :: v_dual_cndmask_b32 v1, v3, v1
	s_delay_alu instid0(VALU_DEP_1) | instskip(NEXT) | instid1(VALU_DEP_2)
	v_xor_b32_e32 v2, v2, v0
	v_xor_b32_e32 v1, v1, v0
	s_delay_alu instid0(VALU_DEP_2) | instskip(NEXT) | instid1(VALU_DEP_2)
	v_sub_co_u32 v6, vcc_lo, v2, v0
	v_sub_co_ci_u32_e32 v7, vcc_lo, v1, v0, vcc_lo
.LBB5_7:
	s_and_not1_saveexec_b32 s2, s3
	s_cbranch_execz .LBB5_9
; %bb.8:
	v_cvt_f32_u32_e32 v0, s28
	s_sub_i32 s3, 0, s28
	v_mov_b32_e32 v7, 0
	s_delay_alu instid0(VALU_DEP_2) | instskip(SKIP_2) | instid1(VALU_DEP_1)
	v_rcp_iflag_f32_e32 v0, v0
	s_waitcnt_depctr 0xfff
	v_mul_f32_e32 v0, 0x4f7ffffe, v0
	v_cvt_u32_f32_e32 v0, v0
	s_delay_alu instid0(VALU_DEP_1) | instskip(NEXT) | instid1(VALU_DEP_1)
	v_mul_lo_u32 v1, s3, v0
	v_mul_hi_u32 v1, v0, v1
	s_delay_alu instid0(VALU_DEP_1) | instskip(NEXT) | instid1(VALU_DEP_1)
	v_add_nc_u32_e32 v0, v0, v1
	v_mul_hi_u32 v0, v10, v0
	s_delay_alu instid0(VALU_DEP_1) | instskip(SKIP_1) | instid1(VALU_DEP_2)
	v_mul_lo_u32 v1, v0, s28
	v_add_nc_u32_e32 v2, 1, v0
	v_sub_nc_u32_e32 v1, v10, v1
	s_delay_alu instid0(VALU_DEP_1) | instskip(SKIP_1) | instid1(VALU_DEP_2)
	v_subrev_nc_u32_e32 v3, s28, v1
	v_cmp_le_u32_e32 vcc_lo, s28, v1
	v_dual_cndmask_b32 v1, v1, v3 :: v_dual_cndmask_b32 v0, v0, v2
	s_delay_alu instid0(VALU_DEP_1) | instskip(NEXT) | instid1(VALU_DEP_2)
	v_cmp_le_u32_e32 vcc_lo, s28, v1
	v_add_nc_u32_e32 v2, 1, v0
	s_delay_alu instid0(VALU_DEP_1)
	v_cndmask_b32_e32 v6, v0, v2, vcc_lo
.LBB5_9:
	s_or_b32 exec_lo, exec_lo, s2
	s_delay_alu instid0(VALU_DEP_1) | instskip(NEXT) | instid1(VALU_DEP_2)
	v_mul_lo_u32 v2, v7, s28
	v_mul_lo_u32 v3, v6, s29
	v_mad_u64_u32 v[0:1], null, v6, s28, 0
	s_delay_alu instid0(VALU_DEP_1) | instskip(NEXT) | instid1(VALU_DEP_2)
	v_add3_u32 v3, v1, v3, v2
	v_mul_lo_u32 v8, v0, s31
	v_mad_u64_u32 v[1:2], null, v0, s30, 0
	v_sub_co_u32 v14, vcc_lo, v10, v0
	s_delay_alu instid0(VALU_DEP_4) | instskip(SKIP_1) | instid1(VALU_DEP_2)
	v_mul_lo_u32 v9, v3, s30
	v_sub_co_ci_u32_e32 v15, vcc_lo, v11, v3, vcc_lo
	v_add3_u32 v2, v2, v8, v9
	s_delay_alu instid0(VALU_DEP_1) | instskip(NEXT) | instid1(VALU_DEP_3)
	v_lshlrev_b64 v[2:3], 3, v[1:2]
	v_lshlrev_b64 v[0:1], 3, v[14:15]
	s_delay_alu instid0(VALU_DEP_2) | instskip(NEXT) | instid1(VALU_DEP_3)
	v_add_co_u32 v2, vcc_lo, s24, v2
	v_add_co_ci_u32_e32 v3, vcc_lo, s25, v3, vcc_lo
	s_delay_alu instid0(VALU_DEP_2) | instskip(NEXT) | instid1(VALU_DEP_2)
	v_add_co_u32 v2, vcc_lo, v2, v0
	v_add_co_ci_u32_e32 v3, vcc_lo, v3, v1, vcc_lo
	global_load_b64 v[12:13], v[2:3], off
	s_waitcnt vmcnt(0)
	v_cmp_ne_u64_e32 vcc_lo, 0, v[12:13]
	s_and_b32 exec_lo, exec_lo, vcc_lo
	s_cbranch_execz .LBB5_54
; %bb.10:
	s_load_b256 s[36:43], s[0:1], 0x70
	s_add_u32 s2, s28, 1
	s_addc_u32 s3, s29, 0
	v_mul_lo_u32 v11, v11, s6
	v_mul_lo_u32 v18, v10, s7
	s_load_b32 s12, s[0:1], 0x0
	s_waitcnt lgkmcnt(0)
	s_mul_i32 s4, s2, s41
	s_mul_hi_u32 s5, s2, s40
	s_mul_i32 s3, s3, s40
	s_add_i32 s4, s5, s4
	s_mul_i32 s2, s2, s40
	s_add_i32 s4, s4, s3
	v_mul_lo_u32 v8, s2, v7
	v_mad_u64_u32 v[2:3], null, s2, v6, 0
	v_mul_lo_u32 v9, s4, v6
	v_mad_u64_u32 v[16:17], null, v6, s38, v[14:15]
	v_mul_lo_u32 v14, v7, s38
	s_and_b32 s2, s12, -3
	s_delay_alu instid0(SALU_CYCLE_1) | instskip(NEXT) | instid1(VALU_DEP_3)
	s_cmp_lg_u32 s2, 0
	v_add3_u32 v3, v3, v8, v9
	v_mad_u64_u32 v[8:9], null, v10, s6, 0
	v_mul_lo_u32 v10, v6, s39
	v_mul_lo_u32 v15, v16, s37
	s_delay_alu instid0(VALU_DEP_4) | instskip(NEXT) | instid1(VALU_DEP_4)
	v_lshlrev_b64 v[2:3], 3, v[2:3]
	v_add3_u32 v9, v9, v18, v11
	s_delay_alu instid0(VALU_DEP_2) | instskip(NEXT) | instid1(VALU_DEP_3)
	v_add_co_u32 v2, vcc_lo, s26, v2
	v_add_co_ci_u32_e32 v3, vcc_lo, s27, v3, vcc_lo
	v_add3_u32 v14, v14, v17, v10
	s_delay_alu instid0(VALU_DEP_3) | instskip(NEXT) | instid1(VALU_DEP_3)
	v_add_co_u32 v0, vcc_lo, v2, v0
	v_add_co_ci_u32_e32 v1, vcc_lo, v3, v1, vcc_lo
	v_sub_co_u32 v18, vcc_lo, v4, v8
	v_sub_co_ci_u32_e32 v19, vcc_lo, v5, v9, vcc_lo
	global_load_b128 v[0:3], v[0:1], off
	v_mul_lo_u32 v14, v14, s36
	v_mad_u64_u32 v[10:11], null, v16, s36, v[18:19]
	s_delay_alu instid0(VALU_DEP_1)
	v_add3_u32 v11, v14, v11, v15
	s_cbranch_scc0 .LBB5_25
; %bb.11:
	s_cmp_lt_i32 s12, 3
	s_mov_b32 s2, -1
	s_cbranch_scc1 .LBB5_34
; %bb.12:
	s_cmp_lt_i32 s12, 4
	s_cbranch_scc1 .LBB5_28
; %bb.13:
	s_cmp_eq_u32 s12, 4
	s_cbranch_scc0 .LBB5_27
; %bb.14:
	s_mov_b32 s13, exec_lo
	s_waitcnt vmcnt(0)
	v_cmpx_lt_i64_e64 v[0:1], v[2:3]
	s_cbranch_execz .LBB5_26
; %bb.15:
	v_lshlrev_b64 v[16:17], 2, v[10:11]
	v_mad_u64_u32 v[20:21], null, v6, s10, 0
	s_load_b32 s1, s[0:1], 0x48
	s_lshl_b64 s[2:3], s[8:9], 2
	s_mov_b64 s[4:5], 0
	s_delay_alu instid0(VALU_DEP_2)
	v_add_co_u32 v14, vcc_lo, s18, v16
	v_add_co_ci_u32_e32 v15, vcc_lo, s19, v17, vcc_lo
	v_add_co_u32 v16, vcc_lo, s20, v16
	v_add_co_ci_u32_e32 v17, vcc_lo, s21, v17, vcc_lo
	v_mul_lo_u32 v30, v20, s9
	global_load_b32 v26, v[14:15], off
	global_load_b32 v27, v[16:17], off
	v_mul_lo_u32 v16, v7, s10
	v_mul_lo_u32 v17, v6, s11
	s_mov_b32 s14, 0
	s_delay_alu instid0(VALU_DEP_1) | instskip(SKIP_1) | instid1(VALU_DEP_2)
	v_add3_u32 v21, v21, v17, v16
	v_lshlrev_b64 v[16:17], 2, v[0:1]
	v_lshlrev_b64 v[22:23], 2, v[20:21]
	s_delay_alu instid0(VALU_DEP_1) | instskip(NEXT) | instid1(VALU_DEP_2)
	v_add_co_u32 v24, vcc_lo, v22, v16
	v_add_co_ci_u32_e32 v22, vcc_lo, v23, v17, vcc_lo
	v_lshlrev_b64 v[16:17], 2, v[4:5]
	s_delay_alu instid0(VALU_DEP_3) | instskip(NEXT) | instid1(VALU_DEP_3)
	v_mul_lo_u32 v29, s9, v24
	v_mul_lo_u32 v28, s8, v22
	s_delay_alu instid0(VALU_DEP_3) | instskip(SKIP_3) | instid1(VALU_DEP_4)
	v_mad_u64_u32 v[22:23], null, s8, v24, v[16:17]
	v_lshlrev_b64 v[24:25], 2, v[8:9]
	v_mad_u64_u32 v[16:17], null, v20, s8, v[18:19]
	v_mul_lo_u32 v18, v21, s8
	v_add3_u32 v19, v29, v23, v28
	s_delay_alu instid0(VALU_DEP_4) | instskip(NEXT) | instid1(VALU_DEP_2)
	v_sub_co_u32 v20, vcc_lo, v22, v24
	v_sub_co_ci_u32_e32 v19, vcc_lo, v19, v25, vcc_lo
	s_delay_alu instid0(VALU_DEP_4) | instskip(NEXT) | instid1(VALU_DEP_3)
	v_add3_u32 v17, v18, v17, v30
	v_add_co_u32 v18, vcc_lo, s22, v20
	s_delay_alu instid0(VALU_DEP_3)
	v_add_co_ci_u32_e32 v19, vcc_lo, s23, v19, vcc_lo
	v_dual_mov_b32 v21, v1 :: v_dual_mov_b32 v20, v0
	s_waitcnt vmcnt(0)
	v_mul_f32_e32 v28, v26, v27
	s_branch .LBB5_18
.LBB5_16:                               ;   in Loop: Header=BB5_18 Depth=1
	s_or_b32 exec_lo, exec_lo, s24
	global_load_b32 v24, v[14:15], off
	s_waitcnt vmcnt(0)
	v_mul_f32_e32 v24, v29, v24
.LBB5_17:                               ;   in Loop: Header=BB5_18 Depth=1
	s_or_b32 exec_lo, exec_lo, s15
	v_add_co_u32 v20, vcc_lo, v20, 1
	v_add_co_ci_u32_e32 v21, vcc_lo, 0, v21, vcc_lo
	v_add_co_u32 v22, s0, s16, v22
	s_delay_alu instid0(VALU_DEP_1) | instskip(NEXT) | instid1(VALU_DEP_3)
	v_add_co_ci_u32_e64 v23, s0, s17, v23, s0
	v_cmp_ge_i64_e32 vcc_lo, v[20:21], v[2:3]
	s_add_u32 s4, s4, 1
	s_addc_u32 s5, s5, 0
	global_store_b32 v[22:23], v24, off
	s_or_b32 s14, vcc_lo, s14
	s_delay_alu instid0(SALU_CYCLE_1)
	s_and_not1_b32 exec_lo, exec_lo, s14
	s_cbranch_execz .LBB5_26
.LBB5_18:                               ; =>This Loop Header: Depth=1
                                        ;     Child Loop BB5_23 Depth 2
	s_delay_alu instid0(VALU_DEP_2) | instskip(SKIP_3) | instid1(VALU_DEP_1)
	v_mad_u64_u32 v[22:23], null, v20, s8, v[16:17]
	v_mul_lo_u32 v24, v20, s9
	v_mul_lo_u32 v25, v21, s8
	s_mov_b32 s0, exec_lo
	v_add3_u32 v23, v25, v23, v24
	s_delay_alu instid0(VALU_DEP_1) | instskip(NEXT) | instid1(VALU_DEP_1)
	v_lshlrev_b64 v[22:23], 2, v[22:23]
	v_add_co_u32 v24, vcc_lo, s22, v22
	s_delay_alu instid0(VALU_DEP_2)
	v_add_co_ci_u32_e32 v25, vcc_lo, s23, v23, vcc_lo
	global_load_b32 v25, v[24:25], off
                                        ; implicit-def: $vgpr24
	s_waitcnt vmcnt(0)
	v_cmpx_lg_f32_e32 0, v25
	s_xor_b32 s0, exec_lo, s0
; %bb.19:                               ;   in Loop: Header=BB5_18 Depth=1
	v_div_scale_f32 v24, null, v25, v25, v28
	s_delay_alu instid0(VALU_DEP_1) | instskip(SKIP_2) | instid1(VALU_DEP_1)
	v_rcp_f32_e32 v26, v24
	s_waitcnt_depctr 0xfff
	v_fma_f32 v27, -v24, v26, 1.0
	v_fmac_f32_e32 v26, v27, v26
	v_div_scale_f32 v27, vcc_lo, v28, v25, v28
	s_delay_alu instid0(VALU_DEP_1) | instskip(NEXT) | instid1(VALU_DEP_1)
	v_mul_f32_e32 v29, v27, v26
	v_fma_f32 v30, -v24, v29, v27
	s_delay_alu instid0(VALU_DEP_1) | instskip(NEXT) | instid1(VALU_DEP_1)
	v_fmac_f32_e32 v29, v30, v26
	v_fma_f32 v24, -v24, v29, v27
	s_delay_alu instid0(VALU_DEP_1) | instskip(NEXT) | instid1(VALU_DEP_1)
	v_div_fmas_f32 v24, v24, v26, v29
	v_div_fixup_f32 v24, v24, v25, v28
; %bb.20:                               ;   in Loop: Header=BB5_18 Depth=1
	s_and_not1_saveexec_b32 s15, s0
	s_cbranch_execz .LBB5_17
; %bb.21:                               ;   in Loop: Header=BB5_18 Depth=1
	v_mov_b32_e32 v25, v19
	v_dual_mov_b32 v27, v1 :: v_dual_mov_b32 v26, v0
	s_waitcnt lgkmcnt(0)
	v_dual_mov_b32 v29, s1 :: v_dual_mov_b32 v24, v18
	s_mov_b32 s24, 0
	s_mov_b64 s[6:7], s[4:5]
	s_branch .LBB5_23
	.p2align	6
.LBB5_22:                               ;   in Loop: Header=BB5_23 Depth=2
	v_add_co_u32 v26, vcc_lo, v26, 1
	v_add_co_ci_u32_e32 v27, vcc_lo, 0, v27, vcc_lo
	v_add_co_u32 v24, s0, v24, s2
	s_delay_alu instid0(VALU_DEP_1) | instskip(NEXT) | instid1(VALU_DEP_3)
	v_add_co_ci_u32_e64 v25, s0, s3, v25, s0
	v_cmp_ge_i64_e32 vcc_lo, v[26:27], v[2:3]
	s_add_u32 s6, s6, -1
	s_addc_u32 s7, s7, -1
	s_or_b32 s24, vcc_lo, s24
	s_delay_alu instid0(SALU_CYCLE_1)
	s_and_not1_b32 exec_lo, exec_lo, s24
	s_cbranch_execz .LBB5_16
.LBB5_23:                               ;   Parent Loop BB5_18 Depth=1
                                        ; =>  This Inner Loop Header: Depth=2
	s_cmp_eq_u64 s[6:7], 0
	s_cbranch_scc1 .LBB5_22
; %bb.24:                               ;   in Loop: Header=BB5_23 Depth=2
	global_load_b32 v30, v[24:25], off
	s_waitcnt vmcnt(0)
	v_mul_f32_e32 v29, v29, v30
	s_branch .LBB5_22
.LBB5_25:
	s_cbranch_execnz .LBB5_41
	s_branch .LBB5_54
.LBB5_26:
	s_or_b32 exec_lo, exec_lo, s13
.LBB5_27:
	s_mov_b32 s2, 0
.LBB5_28:
	s_delay_alu instid0(SALU_CYCLE_1)
	s_and_not1_b32 vcc_lo, exec_lo, s2
	s_cbranch_vccnz .LBB5_33
; %bb.29:
	s_waitcnt lgkmcnt(0)
	s_mov_b32 s1, exec_lo
	s_waitcnt vmcnt(0)
	v_cmpx_lt_i64_e64 v[0:1], v[2:3]
	s_cbranch_execz .LBB5_32
; %bb.30:
	v_lshlrev_b64 v[14:15], 2, v[10:11]
	v_mul_lo_u32 v16, v7, s10
	v_mul_lo_u32 v17, v6, s11
	s_lshl_b64 s[2:3], s[8:9], 2
	s_mov_b32 s4, 0
	s_delay_alu instid0(VALU_DEP_3) | instskip(SKIP_3) | instid1(VALU_DEP_1)
	v_add_co_u32 v14, vcc_lo, s18, v14
	v_add_co_ci_u32_e32 v15, vcc_lo, s19, v15, vcc_lo
	global_load_b32 v18, v[14:15], off
	v_mad_u64_u32 v[14:15], null, v6, s10, 0
	v_add3_u32 v15, v15, v17, v16
	v_lshlrev_b64 v[16:17], 2, v[0:1]
	s_delay_alu instid0(VALU_DEP_2) | instskip(NEXT) | instid1(VALU_DEP_1)
	v_lshlrev_b64 v[14:15], 2, v[14:15]
	v_add_co_u32 v19, vcc_lo, v14, v16
	s_delay_alu instid0(VALU_DEP_2) | instskip(SKIP_1) | instid1(VALU_DEP_3)
	v_add_co_ci_u32_e32 v16, vcc_lo, v15, v17, vcc_lo
	v_lshlrev_b64 v[14:15], 2, v[4:5]
	v_mul_lo_u32 v21, s9, v19
	s_delay_alu instid0(VALU_DEP_3) | instskip(NEXT) | instid1(VALU_DEP_3)
	v_mul_lo_u32 v20, s8, v16
	v_mad_u64_u32 v[16:17], null, s8, v19, v[14:15]
	v_lshlrev_b64 v[14:15], 2, v[8:9]
	s_delay_alu instid0(VALU_DEP_2) | instskip(NEXT) | instid1(VALU_DEP_2)
	v_add3_u32 v17, v21, v17, v20
	v_sub_co_u32 v14, vcc_lo, v16, v14
	s_delay_alu instid0(VALU_DEP_2) | instskip(NEXT) | instid1(VALU_DEP_2)
	v_sub_co_ci_u32_e32 v15, vcc_lo, v17, v15, vcc_lo
	v_add_co_u32 v14, vcc_lo, s16, v14
	v_dual_mov_b32 v17, v1 :: v_dual_mov_b32 v16, v0
	s_delay_alu instid0(VALU_DEP_3)
	v_add_co_ci_u32_e32 v15, vcc_lo, s17, v15, vcc_lo
.LBB5_31:                               ; =>This Inner Loop Header: Depth=1
	s_delay_alu instid0(VALU_DEP_2) | instskip(NEXT) | instid1(VALU_DEP_3)
	v_add_co_u32 v16, vcc_lo, v16, 1
	v_add_co_ci_u32_e32 v17, vcc_lo, 0, v17, vcc_lo
	s_waitcnt vmcnt(0)
	global_store_b32 v[14:15], v18, off
	v_add_co_u32 v14, s0, v14, s2
	v_cmp_ge_i64_e32 vcc_lo, v[16:17], v[2:3]
	v_add_co_ci_u32_e64 v15, s0, s3, v15, s0
	s_or_b32 s4, vcc_lo, s4
	s_delay_alu instid0(SALU_CYCLE_1)
	s_and_not1_b32 exec_lo, exec_lo, s4
	s_cbranch_execnz .LBB5_31
.LBB5_32:
	s_or_b32 exec_lo, exec_lo, s1
.LBB5_33:
	s_mov_b32 s2, 0
.LBB5_34:
	s_delay_alu instid0(SALU_CYCLE_1)
	s_and_not1_b32 vcc_lo, exec_lo, s2
	s_cbranch_vccnz .LBB5_40
; %bb.35:
	s_cmp_lg_u32 s12, 1
	s_cbranch_scc1 .LBB5_40
; %bb.36:
	s_waitcnt lgkmcnt(0)
	s_mov_b32 s1, exec_lo
	s_waitcnt vmcnt(0)
	v_cmpx_lt_i64_e64 v[0:1], v[2:3]
	s_cbranch_execz .LBB5_39
; %bb.37:
	v_lshlrev_b64 v[14:15], 2, v[10:11]
	s_lshl_b64 s[2:3], s[8:9], 2
	s_mov_b32 s4, 0
	s_delay_alu instid0(VALU_DEP_1) | instskip(NEXT) | instid1(VALU_DEP_2)
	v_add_co_u32 v14, vcc_lo, s18, v14
	v_add_co_ci_u32_e32 v15, vcc_lo, s19, v15, vcc_lo
	global_load_b32 v16, v[14:15], off
	v_xor_b32_e32 v14, v12, v13
	v_cls_i32_e32 v15, v13
	s_delay_alu instid0(VALU_DEP_2) | instskip(NEXT) | instid1(VALU_DEP_2)
	v_ashrrev_i32_e32 v14, 31, v14
	v_add_nc_u32_e32 v15, -1, v15
	s_delay_alu instid0(VALU_DEP_2) | instskip(NEXT) | instid1(VALU_DEP_1)
	v_add_nc_u32_e32 v14, 32, v14
	v_min_u32_e32 v14, v15, v14
	v_mul_lo_u32 v15, v6, s11
	s_delay_alu instid0(VALU_DEP_2) | instskip(NEXT) | instid1(VALU_DEP_1)
	v_lshlrev_b64 v[12:13], v14, v[12:13]
	v_min_u32_e32 v12, 1, v12
	s_delay_alu instid0(VALU_DEP_1) | instskip(SKIP_2) | instid1(VALU_DEP_3)
	v_or_b32_e32 v12, v13, v12
	v_sub_nc_u32_e32 v13, 32, v14
	v_mul_lo_u32 v14, v7, s10
	v_cvt_f32_i32_e32 v12, v12
	s_delay_alu instid0(VALU_DEP_1) | instskip(SKIP_1) | instid1(VALU_DEP_1)
	v_ldexp_f32 v17, v12, v13
	v_mad_u64_u32 v[12:13], null, v6, s10, 0
	v_add3_u32 v13, v13, v15, v14
	v_lshlrev_b64 v[14:15], 2, v[0:1]
	s_delay_alu instid0(VALU_DEP_2) | instskip(SKIP_3) | instid1(VALU_DEP_2)
	v_lshlrev_b64 v[12:13], 2, v[12:13]
	s_waitcnt vmcnt(0)
	v_div_scale_f32 v18, null, v17, v17, v16
	v_div_scale_f32 v21, vcc_lo, v16, v17, v16
	v_rcp_f32_e32 v19, v18
	s_waitcnt_depctr 0xfff
	v_fma_f32 v20, -v18, v19, 1.0
	s_delay_alu instid0(VALU_DEP_1) | instskip(SKIP_1) | instid1(VALU_DEP_1)
	v_fmac_f32_e32 v19, v20, v19
	v_add_co_u32 v20, s0, v12, v14
	v_add_co_ci_u32_e64 v14, s0, v13, v15, s0
	s_delay_alu instid0(VALU_DEP_3) | instskip(SKIP_1) | instid1(VALU_DEP_4)
	v_mul_f32_e32 v22, v21, v19
	v_lshlrev_b64 v[12:13], 2, v[4:5]
	v_mul_lo_u32 v24, s9, v20
	s_delay_alu instid0(VALU_DEP_4) | instskip(NEXT) | instid1(VALU_DEP_4)
	v_mul_lo_u32 v23, s8, v14
	v_fma_f32 v25, -v18, v22, v21
	s_delay_alu instid0(VALU_DEP_4) | instskip(SKIP_1) | instid1(VALU_DEP_3)
	v_mad_u64_u32 v[14:15], null, s8, v20, v[12:13]
	v_lshlrev_b64 v[12:13], 2, v[8:9]
	v_fmac_f32_e32 v22, v25, v19
	s_delay_alu instid0(VALU_DEP_3) | instskip(NEXT) | instid1(VALU_DEP_2)
	v_add3_u32 v15, v24, v15, v23
	v_fma_f32 v18, -v18, v22, v21
	s_delay_alu instid0(VALU_DEP_4) | instskip(NEXT) | instid1(VALU_DEP_1)
	v_sub_co_u32 v12, s0, v14, v12
	v_sub_co_ci_u32_e64 v13, s0, v15, v13, s0
	s_delay_alu instid0(VALU_DEP_3) | instskip(NEXT) | instid1(VALU_DEP_3)
	v_div_fmas_f32 v14, v18, v19, v22
	v_add_co_u32 v12, vcc_lo, s16, v12
	s_delay_alu instid0(VALU_DEP_3) | instskip(NEXT) | instid1(VALU_DEP_3)
	v_add_co_ci_u32_e32 v13, vcc_lo, s17, v13, vcc_lo
	v_div_fixup_f32 v16, v14, v17, v16
	v_dual_mov_b32 v15, v1 :: v_dual_mov_b32 v14, v0
.LBB5_38:                               ; =>This Inner Loop Header: Depth=1
	s_delay_alu instid0(VALU_DEP_1) | instskip(NEXT) | instid1(VALU_DEP_2)
	v_add_co_u32 v14, vcc_lo, v14, 1
	v_add_co_ci_u32_e32 v15, vcc_lo, 0, v15, vcc_lo
	global_store_b32 v[12:13], v16, off
	v_add_co_u32 v12, s0, v12, s2
	v_cmp_ge_i64_e32 vcc_lo, v[14:15], v[2:3]
	v_add_co_ci_u32_e64 v13, s0, s3, v13, s0
	s_or_b32 s4, vcc_lo, s4
	s_delay_alu instid0(SALU_CYCLE_1)
	s_and_not1_b32 exec_lo, exec_lo, s4
	s_cbranch_execnz .LBB5_38
.LBB5_39:
	s_or_b32 exec_lo, exec_lo, s1
.LBB5_40:
	s_branch .LBB5_54
.LBB5_41:
	s_waitcnt vmcnt(0)
	v_cmp_ge_i64_e32 vcc_lo, v[0:1], v[2:3]
	v_mov_b32_e32 v12, 0
	v_mov_b32_e32 v13, 0
	s_mov_b32 s4, exec_lo
	v_cmpx_lt_i64_e64 v[0:1], v[2:3]
	s_cbranch_execz .LBB5_49
; %bb.42:
	v_mad_u64_u32 v[12:13], null, v6, s10, v[0:1]
	v_mul_lo_u32 v14, v6, s11
	v_mul_lo_u32 v15, v7, s10
	s_lshl_b64 s[2:3], s[8:9], 2
	s_mov_b32 s5, 0
	v_dual_mov_b32 v19, v1 :: v_dual_mov_b32 v18, v0
	s_delay_alu instid0(VALU_DEP_4) | instskip(NEXT) | instid1(VALU_DEP_3)
	v_mul_lo_u32 v17, s9, v12
	v_add3_u32 v15, v15, v13, v14
	v_mad_u64_u32 v[13:14], null, s8, v12, v[4:5]
	s_delay_alu instid0(VALU_DEP_2) | instskip(SKIP_1) | instid1(VALU_DEP_1)
	v_mul_lo_u32 v12, s8, v15
	v_lshlrev_b64 v[15:16], 2, v[10:11]
	v_add_co_u32 v10, s0, s20, v15
	s_delay_alu instid0(VALU_DEP_3) | instskip(NEXT) | instid1(VALU_DEP_3)
	v_add3_u32 v14, v17, v14, v12
	v_add_co_ci_u32_e64 v11, s0, s21, v16, s0
	v_sub_co_u32 v12, s0, v13, v8
	s_delay_alu instid0(VALU_DEP_1) | instskip(SKIP_1) | instid1(VALU_DEP_1)
	v_sub_co_ci_u32_e64 v13, s0, v14, v9, s0
	v_add_co_u32 v14, s0, s18, v15
	v_add_co_ci_u32_e64 v15, s0, s19, v16, s0
	s_delay_alu instid0(VALU_DEP_3)
	v_lshlrev_b64 v[16:17], 2, v[12:13]
	v_mov_b32_e32 v12, 0
	v_mov_b32_e32 v13, 0
	s_set_inst_prefetch_distance 0x1
	s_branch .LBB5_44
	.p2align	6
.LBB5_43:                               ;   in Loop: Header=BB5_44 Depth=1
	s_or_b32 exec_lo, exec_lo, s6
	v_add_co_u32 v18, s0, v18, 1
	s_delay_alu instid0(VALU_DEP_1) | instskip(SKIP_1) | instid1(VALU_DEP_1)
	v_add_co_ci_u32_e64 v19, s0, 0, v19, s0
	v_add_co_u32 v16, s1, v16, s2
	v_add_co_ci_u32_e64 v17, s1, s3, v17, s1
	s_delay_alu instid0(VALU_DEP_3) | instskip(NEXT) | instid1(VALU_DEP_1)
	v_cmp_ge_i64_e64 s0, v[18:19], v[2:3]
	s_or_b32 s5, s0, s5
	s_delay_alu instid0(SALU_CYCLE_1)
	s_and_not1_b32 exec_lo, exec_lo, s5
	s_cbranch_execz .LBB5_48
.LBB5_44:                               ; =>This Inner Loop Header: Depth=1
	s_delay_alu instid0(VALU_DEP_3) | instskip(NEXT) | instid1(VALU_DEP_1)
	v_add_co_u32 v20, s0, s22, v16
	v_add_co_ci_u32_e64 v21, s0, s23, v17, s0
	s_mov_b32 s6, exec_lo
	global_load_b32 v20, v[20:21], off
	s_waitcnt vmcnt(0) lgkmcnt(0)
	v_cmp_u_f32_e64 s1, v20, v20
	v_cmpx_o_f32_e32 v20, v20
	s_cbranch_execz .LBB5_46
; %bb.45:                               ;   in Loop: Header=BB5_44 Depth=1
	global_load_b32 v21, v[10:11], off
	s_and_not1_b32 s1, s1, exec_lo
	s_waitcnt vmcnt(0)
	v_cmp_eq_f32_e64 s0, v20, v21
	s_delay_alu instid0(VALU_DEP_1) | instskip(NEXT) | instid1(SALU_CYCLE_1)
	s_and_b32 s0, s0, exec_lo
	s_or_b32 s1, s1, s0
.LBB5_46:                               ;   in Loop: Header=BB5_44 Depth=1
	s_or_b32 exec_lo, exec_lo, s6
	s_delay_alu instid0(VALU_DEP_2)
	s_and_saveexec_b32 s6, s1
	s_cbranch_execz .LBB5_43
; %bb.47:                               ;   in Loop: Header=BB5_44 Depth=1
	global_load_b32 v22, v[14:15], off
	v_add_co_u32 v20, s0, s16, v16
	s_delay_alu instid0(VALU_DEP_1) | instskip(SKIP_1) | instid1(VALU_DEP_1)
	v_add_co_ci_u32_e64 v21, s0, s17, v17, s0
	v_add_co_u32 v12, s0, v12, 1
	v_add_co_ci_u32_e64 v13, s0, 0, v13, s0
	s_waitcnt vmcnt(0)
	global_store_b32 v[20:21], v22, off
	s_branch .LBB5_43
.LBB5_48:
	s_set_inst_prefetch_distance 0x2
	s_or_b32 exec_lo, exec_lo, s5
.LBB5_49:
	s_delay_alu instid0(SALU_CYCLE_1)
	s_or_b32 exec_lo, exec_lo, s4
	v_cmp_lt_i64_e64 s0, 1, v[12:13]
	s_waitcnt lgkmcnt(0)
	s_xor_b32 s1, vcc_lo, -1
	s_delay_alu instid0(VALU_DEP_1) | instid1(SALU_CYCLE_1)
	s_and_b32 s0, s0, s1
	s_delay_alu instid0(SALU_CYCLE_1)
	s_and_b32 exec_lo, exec_lo, s0
	s_cbranch_execz .LBB5_54
; %bb.50:
	v_mul_lo_u32 v7, v7, s10
	v_mul_lo_u32 v14, v6, s11
	v_mad_u64_u32 v[10:11], null, v6, s10, 0
	v_clz_i32_u32_e32 v15, v13
	v_lshlrev_b64 v[4:5], 2, v[4:5]
	s_lshl_b64 s[2:3], s[8:9], 2
	s_mov_b32 s1, 0
	s_delay_alu instid0(VALU_DEP_3) | instskip(SKIP_2) | instid1(VALU_DEP_3)
	v_add3_u32 v11, v11, v14, v7
	v_lshlrev_b64 v[6:7], 2, v[0:1]
	v_min_u32_e32 v14, 32, v15
	v_lshlrev_b64 v[10:11], 2, v[10:11]
	s_delay_alu instid0(VALU_DEP_2) | instskip(NEXT) | instid1(VALU_DEP_2)
	v_lshlrev_b64 v[12:13], v14, v[12:13]
	v_add_co_u32 v10, vcc_lo, v10, v6
	s_delay_alu instid0(VALU_DEP_3) | instskip(NEXT) | instid1(VALU_DEP_3)
	v_add_co_ci_u32_e32 v6, vcc_lo, v11, v7, vcc_lo
	v_min_u32_e32 v11, 1, v12
	s_delay_alu instid0(VALU_DEP_3) | instskip(NEXT) | instid1(VALU_DEP_3)
	v_mul_lo_u32 v15, s9, v10
	v_mul_lo_u32 v12, s8, v6
	v_mad_u64_u32 v[6:7], null, s8, v10, v[4:5]
	v_lshlrev_b64 v[4:5], 2, v[8:9]
	v_or_b32_e32 v10, v13, v11
	v_sub_nc_u32_e32 v9, 32, v14
	s_delay_alu instid0(VALU_DEP_4) | instskip(NEXT) | instid1(VALU_DEP_4)
	v_add3_u32 v7, v15, v7, v12
	v_sub_co_u32 v4, vcc_lo, v6, v4
	s_delay_alu instid0(VALU_DEP_4) | instskip(NEXT) | instid1(VALU_DEP_3)
	v_cvt_f32_u32_e32 v8, v10
	v_sub_co_ci_u32_e32 v5, vcc_lo, v7, v5, vcc_lo
	s_delay_alu instid0(VALU_DEP_3) | instskip(NEXT) | instid1(VALU_DEP_3)
	v_add_co_u32 v4, vcc_lo, s16, v4
	v_ldexp_f32 v6, v8, v9
	s_delay_alu instid0(VALU_DEP_3)
	v_add_co_ci_u32_e32 v5, vcc_lo, s17, v5, vcc_lo
	s_set_inst_prefetch_distance 0x1
	s_branch .LBB5_52
	.p2align	6
.LBB5_51:                               ;   in Loop: Header=BB5_52 Depth=1
	s_or_b32 exec_lo, exec_lo, s0
	v_add_co_u32 v0, vcc_lo, v0, 1
	v_add_co_ci_u32_e32 v1, vcc_lo, 0, v1, vcc_lo
	v_add_co_u32 v4, s0, v4, s2
	s_delay_alu instid0(VALU_DEP_1) | instskip(NEXT) | instid1(VALU_DEP_3)
	v_add_co_ci_u32_e64 v5, s0, s3, v5, s0
	v_cmp_ge_i64_e32 vcc_lo, v[0:1], v[2:3]
	s_or_b32 s1, vcc_lo, s1
	s_delay_alu instid0(SALU_CYCLE_1)
	s_and_not1_b32 exec_lo, exec_lo, s1
	s_cbranch_execz .LBB5_54
.LBB5_52:                               ; =>This Inner Loop Header: Depth=1
	global_load_b32 v7, v[4:5], off
	s_mov_b32 s0, exec_lo
	s_waitcnt vmcnt(0)
	v_cmpx_lt_f32_e32 0, v7
	s_cbranch_execz .LBB5_51
; %bb.53:                               ;   in Loop: Header=BB5_52 Depth=1
	v_div_scale_f32 v8, null, v6, v6, v7
	s_delay_alu instid0(VALU_DEP_1) | instskip(SKIP_2) | instid1(VALU_DEP_1)
	v_rcp_f32_e32 v9, v8
	s_waitcnt_depctr 0xfff
	v_fma_f32 v10, -v8, v9, 1.0
	v_fmac_f32_e32 v9, v10, v9
	v_div_scale_f32 v10, vcc_lo, v7, v6, v7
	s_delay_alu instid0(VALU_DEP_1) | instskip(NEXT) | instid1(VALU_DEP_1)
	v_mul_f32_e32 v11, v10, v9
	v_fma_f32 v12, -v8, v11, v10
	s_delay_alu instid0(VALU_DEP_1) | instskip(NEXT) | instid1(VALU_DEP_1)
	v_fmac_f32_e32 v11, v12, v9
	v_fma_f32 v8, -v8, v11, v10
	s_delay_alu instid0(VALU_DEP_1) | instskip(NEXT) | instid1(VALU_DEP_1)
	v_div_fmas_f32 v8, v8, v9, v11
	v_div_fixup_f32 v7, v8, v6, v7
	global_store_b32 v[4:5], v7, off
	s_branch .LBB5_51
.LBB5_54:
	s_set_inst_prefetch_distance 0x2
	s_nop 0
	s_sendmsg sendmsg(MSG_DEALLOC_VGPRS)
	s_endpgm
	.section	.rodata,"a",@progbits
	.p2align	6, 0x0
	.amdhsa_kernel _ZN2at6native12_GLOBAL__N_130segment_reduce_backward_kernelIflEEvNS0_13ReductionTypeEPT_PKS4_S7_S7_PKT0_SA_llS4_lllllll
		.amdhsa_group_segment_fixed_size 0
		.amdhsa_private_segment_fixed_size 0
		.amdhsa_kernarg_size 392
		.amdhsa_user_sgpr_count 15
		.amdhsa_user_sgpr_dispatch_ptr 0
		.amdhsa_user_sgpr_queue_ptr 0
		.amdhsa_user_sgpr_kernarg_segment_ptr 1
		.amdhsa_user_sgpr_dispatch_id 0
		.amdhsa_user_sgpr_private_segment_size 0
		.amdhsa_wavefront_size32 1
		.amdhsa_uses_dynamic_stack 0
		.amdhsa_enable_private_segment 0
		.amdhsa_system_sgpr_workgroup_id_x 1
		.amdhsa_system_sgpr_workgroup_id_y 0
		.amdhsa_system_sgpr_workgroup_id_z 0
		.amdhsa_system_sgpr_workgroup_info 0
		.amdhsa_system_vgpr_workitem_id 0
		.amdhsa_next_free_vgpr 31
		.amdhsa_next_free_sgpr 44
		.amdhsa_reserve_vcc 1
		.amdhsa_float_round_mode_32 0
		.amdhsa_float_round_mode_16_64 0
		.amdhsa_float_denorm_mode_32 3
		.amdhsa_float_denorm_mode_16_64 3
		.amdhsa_dx10_clamp 1
		.amdhsa_ieee_mode 1
		.amdhsa_fp16_overflow 0
		.amdhsa_workgroup_processor_mode 1
		.amdhsa_memory_ordered 1
		.amdhsa_forward_progress 0
		.amdhsa_shared_vgpr_count 0
		.amdhsa_exception_fp_ieee_invalid_op 0
		.amdhsa_exception_fp_denorm_src 0
		.amdhsa_exception_fp_ieee_div_zero 0
		.amdhsa_exception_fp_ieee_overflow 0
		.amdhsa_exception_fp_ieee_underflow 0
		.amdhsa_exception_fp_ieee_inexact 0
		.amdhsa_exception_int_div_zero 0
	.end_amdhsa_kernel
	.section	.text._ZN2at6native12_GLOBAL__N_130segment_reduce_backward_kernelIflEEvNS0_13ReductionTypeEPT_PKS4_S7_S7_PKT0_SA_llS4_lllllll,"axG",@progbits,_ZN2at6native12_GLOBAL__N_130segment_reduce_backward_kernelIflEEvNS0_13ReductionTypeEPT_PKS4_S7_S7_PKT0_SA_llS4_lllllll,comdat
.Lfunc_end5:
	.size	_ZN2at6native12_GLOBAL__N_130segment_reduce_backward_kernelIflEEvNS0_13ReductionTypeEPT_PKS4_S7_S7_PKT0_SA_llS4_lllllll, .Lfunc_end5-_ZN2at6native12_GLOBAL__N_130segment_reduce_backward_kernelIflEEvNS0_13ReductionTypeEPT_PKS4_S7_S7_PKT0_SA_llS4_lllllll
                                        ; -- End function
	.section	.AMDGPU.csdata,"",@progbits
; Kernel info:
; codeLenInByte = 5012
; NumSgprs: 46
; NumVgprs: 31
; ScratchSize: 0
; MemoryBound: 0
; FloatMode: 240
; IeeeMode: 1
; LDSByteSize: 0 bytes/workgroup (compile time only)
; SGPRBlocks: 5
; VGPRBlocks: 3
; NumSGPRsForWavesPerEU: 46
; NumVGPRsForWavesPerEU: 31
; Occupancy: 16
; WaveLimiterHint : 1
; COMPUTE_PGM_RSRC2:SCRATCH_EN: 0
; COMPUTE_PGM_RSRC2:USER_SGPR: 15
; COMPUTE_PGM_RSRC2:TRAP_HANDLER: 0
; COMPUTE_PGM_RSRC2:TGID_X_EN: 1
; COMPUTE_PGM_RSRC2:TGID_Y_EN: 0
; COMPUTE_PGM_RSRC2:TGID_Z_EN: 0
; COMPUTE_PGM_RSRC2:TIDIG_COMP_CNT: 0
	.section	.text._ZN2at6native12_GLOBAL__N_130segment_reduce_backward_kernelIN3c108BFloat16ElEEvNS0_13ReductionTypeEPT_PKS6_S9_S9_PKT0_SC_llS6_lllllll,"axG",@progbits,_ZN2at6native12_GLOBAL__N_130segment_reduce_backward_kernelIN3c108BFloat16ElEEvNS0_13ReductionTypeEPT_PKS6_S9_S9_PKT0_SC_llS6_lllllll,comdat
	.globl	_ZN2at6native12_GLOBAL__N_130segment_reduce_backward_kernelIN3c108BFloat16ElEEvNS0_13ReductionTypeEPT_PKS6_S9_S9_PKT0_SC_llS6_lllllll ; -- Begin function _ZN2at6native12_GLOBAL__N_130segment_reduce_backward_kernelIN3c108BFloat16ElEEvNS0_13ReductionTypeEPT_PKS6_S9_S9_PKT0_SC_llS6_lllllll
	.p2align	8
	.type	_ZN2at6native12_GLOBAL__N_130segment_reduce_backward_kernelIN3c108BFloat16ElEEvNS0_13ReductionTypeEPT_PKS6_S9_S9_PKT0_SC_llS6_lllllll,@function
_ZN2at6native12_GLOBAL__N_130segment_reduce_backward_kernelIN3c108BFloat16ElEEvNS0_13ReductionTypeEPT_PKS6_S9_S9_PKT0_SC_llS6_lllllll: ; @_ZN2at6native12_GLOBAL__N_130segment_reduce_backward_kernelIN3c108BFloat16ElEEvNS0_13ReductionTypeEPT_PKS6_S9_S9_PKT0_SC_llS6_lllllll
; %bb.0:
	s_clause 0x2
	s_load_b512 s[16:31], s[0:1], 0x8
	s_load_b32 s2, s[0:1], 0x94
	s_load_b256 s[4:11], s[0:1], 0x50
	v_mov_b32_e32 v2, 0
	s_delay_alu instid0(VALU_DEP_1)
	v_mov_b32_e32 v1, v2
	s_waitcnt lgkmcnt(0)
	s_and_b32 s2, s2, 0xffff
	s_mul_i32 s3, s4, s29
	s_mul_hi_u32 s12, s4, s28
	s_mul_i32 s5, s5, s28
	s_mul_i32 s4, s4, s28
	v_mad_u64_u32 v[4:5], null, s2, s15, v[0:1]
	s_add_i32 s2, s12, s3
	s_mul_i32 s3, s4, s7
	s_mul_hi_u32 s12, s4, s6
	s_add_i32 s2, s2, s5
	s_add_i32 s3, s12, s3
	s_mul_i32 s2, s2, s6
	s_delay_alu instid0(SALU_CYCLE_1) | instskip(SKIP_1) | instid1(SALU_CYCLE_1)
	s_add_i32 s3, s3, s2
	s_mul_i32 s2, s4, s6
	v_cmp_gt_i64_e32 vcc_lo, s[2:3], v[4:5]
	s_and_saveexec_b32 s2, vcc_lo
	s_cbranch_execz .LBB6_75
; %bb.1:
	v_or_b32_e32 v3, s7, v5
                                        ; implicit-def: $vgpr10_vgpr11
	s_mov_b32 s2, exec_lo
	s_delay_alu instid0(VALU_DEP_1)
	v_cmpx_ne_u64_e32 0, v[2:3]
	s_xor_b32 s3, exec_lo, s2
	s_cbranch_execz .LBB6_3
; %bb.2:
	s_ashr_i32 s4, s7, 31
	s_delay_alu instid0(SALU_CYCLE_1) | instskip(SKIP_2) | instid1(SALU_CYCLE_1)
	s_add_u32 s12, s6, s4
	s_mov_b32 s5, s4
	s_addc_u32 s13, s7, s4
	s_xor_b64 s[12:13], s[12:13], s[4:5]
	s_delay_alu instid0(SALU_CYCLE_1) | instskip(SKIP_3) | instid1(VALU_DEP_1)
	v_cvt_f32_u32_e32 v0, s12
	v_cvt_f32_u32_e32 v1, s13
	s_sub_u32 s2, 0, s12
	s_subb_u32 s5, 0, s13
	v_fmamk_f32 v0, v1, 0x4f800000, v0
	s_delay_alu instid0(VALU_DEP_1) | instskip(SKIP_2) | instid1(VALU_DEP_1)
	v_rcp_f32_e32 v0, v0
	s_waitcnt_depctr 0xfff
	v_mul_f32_e32 v0, 0x5f7ffffc, v0
	v_mul_f32_e32 v1, 0x2f800000, v0
	s_delay_alu instid0(VALU_DEP_1) | instskip(NEXT) | instid1(VALU_DEP_1)
	v_trunc_f32_e32 v1, v1
	v_fmamk_f32 v0, v1, 0xcf800000, v0
	v_cvt_u32_f32_e32 v1, v1
	s_delay_alu instid0(VALU_DEP_2) | instskip(NEXT) | instid1(VALU_DEP_2)
	v_cvt_u32_f32_e32 v0, v0
	v_mul_lo_u32 v2, s2, v1
	s_delay_alu instid0(VALU_DEP_2) | instskip(SKIP_1) | instid1(VALU_DEP_2)
	v_mul_hi_u32 v3, s2, v0
	v_mul_lo_u32 v6, s5, v0
	v_add_nc_u32_e32 v2, v3, v2
	v_mul_lo_u32 v3, s2, v0
	s_delay_alu instid0(VALU_DEP_2) | instskip(NEXT) | instid1(VALU_DEP_2)
	v_add_nc_u32_e32 v2, v2, v6
	v_mul_hi_u32 v6, v0, v3
	s_delay_alu instid0(VALU_DEP_2)
	v_mul_lo_u32 v7, v0, v2
	v_mul_hi_u32 v8, v0, v2
	v_mul_hi_u32 v9, v1, v3
	v_mul_lo_u32 v3, v1, v3
	v_mul_hi_u32 v10, v1, v2
	v_mul_lo_u32 v2, v1, v2
	v_add_co_u32 v6, vcc_lo, v6, v7
	v_add_co_ci_u32_e32 v7, vcc_lo, 0, v8, vcc_lo
	s_delay_alu instid0(VALU_DEP_2) | instskip(NEXT) | instid1(VALU_DEP_2)
	v_add_co_u32 v3, vcc_lo, v6, v3
	v_add_co_ci_u32_e32 v3, vcc_lo, v7, v9, vcc_lo
	v_add_co_ci_u32_e32 v6, vcc_lo, 0, v10, vcc_lo
	v_ashrrev_i32_e32 v9, 31, v5
	s_delay_alu instid0(VALU_DEP_3) | instskip(NEXT) | instid1(VALU_DEP_3)
	v_add_co_u32 v2, vcc_lo, v3, v2
	v_add_co_ci_u32_e32 v3, vcc_lo, 0, v6, vcc_lo
	s_delay_alu instid0(VALU_DEP_2) | instskip(NEXT) | instid1(VALU_DEP_2)
	v_add_co_u32 v0, vcc_lo, v0, v2
	v_add_co_ci_u32_e32 v1, vcc_lo, v1, v3, vcc_lo
	s_delay_alu instid0(VALU_DEP_2) | instskip(SKIP_1) | instid1(VALU_DEP_3)
	v_mul_hi_u32 v2, s2, v0
	v_mul_lo_u32 v6, s5, v0
	v_mul_lo_u32 v3, s2, v1
	s_delay_alu instid0(VALU_DEP_1) | instskip(SKIP_1) | instid1(VALU_DEP_2)
	v_add_nc_u32_e32 v2, v2, v3
	v_mul_lo_u32 v3, s2, v0
	v_add_nc_u32_e32 v2, v2, v6
	s_delay_alu instid0(VALU_DEP_2) | instskip(NEXT) | instid1(VALU_DEP_2)
	v_mul_hi_u32 v6, v0, v3
	v_mul_lo_u32 v7, v0, v2
	v_mul_hi_u32 v8, v0, v2
	v_mul_hi_u32 v10, v1, v3
	v_mul_lo_u32 v3, v1, v3
	v_mul_hi_u32 v11, v1, v2
	v_mul_lo_u32 v2, v1, v2
	v_add_co_u32 v6, vcc_lo, v6, v7
	v_add_co_ci_u32_e32 v7, vcc_lo, 0, v8, vcc_lo
	s_delay_alu instid0(VALU_DEP_2) | instskip(NEXT) | instid1(VALU_DEP_2)
	v_add_co_u32 v3, vcc_lo, v6, v3
	v_add_co_ci_u32_e32 v3, vcc_lo, v7, v10, vcc_lo
	v_add_co_ci_u32_e32 v6, vcc_lo, 0, v11, vcc_lo
	v_add_co_u32 v7, vcc_lo, v4, v9
	v_add_co_ci_u32_e32 v8, vcc_lo, v5, v9, vcc_lo
	s_delay_alu instid0(VALU_DEP_4) | instskip(NEXT) | instid1(VALU_DEP_4)
	v_add_co_u32 v2, vcc_lo, v3, v2
	v_add_co_ci_u32_e32 v3, vcc_lo, 0, v6, vcc_lo
	s_delay_alu instid0(VALU_DEP_4) | instskip(NEXT) | instid1(VALU_DEP_3)
	v_xor_b32_e32 v10, v7, v9
	v_add_co_u32 v6, vcc_lo, v0, v2
	s_delay_alu instid0(VALU_DEP_3) | instskip(SKIP_1) | instid1(VALU_DEP_3)
	v_add_co_ci_u32_e32 v11, vcc_lo, v1, v3, vcc_lo
	v_xor_b32_e32 v8, v8, v9
	v_mul_hi_u32 v12, v10, v6
	s_delay_alu instid0(VALU_DEP_3) | instskip(NEXT) | instid1(VALU_DEP_3)
	v_mad_u64_u32 v[0:1], null, v10, v11, 0
	v_mad_u64_u32 v[2:3], null, v8, v6, 0
	;; [unrolled: 1-line block ×3, first 2 shown]
	s_delay_alu instid0(VALU_DEP_3) | instskip(NEXT) | instid1(VALU_DEP_4)
	v_add_co_u32 v0, vcc_lo, v12, v0
	v_add_co_ci_u32_e32 v1, vcc_lo, 0, v1, vcc_lo
	s_delay_alu instid0(VALU_DEP_2) | instskip(NEXT) | instid1(VALU_DEP_2)
	v_add_co_u32 v0, vcc_lo, v0, v2
	v_add_co_ci_u32_e32 v0, vcc_lo, v1, v3, vcc_lo
	v_add_co_ci_u32_e32 v1, vcc_lo, 0, v7, vcc_lo
	s_delay_alu instid0(VALU_DEP_2) | instskip(NEXT) | instid1(VALU_DEP_2)
	v_add_co_u32 v2, vcc_lo, v0, v6
	v_add_co_ci_u32_e32 v3, vcc_lo, 0, v1, vcc_lo
	s_delay_alu instid0(VALU_DEP_2) | instskip(SKIP_1) | instid1(VALU_DEP_3)
	v_mul_lo_u32 v6, s13, v2
	v_mad_u64_u32 v[0:1], null, s12, v2, 0
	v_mul_lo_u32 v7, s12, v3
	s_delay_alu instid0(VALU_DEP_2) | instskip(NEXT) | instid1(VALU_DEP_2)
	v_sub_co_u32 v0, vcc_lo, v10, v0
	v_add3_u32 v1, v1, v7, v6
	s_delay_alu instid0(VALU_DEP_1) | instskip(NEXT) | instid1(VALU_DEP_1)
	v_sub_nc_u32_e32 v6, v8, v1
	v_subrev_co_ci_u32_e64 v6, s2, s13, v6, vcc_lo
	v_add_co_u32 v7, s2, v2, 2
	s_delay_alu instid0(VALU_DEP_1) | instskip(SKIP_3) | instid1(VALU_DEP_3)
	v_add_co_ci_u32_e64 v10, s2, 0, v3, s2
	v_sub_co_u32 v11, s2, v0, s12
	v_sub_co_ci_u32_e32 v1, vcc_lo, v8, v1, vcc_lo
	v_subrev_co_ci_u32_e64 v6, s2, 0, v6, s2
	v_cmp_le_u32_e32 vcc_lo, s12, v11
	s_delay_alu instid0(VALU_DEP_3) | instskip(SKIP_1) | instid1(VALU_DEP_4)
	v_cmp_eq_u32_e64 s2, s13, v1
	v_cndmask_b32_e64 v8, 0, -1, vcc_lo
	v_cmp_le_u32_e32 vcc_lo, s13, v6
	v_cndmask_b32_e64 v11, 0, -1, vcc_lo
	v_cmp_le_u32_e32 vcc_lo, s12, v0
	;; [unrolled: 2-line block ×3, first 2 shown]
	v_cndmask_b32_e64 v12, 0, -1, vcc_lo
	v_cmp_eq_u32_e32 vcc_lo, s13, v6
	s_delay_alu instid0(VALU_DEP_2) | instskip(SKIP_3) | instid1(VALU_DEP_3)
	v_cndmask_b32_e64 v0, v12, v0, s2
	v_cndmask_b32_e32 v6, v11, v8, vcc_lo
	v_add_co_u32 v8, vcc_lo, v2, 1
	v_add_co_ci_u32_e32 v11, vcc_lo, 0, v3, vcc_lo
	v_cmp_ne_u32_e32 vcc_lo, 0, v6
	s_delay_alu instid0(VALU_DEP_2) | instskip(SKIP_2) | instid1(VALU_DEP_3)
	v_dual_cndmask_b32 v1, v11, v10 :: v_dual_cndmask_b32 v6, v8, v7
	v_cmp_ne_u32_e32 vcc_lo, 0, v0
	v_xor_b32_e32 v0, s4, v9
	v_dual_cndmask_b32 v2, v2, v6 :: v_dual_cndmask_b32 v1, v3, v1
	s_delay_alu instid0(VALU_DEP_1) | instskip(NEXT) | instid1(VALU_DEP_2)
	v_xor_b32_e32 v2, v2, v0
	v_xor_b32_e32 v1, v1, v0
	s_delay_alu instid0(VALU_DEP_2) | instskip(NEXT) | instid1(VALU_DEP_2)
	v_sub_co_u32 v10, vcc_lo, v2, v0
	v_sub_co_ci_u32_e32 v11, vcc_lo, v1, v0, vcc_lo
.LBB6_3:
	s_and_not1_saveexec_b32 s2, s3
	s_cbranch_execz .LBB6_5
; %bb.4:
	v_cvt_f32_u32_e32 v0, s6
	s_sub_i32 s3, 0, s6
	v_mov_b32_e32 v11, 0
	s_delay_alu instid0(VALU_DEP_2) | instskip(SKIP_2) | instid1(VALU_DEP_1)
	v_rcp_iflag_f32_e32 v0, v0
	s_waitcnt_depctr 0xfff
	v_mul_f32_e32 v0, 0x4f7ffffe, v0
	v_cvt_u32_f32_e32 v0, v0
	s_delay_alu instid0(VALU_DEP_1) | instskip(NEXT) | instid1(VALU_DEP_1)
	v_mul_lo_u32 v1, s3, v0
	v_mul_hi_u32 v1, v0, v1
	s_delay_alu instid0(VALU_DEP_1) | instskip(NEXT) | instid1(VALU_DEP_1)
	v_add_nc_u32_e32 v0, v0, v1
	v_mul_hi_u32 v0, v4, v0
	s_delay_alu instid0(VALU_DEP_1) | instskip(SKIP_1) | instid1(VALU_DEP_2)
	v_mul_lo_u32 v1, v0, s6
	v_add_nc_u32_e32 v2, 1, v0
	v_sub_nc_u32_e32 v1, v4, v1
	s_delay_alu instid0(VALU_DEP_1) | instskip(SKIP_1) | instid1(VALU_DEP_2)
	v_subrev_nc_u32_e32 v3, s6, v1
	v_cmp_le_u32_e32 vcc_lo, s6, v1
	v_dual_cndmask_b32 v1, v1, v3 :: v_dual_cndmask_b32 v0, v0, v2
	s_delay_alu instid0(VALU_DEP_1) | instskip(NEXT) | instid1(VALU_DEP_2)
	v_cmp_le_u32_e32 vcc_lo, s6, v1
	v_add_nc_u32_e32 v2, 1, v0
	s_delay_alu instid0(VALU_DEP_1)
	v_cndmask_b32_e32 v10, v0, v2, vcc_lo
.LBB6_5:
	s_or_b32 exec_lo, exec_lo, s2
	s_delay_alu instid0(VALU_DEP_1) | instskip(SKIP_2) | instid1(VALU_DEP_1)
	v_or_b32_e32 v1, s29, v11
	v_mov_b32_e32 v0, 0
                                        ; implicit-def: $vgpr8_vgpr9
	s_mov_b32 s2, exec_lo
	v_cmpx_ne_u64_e32 0, v[0:1]
	s_xor_b32 s3, exec_lo, s2
	s_cbranch_execz .LBB6_7
; %bb.6:
	s_ashr_i32 s4, s29, 31
	s_delay_alu instid0(SALU_CYCLE_1) | instskip(SKIP_2) | instid1(SALU_CYCLE_1)
	s_add_u32 s12, s28, s4
	s_mov_b32 s5, s4
	s_addc_u32 s13, s29, s4
	s_xor_b64 s[12:13], s[12:13], s[4:5]
	s_delay_alu instid0(SALU_CYCLE_1) | instskip(SKIP_3) | instid1(VALU_DEP_1)
	v_cvt_f32_u32_e32 v0, s12
	v_cvt_f32_u32_e32 v1, s13
	s_sub_u32 s2, 0, s12
	s_subb_u32 s5, 0, s13
	v_fmamk_f32 v0, v1, 0x4f800000, v0
	s_delay_alu instid0(VALU_DEP_1) | instskip(SKIP_2) | instid1(VALU_DEP_1)
	v_rcp_f32_e32 v0, v0
	s_waitcnt_depctr 0xfff
	v_mul_f32_e32 v0, 0x5f7ffffc, v0
	v_mul_f32_e32 v1, 0x2f800000, v0
	s_delay_alu instid0(VALU_DEP_1) | instskip(NEXT) | instid1(VALU_DEP_1)
	v_trunc_f32_e32 v1, v1
	v_fmamk_f32 v0, v1, 0xcf800000, v0
	v_cvt_u32_f32_e32 v1, v1
	s_delay_alu instid0(VALU_DEP_2) | instskip(NEXT) | instid1(VALU_DEP_2)
	v_cvt_u32_f32_e32 v0, v0
	v_mul_lo_u32 v2, s2, v1
	s_delay_alu instid0(VALU_DEP_2) | instskip(SKIP_1) | instid1(VALU_DEP_2)
	v_mul_hi_u32 v3, s2, v0
	v_mul_lo_u32 v6, s5, v0
	v_add_nc_u32_e32 v2, v3, v2
	v_mul_lo_u32 v3, s2, v0
	s_delay_alu instid0(VALU_DEP_2) | instskip(NEXT) | instid1(VALU_DEP_2)
	v_add_nc_u32_e32 v2, v2, v6
	v_mul_hi_u32 v6, v0, v3
	s_delay_alu instid0(VALU_DEP_2)
	v_mul_lo_u32 v7, v0, v2
	v_mul_hi_u32 v8, v0, v2
	v_mul_hi_u32 v9, v1, v3
	v_mul_lo_u32 v3, v1, v3
	v_mul_hi_u32 v12, v1, v2
	v_mul_lo_u32 v2, v1, v2
	v_add_co_u32 v6, vcc_lo, v6, v7
	v_add_co_ci_u32_e32 v7, vcc_lo, 0, v8, vcc_lo
	s_delay_alu instid0(VALU_DEP_2) | instskip(NEXT) | instid1(VALU_DEP_2)
	v_add_co_u32 v3, vcc_lo, v6, v3
	v_add_co_ci_u32_e32 v3, vcc_lo, v7, v9, vcc_lo
	v_add_co_ci_u32_e32 v6, vcc_lo, 0, v12, vcc_lo
	v_ashrrev_i32_e32 v9, 31, v11
	s_delay_alu instid0(VALU_DEP_3) | instskip(NEXT) | instid1(VALU_DEP_3)
	v_add_co_u32 v2, vcc_lo, v3, v2
	v_add_co_ci_u32_e32 v3, vcc_lo, 0, v6, vcc_lo
	s_delay_alu instid0(VALU_DEP_2) | instskip(NEXT) | instid1(VALU_DEP_2)
	v_add_co_u32 v0, vcc_lo, v0, v2
	v_add_co_ci_u32_e32 v1, vcc_lo, v1, v3, vcc_lo
	s_delay_alu instid0(VALU_DEP_2) | instskip(SKIP_1) | instid1(VALU_DEP_3)
	v_mul_hi_u32 v2, s2, v0
	v_mul_lo_u32 v6, s5, v0
	v_mul_lo_u32 v3, s2, v1
	s_delay_alu instid0(VALU_DEP_1) | instskip(SKIP_1) | instid1(VALU_DEP_2)
	v_add_nc_u32_e32 v2, v2, v3
	v_mul_lo_u32 v3, s2, v0
	v_add_nc_u32_e32 v2, v2, v6
	s_delay_alu instid0(VALU_DEP_2) | instskip(NEXT) | instid1(VALU_DEP_2)
	v_mul_hi_u32 v6, v0, v3
	v_mul_lo_u32 v7, v0, v2
	v_mul_hi_u32 v8, v0, v2
	v_mul_hi_u32 v12, v1, v3
	v_mul_lo_u32 v3, v1, v3
	v_mul_hi_u32 v13, v1, v2
	v_mul_lo_u32 v2, v1, v2
	v_add_co_u32 v6, vcc_lo, v6, v7
	v_add_co_ci_u32_e32 v7, vcc_lo, 0, v8, vcc_lo
	s_delay_alu instid0(VALU_DEP_2) | instskip(NEXT) | instid1(VALU_DEP_2)
	v_add_co_u32 v3, vcc_lo, v6, v3
	v_add_co_ci_u32_e32 v3, vcc_lo, v7, v12, vcc_lo
	v_add_co_ci_u32_e32 v6, vcc_lo, 0, v13, vcc_lo
	v_add_co_u32 v7, vcc_lo, v10, v9
	v_add_co_ci_u32_e32 v8, vcc_lo, v11, v9, vcc_lo
	s_delay_alu instid0(VALU_DEP_4) | instskip(NEXT) | instid1(VALU_DEP_4)
	v_add_co_u32 v2, vcc_lo, v3, v2
	v_add_co_ci_u32_e32 v3, vcc_lo, 0, v6, vcc_lo
	s_delay_alu instid0(VALU_DEP_4) | instskip(NEXT) | instid1(VALU_DEP_3)
	v_xor_b32_e32 v12, v7, v9
	v_add_co_u32 v6, vcc_lo, v0, v2
	s_delay_alu instid0(VALU_DEP_3) | instskip(SKIP_1) | instid1(VALU_DEP_3)
	v_add_co_ci_u32_e32 v13, vcc_lo, v1, v3, vcc_lo
	v_xor_b32_e32 v8, v8, v9
	v_mul_hi_u32 v14, v12, v6
	s_delay_alu instid0(VALU_DEP_3) | instskip(NEXT) | instid1(VALU_DEP_3)
	v_mad_u64_u32 v[0:1], null, v12, v13, 0
	v_mad_u64_u32 v[2:3], null, v8, v6, 0
	;; [unrolled: 1-line block ×3, first 2 shown]
	s_delay_alu instid0(VALU_DEP_3) | instskip(NEXT) | instid1(VALU_DEP_4)
	v_add_co_u32 v0, vcc_lo, v14, v0
	v_add_co_ci_u32_e32 v1, vcc_lo, 0, v1, vcc_lo
	s_delay_alu instid0(VALU_DEP_2) | instskip(NEXT) | instid1(VALU_DEP_2)
	v_add_co_u32 v0, vcc_lo, v0, v2
	v_add_co_ci_u32_e32 v0, vcc_lo, v1, v3, vcc_lo
	v_add_co_ci_u32_e32 v1, vcc_lo, 0, v7, vcc_lo
	s_delay_alu instid0(VALU_DEP_2) | instskip(NEXT) | instid1(VALU_DEP_2)
	v_add_co_u32 v2, vcc_lo, v0, v6
	v_add_co_ci_u32_e32 v3, vcc_lo, 0, v1, vcc_lo
	s_delay_alu instid0(VALU_DEP_2) | instskip(SKIP_1) | instid1(VALU_DEP_3)
	v_mul_lo_u32 v6, s13, v2
	v_mad_u64_u32 v[0:1], null, s12, v2, 0
	v_mul_lo_u32 v7, s12, v3
	s_delay_alu instid0(VALU_DEP_2) | instskip(NEXT) | instid1(VALU_DEP_2)
	v_sub_co_u32 v0, vcc_lo, v12, v0
	v_add3_u32 v1, v1, v7, v6
	s_delay_alu instid0(VALU_DEP_1) | instskip(NEXT) | instid1(VALU_DEP_1)
	v_sub_nc_u32_e32 v6, v8, v1
	v_subrev_co_ci_u32_e64 v6, s2, s13, v6, vcc_lo
	v_add_co_u32 v7, s2, v2, 2
	s_delay_alu instid0(VALU_DEP_1) | instskip(SKIP_3) | instid1(VALU_DEP_3)
	v_add_co_ci_u32_e64 v12, s2, 0, v3, s2
	v_sub_co_u32 v13, s2, v0, s12
	v_sub_co_ci_u32_e32 v1, vcc_lo, v8, v1, vcc_lo
	v_subrev_co_ci_u32_e64 v6, s2, 0, v6, s2
	v_cmp_le_u32_e32 vcc_lo, s12, v13
	s_delay_alu instid0(VALU_DEP_3) | instskip(SKIP_1) | instid1(VALU_DEP_4)
	v_cmp_eq_u32_e64 s2, s13, v1
	v_cndmask_b32_e64 v8, 0, -1, vcc_lo
	v_cmp_le_u32_e32 vcc_lo, s13, v6
	v_cndmask_b32_e64 v13, 0, -1, vcc_lo
	v_cmp_le_u32_e32 vcc_lo, s12, v0
	;; [unrolled: 2-line block ×3, first 2 shown]
	v_cndmask_b32_e64 v14, 0, -1, vcc_lo
	v_cmp_eq_u32_e32 vcc_lo, s13, v6
	s_delay_alu instid0(VALU_DEP_2) | instskip(SKIP_3) | instid1(VALU_DEP_3)
	v_cndmask_b32_e64 v0, v14, v0, s2
	v_cndmask_b32_e32 v6, v13, v8, vcc_lo
	v_add_co_u32 v8, vcc_lo, v2, 1
	v_add_co_ci_u32_e32 v13, vcc_lo, 0, v3, vcc_lo
	v_cmp_ne_u32_e32 vcc_lo, 0, v6
	s_delay_alu instid0(VALU_DEP_2) | instskip(SKIP_2) | instid1(VALU_DEP_3)
	v_dual_cndmask_b32 v1, v13, v12 :: v_dual_cndmask_b32 v6, v8, v7
	v_cmp_ne_u32_e32 vcc_lo, 0, v0
	v_xor_b32_e32 v0, s4, v9
	v_dual_cndmask_b32 v2, v2, v6 :: v_dual_cndmask_b32 v1, v3, v1
	s_delay_alu instid0(VALU_DEP_1) | instskip(NEXT) | instid1(VALU_DEP_2)
	v_xor_b32_e32 v2, v2, v0
	v_xor_b32_e32 v1, v1, v0
	s_delay_alu instid0(VALU_DEP_2) | instskip(NEXT) | instid1(VALU_DEP_2)
	v_sub_co_u32 v8, vcc_lo, v2, v0
	v_sub_co_ci_u32_e32 v9, vcc_lo, v1, v0, vcc_lo
.LBB6_7:
	s_and_not1_saveexec_b32 s2, s3
	s_cbranch_execz .LBB6_9
; %bb.8:
	v_cvt_f32_u32_e32 v0, s28
	s_sub_i32 s3, 0, s28
	v_mov_b32_e32 v9, 0
	s_delay_alu instid0(VALU_DEP_2) | instskip(SKIP_2) | instid1(VALU_DEP_1)
	v_rcp_iflag_f32_e32 v0, v0
	s_waitcnt_depctr 0xfff
	v_mul_f32_e32 v0, 0x4f7ffffe, v0
	v_cvt_u32_f32_e32 v0, v0
	s_delay_alu instid0(VALU_DEP_1) | instskip(NEXT) | instid1(VALU_DEP_1)
	v_mul_lo_u32 v1, s3, v0
	v_mul_hi_u32 v1, v0, v1
	s_delay_alu instid0(VALU_DEP_1) | instskip(NEXT) | instid1(VALU_DEP_1)
	v_add_nc_u32_e32 v0, v0, v1
	v_mul_hi_u32 v0, v10, v0
	s_delay_alu instid0(VALU_DEP_1) | instskip(SKIP_1) | instid1(VALU_DEP_2)
	v_mul_lo_u32 v1, v0, s28
	v_add_nc_u32_e32 v2, 1, v0
	v_sub_nc_u32_e32 v1, v10, v1
	s_delay_alu instid0(VALU_DEP_1) | instskip(SKIP_1) | instid1(VALU_DEP_2)
	v_subrev_nc_u32_e32 v3, s28, v1
	v_cmp_le_u32_e32 vcc_lo, s28, v1
	v_dual_cndmask_b32 v1, v1, v3 :: v_dual_cndmask_b32 v0, v0, v2
	s_delay_alu instid0(VALU_DEP_1) | instskip(NEXT) | instid1(VALU_DEP_2)
	v_cmp_le_u32_e32 vcc_lo, s28, v1
	v_add_nc_u32_e32 v2, 1, v0
	s_delay_alu instid0(VALU_DEP_1)
	v_cndmask_b32_e32 v8, v0, v2, vcc_lo
.LBB6_9:
	s_or_b32 exec_lo, exec_lo, s2
	s_delay_alu instid0(VALU_DEP_1) | instskip(NEXT) | instid1(VALU_DEP_2)
	v_mul_lo_u32 v2, v9, s28
	v_mul_lo_u32 v3, v8, s29
	v_mad_u64_u32 v[0:1], null, v8, s28, 0
	s_delay_alu instid0(VALU_DEP_1) | instskip(NEXT) | instid1(VALU_DEP_2)
	v_add3_u32 v3, v1, v3, v2
	v_mul_lo_u32 v6, v0, s31
	v_mad_u64_u32 v[1:2], null, v0, s30, 0
	v_sub_co_u32 v12, vcc_lo, v10, v0
	s_delay_alu instid0(VALU_DEP_4) | instskip(SKIP_1) | instid1(VALU_DEP_2)
	v_mul_lo_u32 v7, v3, s30
	v_sub_co_ci_u32_e32 v13, vcc_lo, v11, v3, vcc_lo
	v_add3_u32 v2, v2, v6, v7
	s_delay_alu instid0(VALU_DEP_1) | instskip(NEXT) | instid1(VALU_DEP_3)
	v_lshlrev_b64 v[2:3], 3, v[1:2]
	v_lshlrev_b64 v[0:1], 3, v[12:13]
	s_delay_alu instid0(VALU_DEP_2) | instskip(NEXT) | instid1(VALU_DEP_3)
	v_add_co_u32 v2, vcc_lo, s24, v2
	v_add_co_ci_u32_e32 v3, vcc_lo, s25, v3, vcc_lo
	s_delay_alu instid0(VALU_DEP_2) | instskip(NEXT) | instid1(VALU_DEP_2)
	v_add_co_u32 v2, vcc_lo, v2, v0
	v_add_co_ci_u32_e32 v3, vcc_lo, v3, v1, vcc_lo
	global_load_b64 v[14:15], v[2:3], off
	s_waitcnt vmcnt(0)
	v_cmp_ne_u64_e32 vcc_lo, 0, v[14:15]
	s_and_b32 exec_lo, exec_lo, vcc_lo
	s_cbranch_execz .LBB6_75
; %bb.10:
	s_load_b256 s[36:43], s[0:1], 0x70
	s_add_u32 s2, s28, 1
	s_addc_u32 s3, s29, 0
	v_mul_lo_u32 v11, v11, s6
	v_mul_lo_u32 v18, v10, s7
	s_load_b32 s12, s[0:1], 0x0
	s_waitcnt lgkmcnt(0)
	s_mul_i32 s4, s2, s41
	s_mul_hi_u32 s5, s2, s40
	s_mul_i32 s3, s3, s40
	s_add_i32 s4, s5, s4
	s_mul_i32 s2, s2, s40
	s_add_i32 s4, s4, s3
	v_mul_lo_u32 v6, s2, v9
	v_mad_u64_u32 v[2:3], null, s2, v8, 0
	v_mul_lo_u32 v7, s4, v8
	v_mad_u64_u32 v[16:17], null, v8, s38, v[12:13]
	v_mul_lo_u32 v12, v8, s39
	v_mul_lo_u32 v13, v9, s38
	s_and_b32 s2, s12, -3
	s_delay_alu instid0(SALU_CYCLE_1) | instskip(NEXT) | instid1(VALU_DEP_4)
	s_cmp_lg_u32 s2, 0
	v_add3_u32 v3, v3, v6, v7
	v_mad_u64_u32 v[6:7], null, v10, s6, 0
	s_delay_alu instid0(VALU_DEP_3) | instskip(NEXT) | instid1(VALU_DEP_3)
	v_add3_u32 v17, v13, v17, v12
	v_lshlrev_b64 v[2:3], 3, v[2:3]
	s_delay_alu instid0(VALU_DEP_3) | instskip(NEXT) | instid1(VALU_DEP_3)
	v_add3_u32 v7, v7, v18, v11
	v_mul_lo_u32 v17, v17, s36
	s_delay_alu instid0(VALU_DEP_3) | instskip(NEXT) | instid1(VALU_DEP_4)
	v_add_co_u32 v2, vcc_lo, s26, v2
	v_add_co_ci_u32_e32 v3, vcc_lo, s27, v3, vcc_lo
	s_delay_alu instid0(VALU_DEP_2) | instskip(NEXT) | instid1(VALU_DEP_2)
	v_add_co_u32 v0, vcc_lo, v2, v0
	v_add_co_ci_u32_e32 v1, vcc_lo, v3, v1, vcc_lo
	v_sub_co_u32 v10, vcc_lo, v4, v6
	v_sub_co_ci_u32_e32 v11, vcc_lo, v5, v7, vcc_lo
	global_load_b128 v[0:3], v[0:1], off
	v_mad_u64_u32 v[12:13], null, v16, s36, v[10:11]
	v_mul_lo_u32 v16, v16, s37
	s_delay_alu instid0(VALU_DEP_1)
	v_add3_u32 v13, v17, v13, v16
	s_cbranch_scc0 .LBB6_25
; %bb.11:
	s_cmp_lt_i32 s12, 3
	s_mov_b32 s2, -1
	s_cbranch_scc1 .LBB6_39
; %bb.12:
	s_cmp_lt_i32 s12, 4
	s_cbranch_scc1 .LBB6_28
; %bb.13:
	s_cmp_eq_u32 s12, 4
	s_cbranch_scc0 .LBB6_27
; %bb.14:
	s_mov_b32 s13, exec_lo
	s_waitcnt vmcnt(0)
	v_cmpx_gt_i64_e64 v[2:3], v[0:1]
	s_cbranch_execz .LBB6_26
; %bb.15:
	v_lshlrev_b64 v[16:17], 1, v[12:13]
	v_mad_u64_u32 v[20:21], null, v8, s10, 0
	v_lshlrev_b64 v[24:25], 1, v[4:5]
	s_load_b32 s1, s[0:1], 0x48
	s_lshl_b64 s[2:3], s[8:9], 1
	s_delay_alu instid0(VALU_DEP_3)
	v_add_co_u32 v18, vcc_lo, s20, v16
	v_add_co_ci_u32_e32 v19, vcc_lo, s21, v17, vcc_lo
	v_add_co_u32 v16, vcc_lo, s18, v16
	v_add_co_ci_u32_e32 v17, vcc_lo, s19, v17, vcc_lo
	v_mul_lo_u32 v28, v20, s9
	global_load_u16 v26, v[18:19], off
	global_load_u16 v27, v[16:17], off
	v_mul_lo_u32 v18, v9, s10
	v_mul_lo_u32 v19, v8, s11
	s_mov_b64 s[4:5], 0
	s_mov_b32 s14, 0
	s_delay_alu instid0(VALU_DEP_1) | instskip(SKIP_1) | instid1(VALU_DEP_2)
	v_add3_u32 v21, v21, v19, v18
	v_lshlrev_b64 v[18:19], 1, v[0:1]
	v_lshlrev_b64 v[22:23], 1, v[20:21]
	v_mul_lo_u32 v29, v21, s8
	s_delay_alu instid0(VALU_DEP_2) | instskip(NEXT) | instid1(VALU_DEP_3)
	v_add_co_u32 v22, vcc_lo, v22, v18
	v_add_co_ci_u32_e32 v23, vcc_lo, v23, v19, vcc_lo
	v_mad_u64_u32 v[18:19], null, v20, s8, v[10:11]
	s_delay_alu instid0(VALU_DEP_3) | instskip(NEXT) | instid1(VALU_DEP_3)
	v_mul_lo_u32 v31, s9, v22
	v_mul_lo_u32 v30, s8, v23
	v_mad_u64_u32 v[20:21], null, s8, v22, v[24:25]
	v_lshlrev_b64 v[22:23], 1, v[6:7]
	v_add3_u32 v19, v29, v19, v28
	s_delay_alu instid0(VALU_DEP_3) | instskip(NEXT) | instid1(VALU_DEP_3)
	v_add3_u32 v21, v31, v21, v30
	v_sub_co_u32 v20, vcc_lo, v20, v22
	s_delay_alu instid0(VALU_DEP_2) | instskip(NEXT) | instid1(VALU_DEP_2)
	v_sub_co_ci_u32_e32 v21, vcc_lo, v21, v23, vcc_lo
	v_add_co_u32 v20, vcc_lo, s22, v20
	s_delay_alu instid0(VALU_DEP_2) | instskip(SKIP_4) | instid1(VALU_DEP_1)
	v_add_co_ci_u32_e32 v21, vcc_lo, s23, v21, vcc_lo
	s_waitcnt vmcnt(1)
	v_lshlrev_b32_e32 v26, 16, v26
	s_waitcnt vmcnt(0)
	v_lshlrev_b32_e32 v27, 16, v27
	v_mul_f32_e32 v26, v27, v26
	s_delay_alu instid0(VALU_DEP_1) | instskip(SKIP_1) | instid1(VALU_DEP_2)
	v_bfe_u32 v24, v26, 16, 1
	v_cmp_o_f32_e32 vcc_lo, v26, v26
	v_add3_u32 v24, v26, v24, 0x7fff
	s_delay_alu instid0(VALU_DEP_1) | instskip(NEXT) | instid1(VALU_DEP_1)
	v_and_b32_e32 v22, 0xffff0000, v24
	v_dual_cndmask_b32 v30, 0x7fc00000, v22 :: v_dual_mov_b32 v23, v1
	v_mov_b32_e32 v22, v0
	s_branch .LBB6_18
.LBB6_16:                               ;   in Loop: Header=BB6_18 Depth=1
	s_set_inst_prefetch_distance 0x2
	s_or_b32 exec_lo, exec_lo, s24
	global_load_u16 v26, v[16:17], off
	v_lshlrev_b32_e32 v27, 16, v31
	s_waitcnt vmcnt(0)
	v_lshlrev_b32_e32 v26, 16, v26
	s_delay_alu instid0(VALU_DEP_1)
	v_mul_f32_e32 v26, v27, v26
.LBB6_17:                               ;   in Loop: Header=BB6_18 Depth=1
	s_or_b32 exec_lo, exec_lo, s15
	s_delay_alu instid0(VALU_DEP_1) | instskip(SKIP_2) | instid1(VALU_DEP_3)
	v_bfe_u32 v27, v26, 16, 1
	v_add_co_u32 v22, vcc_lo, v22, 1
	v_add_co_ci_u32_e32 v23, vcc_lo, 0, v23, vcc_lo
	v_add3_u32 v27, v26, v27, 0x7fff
	v_cmp_o_f32_e64 s0, v26, v26
	s_add_u32 s4, s4, 1
	s_delay_alu instid0(VALU_DEP_3) | instskip(SKIP_3) | instid1(VALU_DEP_1)
	v_cmp_ge_i64_e32 vcc_lo, v[22:23], v[2:3]
	s_addc_u32 s5, s5, 0
	v_lshrrev_b32_e32 v27, 16, v27
	s_or_b32 s14, vcc_lo, s14
	v_cndmask_b32_e64 v26, 0x7fc0, v27, s0
	v_add_co_u32 v24, s0, s16, v24
	s_delay_alu instid0(VALU_DEP_1)
	v_add_co_ci_u32_e64 v25, s0, s17, v25, s0
	global_store_b16 v[24:25], v26, off
	s_and_not1_b32 exec_lo, exec_lo, s14
	s_cbranch_execz .LBB6_26
.LBB6_18:                               ; =>This Loop Header: Depth=1
                                        ;     Child Loop BB6_23 Depth 2
	s_delay_alu instid0(VALU_DEP_1) | instskip(SKIP_3) | instid1(VALU_DEP_1)
	v_mad_u64_u32 v[24:25], null, v22, s8, v[18:19]
	v_mul_lo_u32 v26, v22, s9
	v_mul_lo_u32 v27, v23, s8
	s_mov_b32 s0, exec_lo
	v_add3_u32 v25, v27, v25, v26
	s_delay_alu instid0(VALU_DEP_1) | instskip(NEXT) | instid1(VALU_DEP_1)
	v_lshlrev_b64 v[24:25], 1, v[24:25]
	v_add_co_u32 v26, vcc_lo, s22, v24
	s_delay_alu instid0(VALU_DEP_2) | instskip(SKIP_3) | instid1(VALU_DEP_1)
	v_add_co_ci_u32_e32 v27, vcc_lo, s23, v25, vcc_lo
	global_load_u16 v26, v[26:27], off
	s_waitcnt vmcnt(0)
	v_lshlrev_b32_e32 v27, 16, v26
                                        ; implicit-def: $vgpr26
	v_cmpx_lg_f32_e32 0, v27
	s_xor_b32 s0, exec_lo, s0
; %bb.19:                               ;   in Loop: Header=BB6_18 Depth=1
	v_div_scale_f32 v26, null, v27, v27, v30
	s_delay_alu instid0(VALU_DEP_1) | instskip(SKIP_2) | instid1(VALU_DEP_1)
	v_rcp_f32_e32 v28, v26
	s_waitcnt_depctr 0xfff
	v_fma_f32 v29, -v26, v28, 1.0
	v_fmac_f32_e32 v28, v29, v28
	v_div_scale_f32 v29, vcc_lo, v30, v27, v30
	s_delay_alu instid0(VALU_DEP_1) | instskip(NEXT) | instid1(VALU_DEP_1)
	v_mul_f32_e32 v31, v29, v28
	v_fma_f32 v32, -v26, v31, v29
	s_delay_alu instid0(VALU_DEP_1) | instskip(NEXT) | instid1(VALU_DEP_1)
	v_fmac_f32_e32 v31, v32, v28
	v_fma_f32 v26, -v26, v31, v29
	s_delay_alu instid0(VALU_DEP_1) | instskip(NEXT) | instid1(VALU_DEP_1)
	v_div_fmas_f32 v26, v26, v28, v31
	v_div_fixup_f32 v26, v26, v27, v30
; %bb.20:                               ;   in Loop: Header=BB6_18 Depth=1
	s_and_not1_saveexec_b32 s15, s0
	s_cbranch_execz .LBB6_17
; %bb.21:                               ;   in Loop: Header=BB6_18 Depth=1
	v_mov_b32_e32 v27, v21
	v_dual_mov_b32 v29, v1 :: v_dual_mov_b32 v28, v0
	s_waitcnt lgkmcnt(0)
	v_dual_mov_b32 v31, s1 :: v_dual_mov_b32 v26, v20
	s_mov_b32 s24, 0
	s_mov_b64 s[6:7], s[4:5]
	s_set_inst_prefetch_distance 0x1
	s_branch .LBB6_23
	.p2align	6
.LBB6_22:                               ;   in Loop: Header=BB6_23 Depth=2
	v_add_co_u32 v28, vcc_lo, v28, 1
	v_add_co_ci_u32_e32 v29, vcc_lo, 0, v29, vcc_lo
	v_add_co_u32 v26, s0, v26, s2
	s_delay_alu instid0(VALU_DEP_1) | instskip(NEXT) | instid1(VALU_DEP_3)
	v_add_co_ci_u32_e64 v27, s0, s3, v27, s0
	v_cmp_ge_i64_e32 vcc_lo, v[28:29], v[2:3]
	s_add_u32 s6, s6, -1
	s_addc_u32 s7, s7, -1
	s_or_b32 s24, vcc_lo, s24
	s_delay_alu instid0(SALU_CYCLE_1)
	s_and_not1_b32 exec_lo, exec_lo, s24
	s_cbranch_execz .LBB6_16
.LBB6_23:                               ;   Parent Loop BB6_18 Depth=1
                                        ; =>  This Inner Loop Header: Depth=2
	s_cmp_eq_u64 s[6:7], 0
	s_cbranch_scc1 .LBB6_22
; %bb.24:                               ;   in Loop: Header=BB6_23 Depth=2
	global_load_u16 v32, v[26:27], off
	v_lshlrev_b32_e32 v31, 16, v31
	s_waitcnt vmcnt(0)
	v_lshlrev_b32_e32 v32, 16, v32
	s_delay_alu instid0(VALU_DEP_1) | instskip(NEXT) | instid1(VALU_DEP_1)
	v_mul_f32_e32 v31, v31, v32
	v_bfe_u32 v32, v31, 16, 1
	v_cmp_o_f32_e32 vcc_lo, v31, v31
	s_delay_alu instid0(VALU_DEP_2) | instskip(NEXT) | instid1(VALU_DEP_1)
	v_add3_u32 v32, v31, v32, 0x7fff
	v_lshrrev_b32_e32 v32, 16, v32
	s_delay_alu instid0(VALU_DEP_1)
	v_cndmask_b32_e32 v31, 0x7fc0, v32, vcc_lo
	s_branch .LBB6_22
.LBB6_25:
	s_cbranch_execnz .LBB6_51
	s_branch .LBB6_75
.LBB6_26:
	s_or_b32 exec_lo, exec_lo, s13
.LBB6_27:
	s_mov_b32 s2, 0
.LBB6_28:
	s_delay_alu instid0(SALU_CYCLE_1)
	s_and_not1_b32 vcc_lo, exec_lo, s2
	s_cbranch_vccnz .LBB6_38
; %bb.29:
	s_waitcnt lgkmcnt(0)
	s_mov_b32 s1, exec_lo
	s_waitcnt vmcnt(0)
	v_cmpx_gt_i64_e64 v[2:3], v[0:1]
	s_cbranch_execz .LBB6_37
; %bb.30:
	v_lshlrev_b64 v[16:17], 1, v[12:13]
	v_mul_lo_u32 v20, v9, s10
	v_mul_lo_u32 v21, v8, s11
	s_cmp_eq_u64 s[8:9], 1
	s_cselect_b32 s0, -1, 0
	s_delay_alu instid0(VALU_DEP_3)
	v_add_co_u32 v16, vcc_lo, s18, v16
	v_add_co_ci_u32_e32 v17, vcc_lo, s19, v17, vcc_lo
	v_sub_co_u32 v18, vcc_lo, v2, v0
	v_sub_co_ci_u32_e32 v19, vcc_lo, v3, v1, vcc_lo
	global_load_u16 v26, v[16:17], off
	v_mad_u64_u32 v[16:17], null, v8, s10, 0
	v_cmp_lt_u64_e32 vcc_lo, 1, v[18:19]
	s_delay_alu instid0(VALU_DEP_2)
	v_add3_u32 v17, v17, v21, v20
	v_dual_mov_b32 v21, v1 :: v_dual_mov_b32 v20, v0
	s_and_b32 s3, vcc_lo, s0
	s_mov_b32 s0, -1
	s_and_saveexec_b32 s2, s3
	s_cbranch_execz .LBB6_34
; %bb.31:
	v_mul_lo_u32 v22, v17, s8
	v_mul_lo_u32 v23, v16, s9
	v_mad_u64_u32 v[20:21], null, v16, s8, 0
	v_lshlrev_b64 v[24:25], 1, v[10:11]
	s_mov_b32 s3, 0
	s_delay_alu instid0(VALU_DEP_2) | instskip(NEXT) | instid1(VALU_DEP_1)
	v_add3_u32 v21, v21, v23, v22
	v_lshlrev_b64 v[22:23], 1, v[20:21]
	v_dual_mov_b32 v21, v19 :: v_dual_and_b32 v20, -2, v18
	s_delay_alu instid0(VALU_DEP_2) | instskip(NEXT) | instid1(VALU_DEP_3)
	v_add_co_u32 v27, vcc_lo, s16, v22
	v_add_co_ci_u32_e32 v28, vcc_lo, s17, v23, vcc_lo
	v_lshlrev_b64 v[22:23], 1, v[0:1]
	s_delay_alu instid0(VALU_DEP_3) | instskip(NEXT) | instid1(VALU_DEP_3)
	v_add_co_u32 v24, vcc_lo, v27, v24
	v_add_co_ci_u32_e32 v25, vcc_lo, v28, v25, vcc_lo
	s_waitcnt vmcnt(0)
	v_perm_b32 v27, v26, v26, 0x5040100
	s_delay_alu instid0(VALU_DEP_3) | instskip(NEXT) | instid1(VALU_DEP_3)
	v_add_co_u32 v22, vcc_lo, v24, v22
	v_add_co_ci_u32_e32 v23, vcc_lo, v25, v23, vcc_lo
	v_dual_mov_b32 v25, v21 :: v_dual_mov_b32 v24, v20
.LBB6_32:                               ; =>This Inner Loop Header: Depth=1
	s_delay_alu instid0(VALU_DEP_1) | instskip(NEXT) | instid1(VALU_DEP_2)
	v_add_co_u32 v24, vcc_lo, v24, -2
	v_add_co_ci_u32_e32 v25, vcc_lo, -1, v25, vcc_lo
	global_store_b32 v[22:23], v27, off
	v_add_co_u32 v22, s0, v22, 4
	v_cmp_eq_u64_e32 vcc_lo, 0, v[24:25]
	v_add_co_ci_u32_e64 v23, s0, 0, v23, s0
	s_or_b32 s3, vcc_lo, s3
	s_delay_alu instid0(SALU_CYCLE_1)
	s_and_not1_b32 exec_lo, exec_lo, s3
	s_cbranch_execnz .LBB6_32
; %bb.33:
	s_or_b32 exec_lo, exec_lo, s3
	v_cmp_ne_u64_e32 vcc_lo, v[18:19], v[20:21]
	v_add_co_u32 v20, s0, v0, v20
	s_delay_alu instid0(VALU_DEP_1)
	v_add_co_ci_u32_e64 v21, s0, v1, v21, s0
	s_or_not1_b32 s0, vcc_lo, exec_lo
.LBB6_34:
	s_or_b32 exec_lo, exec_lo, s2
	s_delay_alu instid0(SALU_CYCLE_1)
	s_and_b32 exec_lo, exec_lo, s0
	s_cbranch_execz .LBB6_37
; %bb.35:
	v_lshlrev_b64 v[16:17], 1, v[16:17]
	v_lshlrev_b64 v[18:19], 1, v[20:21]
	s_lshl_b64 s[2:3], s[8:9], 1
	s_mov_b32 s4, 0
	s_delay_alu instid0(VALU_DEP_1) | instskip(NEXT) | instid1(VALU_DEP_2)
	v_add_co_u32 v22, vcc_lo, v16, v18
	v_add_co_ci_u32_e32 v18, vcc_lo, v17, v19, vcc_lo
	v_lshlrev_b64 v[16:17], 1, v[4:5]
	s_delay_alu instid0(VALU_DEP_3) | instskip(NEXT) | instid1(VALU_DEP_3)
	v_mul_lo_u32 v24, s9, v22
	v_mul_lo_u32 v23, s8, v18
	s_delay_alu instid0(VALU_DEP_3) | instskip(SKIP_1) | instid1(VALU_DEP_2)
	v_mad_u64_u32 v[18:19], null, s8, v22, v[16:17]
	v_lshlrev_b64 v[16:17], 1, v[6:7]
	v_add3_u32 v19, v24, v19, v23
	s_delay_alu instid0(VALU_DEP_2) | instskip(NEXT) | instid1(VALU_DEP_2)
	v_sub_co_u32 v16, vcc_lo, v18, v16
	v_sub_co_ci_u32_e32 v17, vcc_lo, v19, v17, vcc_lo
	s_delay_alu instid0(VALU_DEP_2) | instskip(NEXT) | instid1(VALU_DEP_2)
	v_add_co_u32 v16, vcc_lo, s16, v16
	v_add_co_ci_u32_e32 v17, vcc_lo, s17, v17, vcc_lo
.LBB6_36:                               ; =>This Inner Loop Header: Depth=1
	v_add_co_u32 v20, vcc_lo, v20, 1
	v_add_co_ci_u32_e32 v21, vcc_lo, 0, v21, vcc_lo
	s_waitcnt vmcnt(0)
	global_store_b16 v[16:17], v26, off
	v_add_co_u32 v16, s0, v16, s2
	v_cmp_ge_i64_e32 vcc_lo, v[20:21], v[2:3]
	v_add_co_ci_u32_e64 v17, s0, s3, v17, s0
	s_or_b32 s4, vcc_lo, s4
	s_delay_alu instid0(SALU_CYCLE_1)
	s_and_not1_b32 exec_lo, exec_lo, s4
	s_cbranch_execnz .LBB6_36
.LBB6_37:
	s_or_b32 exec_lo, exec_lo, s1
.LBB6_38:
	s_mov_b32 s2, 0
.LBB6_39:
	s_delay_alu instid0(SALU_CYCLE_1)
	s_and_not1_b32 vcc_lo, exec_lo, s2
	s_cbranch_vccnz .LBB6_50
; %bb.40:
	s_cmp_lg_u32 s12, 1
	s_cbranch_scc1 .LBB6_50
; %bb.41:
	s_waitcnt lgkmcnt(0)
	s_mov_b32 s1, exec_lo
	s_waitcnt vmcnt(0)
	v_cmpx_gt_i64_e64 v[2:3], v[0:1]
	s_cbranch_execz .LBB6_49
; %bb.42:
	v_lshlrev_b64 v[16:17], 1, v[12:13]
	v_cls_i32_e32 v18, v15
	s_cmp_eq_u64 s[8:9], 1
	s_cselect_b32 s2, -1, 0
	s_delay_alu instid0(VALU_DEP_1) | instskip(NEXT) | instid1(VALU_DEP_3)
	v_add_nc_u32_e32 v18, -1, v18
	v_add_co_u32 v16, vcc_lo, s18, v16
	v_add_co_ci_u32_e32 v17, vcc_lo, s19, v17, vcc_lo
	global_load_u16 v16, v[16:17], off
	v_xor_b32_e32 v17, v14, v15
	s_delay_alu instid0(VALU_DEP_1) | instskip(NEXT) | instid1(VALU_DEP_1)
	v_ashrrev_i32_e32 v17, 31, v17
	v_add_nc_u32_e32 v17, 32, v17
	s_delay_alu instid0(VALU_DEP_1) | instskip(NEXT) | instid1(VALU_DEP_1)
	v_min_u32_e32 v17, v18, v17
	v_lshlrev_b64 v[14:15], v17, v[14:15]
	s_delay_alu instid0(VALU_DEP_1) | instskip(NEXT) | instid1(VALU_DEP_1)
	v_min_u32_e32 v14, 1, v14
	v_or_b32_e32 v14, v15, v14
	v_sub_nc_u32_e32 v15, 32, v17
	s_delay_alu instid0(VALU_DEP_2) | instskip(NEXT) | instid1(VALU_DEP_1)
	v_cvt_f32_i32_e32 v14, v14
	v_ldexp_f32 v14, v14, v15
	s_delay_alu instid0(VALU_DEP_1) | instskip(NEXT) | instid1(VALU_DEP_1)
	v_bfe_u32 v15, v14, 16, 1
	v_add3_u32 v14, v14, v15, 0x7fff
	s_delay_alu instid0(VALU_DEP_1) | instskip(SKIP_2) | instid1(VALU_DEP_1)
	v_and_b32_e32 v14, 0xffff0000, v14
	s_waitcnt vmcnt(0)
	v_lshlrev_b32_e32 v15, 16, v16
	v_div_scale_f32 v16, null, v14, v14, v15
	s_delay_alu instid0(VALU_DEP_1) | instskip(SKIP_2) | instid1(VALU_DEP_1)
	v_rcp_f32_e32 v17, v16
	s_waitcnt_depctr 0xfff
	v_fma_f32 v18, -v16, v17, 1.0
	v_fmac_f32_e32 v17, v18, v17
	v_div_scale_f32 v19, vcc_lo, v15, v14, v15
	s_delay_alu instid0(VALU_DEP_1) | instskip(NEXT) | instid1(VALU_DEP_1)
	v_mul_f32_e32 v18, v19, v17
	v_fma_f32 v20, -v16, v18, v19
	s_delay_alu instid0(VALU_DEP_1) | instskip(SKIP_1) | instid1(VALU_DEP_2)
	v_fmac_f32_e32 v18, v20, v17
	v_mul_lo_u32 v20, v8, s11
	v_fma_f32 v16, -v16, v18, v19
	v_mul_lo_u32 v19, v9, s10
	s_delay_alu instid0(VALU_DEP_2) | instskip(NEXT) | instid1(VALU_DEP_1)
	v_div_fmas_f32 v16, v16, v17, v18
	v_div_fixup_f32 v18, v16, v14, v15
	v_mad_u64_u32 v[14:15], null, v8, s10, 0
	s_delay_alu instid0(VALU_DEP_2) | instskip(SKIP_1) | instid1(VALU_DEP_3)
	v_bfe_u32 v16, v18, 16, 1
	v_cmp_o_f32_e64 s0, v18, v18
	v_add3_u32 v15, v15, v20, v19
	s_delay_alu instid0(VALU_DEP_3) | instskip(SKIP_2) | instid1(VALU_DEP_3)
	v_add3_u32 v21, v18, v16, 0x7fff
	v_sub_co_u32 v16, vcc_lo, v2, v0
	v_sub_co_ci_u32_e32 v17, vcc_lo, v3, v1, vcc_lo
	v_lshrrev_b32_e32 v21, 16, v21
	v_dual_mov_b32 v19, v1 :: v_dual_mov_b32 v18, v0
	s_delay_alu instid0(VALU_DEP_3) | instskip(NEXT) | instid1(VALU_DEP_3)
	v_cmp_lt_u64_e32 vcc_lo, 1, v[16:17]
	v_cndmask_b32_e64 v24, 0x7fc0, v21, s0
	s_mov_b32 s0, -1
	s_and_b32 s3, vcc_lo, s2
	s_delay_alu instid0(SALU_CYCLE_1)
	s_and_saveexec_b32 s2, s3
	s_cbranch_execz .LBB6_46
; %bb.43:
	v_mul_lo_u32 v20, v15, s8
	v_mul_lo_u32 v21, v14, s9
	v_mad_u64_u32 v[18:19], null, v14, s8, 0
	v_lshlrev_b64 v[22:23], 1, v[10:11]
	s_mov_b32 s3, 0
	s_delay_alu instid0(VALU_DEP_2) | instskip(NEXT) | instid1(VALU_DEP_1)
	v_add3_u32 v19, v19, v21, v20
	v_lshlrev_b64 v[20:21], 1, v[18:19]
	v_dual_mov_b32 v19, v17 :: v_dual_and_b32 v18, -2, v16
	s_delay_alu instid0(VALU_DEP_2) | instskip(NEXT) | instid1(VALU_DEP_3)
	v_add_co_u32 v25, vcc_lo, s16, v20
	v_add_co_ci_u32_e32 v26, vcc_lo, s17, v21, vcc_lo
	v_lshlrev_b64 v[20:21], 1, v[0:1]
	s_delay_alu instid0(VALU_DEP_3) | instskip(NEXT) | instid1(VALU_DEP_3)
	v_add_co_u32 v22, vcc_lo, v25, v22
	v_add_co_ci_u32_e32 v23, vcc_lo, v26, v23, vcc_lo
	v_perm_b32 v25, v24, v24, 0x5040100
	s_delay_alu instid0(VALU_DEP_3) | instskip(NEXT) | instid1(VALU_DEP_3)
	v_add_co_u32 v20, vcc_lo, v22, v20
	v_add_co_ci_u32_e32 v21, vcc_lo, v23, v21, vcc_lo
	v_dual_mov_b32 v23, v19 :: v_dual_mov_b32 v22, v18
.LBB6_44:                               ; =>This Inner Loop Header: Depth=1
	s_delay_alu instid0(VALU_DEP_1) | instskip(NEXT) | instid1(VALU_DEP_2)
	v_add_co_u32 v22, vcc_lo, v22, -2
	v_add_co_ci_u32_e32 v23, vcc_lo, -1, v23, vcc_lo
	global_store_b32 v[20:21], v25, off
	v_add_co_u32 v20, s0, v20, 4
	v_cmp_eq_u64_e32 vcc_lo, 0, v[22:23]
	v_add_co_ci_u32_e64 v21, s0, 0, v21, s0
	s_or_b32 s3, vcc_lo, s3
	s_delay_alu instid0(SALU_CYCLE_1)
	s_and_not1_b32 exec_lo, exec_lo, s3
	s_cbranch_execnz .LBB6_44
; %bb.45:
	s_or_b32 exec_lo, exec_lo, s3
	v_cmp_ne_u64_e32 vcc_lo, v[16:17], v[18:19]
	v_add_co_u32 v18, s0, v0, v18
	s_delay_alu instid0(VALU_DEP_1)
	v_add_co_ci_u32_e64 v19, s0, v1, v19, s0
	s_or_not1_b32 s0, vcc_lo, exec_lo
.LBB6_46:
	s_or_b32 exec_lo, exec_lo, s2
	s_delay_alu instid0(SALU_CYCLE_1)
	s_and_b32 exec_lo, exec_lo, s0
	s_cbranch_execz .LBB6_49
; %bb.47:
	v_lshlrev_b64 v[14:15], 1, v[14:15]
	v_lshlrev_b64 v[16:17], 1, v[18:19]
	s_lshl_b64 s[2:3], s[8:9], 1
	s_mov_b32 s4, 0
	s_delay_alu instid0(VALU_DEP_1) | instskip(NEXT) | instid1(VALU_DEP_2)
	v_add_co_u32 v20, vcc_lo, v14, v16
	v_add_co_ci_u32_e32 v16, vcc_lo, v15, v17, vcc_lo
	v_lshlrev_b64 v[14:15], 1, v[4:5]
	s_delay_alu instid0(VALU_DEP_3) | instskip(NEXT) | instid1(VALU_DEP_3)
	v_mul_lo_u32 v22, s9, v20
	v_mul_lo_u32 v21, s8, v16
	s_delay_alu instid0(VALU_DEP_3) | instskip(SKIP_1) | instid1(VALU_DEP_2)
	v_mad_u64_u32 v[16:17], null, s8, v20, v[14:15]
	v_lshlrev_b64 v[14:15], 1, v[6:7]
	v_add3_u32 v17, v22, v17, v21
	s_delay_alu instid0(VALU_DEP_2) | instskip(NEXT) | instid1(VALU_DEP_2)
	v_sub_co_u32 v14, vcc_lo, v16, v14
	v_sub_co_ci_u32_e32 v15, vcc_lo, v17, v15, vcc_lo
	s_delay_alu instid0(VALU_DEP_2) | instskip(NEXT) | instid1(VALU_DEP_2)
	v_add_co_u32 v14, vcc_lo, s16, v14
	v_add_co_ci_u32_e32 v15, vcc_lo, s17, v15, vcc_lo
.LBB6_48:                               ; =>This Inner Loop Header: Depth=1
	v_add_co_u32 v18, vcc_lo, v18, 1
	v_add_co_ci_u32_e32 v19, vcc_lo, 0, v19, vcc_lo
	global_store_b16 v[14:15], v24, off
	v_add_co_u32 v14, s0, v14, s2
	v_cmp_ge_i64_e32 vcc_lo, v[18:19], v[2:3]
	v_add_co_ci_u32_e64 v15, s0, s3, v15, s0
	s_or_b32 s4, vcc_lo, s4
	s_delay_alu instid0(SALU_CYCLE_1)
	s_and_not1_b32 exec_lo, exec_lo, s4
	s_cbranch_execnz .LBB6_48
.LBB6_49:
	s_or_b32 exec_lo, exec_lo, s1
.LBB6_50:
	s_branch .LBB6_75
.LBB6_51:
	s_waitcnt vmcnt(0)
	v_cmp_le_i64_e32 vcc_lo, v[2:3], v[0:1]
	v_mov_b32_e32 v14, 0
	v_mov_b32_e32 v15, 0
	s_mov_b32 s4, exec_lo
	v_cmpx_gt_i64_e64 v[2:3], v[0:1]
	s_cbranch_execz .LBB6_59
; %bb.52:
	v_mad_u64_u32 v[14:15], null, v8, s10, v[0:1]
	v_mul_lo_u32 v16, v8, s11
	v_mul_lo_u32 v17, v9, s10
	s_lshl_b64 s[2:3], s[8:9], 1
	s_mov_b32 s5, 0
	v_dual_mov_b32 v21, v1 :: v_dual_mov_b32 v20, v0
	s_delay_alu instid0(VALU_DEP_4) | instskip(NEXT) | instid1(VALU_DEP_3)
	v_mul_lo_u32 v19, s9, v14
	v_add3_u32 v17, v17, v15, v16
	v_mad_u64_u32 v[15:16], null, s8, v14, v[4:5]
	s_delay_alu instid0(VALU_DEP_2) | instskip(SKIP_1) | instid1(VALU_DEP_1)
	v_mul_lo_u32 v14, s8, v17
	v_lshlrev_b64 v[17:18], 1, v[12:13]
	v_add_co_u32 v12, s0, s20, v17
	s_delay_alu instid0(VALU_DEP_3) | instskip(NEXT) | instid1(VALU_DEP_3)
	v_add3_u32 v16, v19, v16, v14
	v_add_co_ci_u32_e64 v13, s0, s21, v18, s0
	v_sub_co_u32 v14, s0, v15, v6
	s_delay_alu instid0(VALU_DEP_1) | instskip(SKIP_1) | instid1(VALU_DEP_1)
	v_sub_co_ci_u32_e64 v15, s0, v16, v7, s0
	v_add_co_u32 v16, s0, s18, v17
	v_add_co_ci_u32_e64 v17, s0, s19, v18, s0
	s_delay_alu instid0(VALU_DEP_3)
	v_lshlrev_b64 v[18:19], 1, v[14:15]
	v_mov_b32_e32 v14, 0
	v_mov_b32_e32 v15, 0
	s_branch .LBB6_54
.LBB6_53:                               ;   in Loop: Header=BB6_54 Depth=1
	s_or_b32 exec_lo, exec_lo, s6
	v_add_co_u32 v20, s0, v20, 1
	s_delay_alu instid0(VALU_DEP_1) | instskip(SKIP_1) | instid1(VALU_DEP_1)
	v_add_co_ci_u32_e64 v21, s0, 0, v21, s0
	v_add_co_u32 v18, s1, v18, s2
	v_add_co_ci_u32_e64 v19, s1, s3, v19, s1
	s_delay_alu instid0(VALU_DEP_3) | instskip(NEXT) | instid1(VALU_DEP_1)
	v_cmp_ge_i64_e64 s0, v[20:21], v[2:3]
	s_or_b32 s5, s0, s5
	s_delay_alu instid0(SALU_CYCLE_1)
	s_and_not1_b32 exec_lo, exec_lo, s5
	s_cbranch_execz .LBB6_58
.LBB6_54:                               ; =>This Inner Loop Header: Depth=1
	s_delay_alu instid0(VALU_DEP_3) | instskip(NEXT) | instid1(VALU_DEP_1)
	v_add_co_u32 v22, s0, s22, v18
	v_add_co_ci_u32_e64 v23, s0, s23, v19, s0
	s_mov_b32 s6, exec_lo
	global_load_u16 v22, v[22:23], off
	s_waitcnt vmcnt(0)
	v_lshlrev_b32_e32 v22, 16, v22
	s_waitcnt lgkmcnt(0)
	s_delay_alu instid0(VALU_DEP_1)
	v_cmp_u_f32_e64 s1, v22, v22
	v_cmpx_o_f32_e32 v22, v22
	s_cbranch_execz .LBB6_56
; %bb.55:                               ;   in Loop: Header=BB6_54 Depth=1
	global_load_u16 v23, v[12:13], off
	s_and_not1_b32 s1, s1, exec_lo
	s_waitcnt vmcnt(0)
	v_lshlrev_b32_e32 v23, 16, v23
	s_delay_alu instid0(VALU_DEP_1) | instskip(NEXT) | instid1(VALU_DEP_1)
	v_cmp_eq_f32_e64 s0, v22, v23
	s_and_b32 s0, s0, exec_lo
	s_delay_alu instid0(SALU_CYCLE_1)
	s_or_b32 s1, s1, s0
.LBB6_56:                               ;   in Loop: Header=BB6_54 Depth=1
	s_or_b32 exec_lo, exec_lo, s6
	s_delay_alu instid0(VALU_DEP_2)
	s_and_saveexec_b32 s6, s1
	s_cbranch_execz .LBB6_53
; %bb.57:                               ;   in Loop: Header=BB6_54 Depth=1
	global_load_u16 v24, v[16:17], off
	v_add_co_u32 v22, s0, s16, v18
	s_delay_alu instid0(VALU_DEP_1) | instskip(SKIP_1) | instid1(VALU_DEP_1)
	v_add_co_ci_u32_e64 v23, s0, s17, v19, s0
	v_add_co_u32 v14, s0, v14, 1
	v_add_co_ci_u32_e64 v15, s0, 0, v15, s0
	s_waitcnt vmcnt(0)
	global_store_b16 v[22:23], v24, off
	s_branch .LBB6_53
.LBB6_58:
	s_or_b32 exec_lo, exec_lo, s5
.LBB6_59:
	s_delay_alu instid0(SALU_CYCLE_1)
	s_or_b32 exec_lo, exec_lo, s4
	v_cmp_lt_i64_e64 s0, 1, v[14:15]
	s_waitcnt lgkmcnt(0)
	s_xor_b32 s1, vcc_lo, -1
	s_delay_alu instid0(VALU_DEP_1) | instid1(SALU_CYCLE_1)
	s_and_b32 s0, s0, s1
	s_delay_alu instid0(SALU_CYCLE_1)
	s_and_b32 exec_lo, exec_lo, s0
	s_cbranch_execz .LBB6_75
; %bb.60:
	v_clz_i32_u32_e32 v12, v15
	s_mov_b32 s2, exec_lo
	s_delay_alu instid0(VALU_DEP_1) | instskip(NEXT) | instid1(VALU_DEP_1)
	v_min_u32_e32 v16, 32, v12
	v_lshlrev_b64 v[12:13], v16, v[14:15]
	v_mul_lo_u32 v15, v9, s10
	s_delay_alu instid0(VALU_DEP_2) | instskip(NEXT) | instid1(VALU_DEP_1)
	v_min_u32_e32 v12, 1, v12
	v_or_b32_e32 v12, v13, v12
	v_sub_nc_u32_e32 v13, 32, v16
	v_mul_lo_u32 v16, v8, s11
	s_delay_alu instid0(VALU_DEP_3) | instskip(NEXT) | instid1(VALU_DEP_1)
	v_cvt_f32_u32_e32 v12, v12
	v_ldexp_f32 v14, v12, v13
	v_mad_u64_u32 v[12:13], null, v8, s10, 0
	v_sub_co_u32 v8, vcc_lo, v2, v0
	s_delay_alu instid0(VALU_DEP_3) | instskip(SKIP_1) | instid1(VALU_DEP_4)
	v_bfe_u32 v17, v14, 16, 1
	v_sub_co_ci_u32_e32 v9, vcc_lo, v3, v1, vcc_lo
	v_add3_u32 v13, v13, v16, v15
	s_delay_alu instid0(VALU_DEP_3) | instskip(NEXT) | instid1(VALU_DEP_3)
	v_add3_u32 v14, v14, v17, 0x7fff
	v_cmp_gt_u64_e64 s0, 0x42, v[8:9]
	s_delay_alu instid0(VALU_DEP_2)
	v_and_b32_e32 v18, 0xffff0000, v14
	v_cmpx_lt_u64_e32 0x41, v[8:9]
	s_cbranch_execz .LBB6_70
; %bb.61:
	v_add_co_u32 v14, vcc_lo, v12, v0
	v_add_co_ci_u32_e32 v16, vcc_lo, v13, v1, vcc_lo
	v_not_b32_e32 v17, v0
	s_delay_alu instid0(VALU_DEP_3) | instskip(SKIP_1) | instid1(VALU_DEP_4)
	v_add_co_u32 v10, vcc_lo, v14, v10
	v_not_b32_e32 v15, v1
	v_add_co_ci_u32_e32 v11, vcc_lo, v16, v11, vcc_lo
	s_delay_alu instid0(VALU_DEP_4) | instskip(NEXT) | instid1(VALU_DEP_3)
	v_add_co_u32 v14, vcc_lo, v2, v17
	v_add_co_ci_u32_e32 v15, vcc_lo, v3, v15, vcc_lo
	s_delay_alu instid0(VALU_DEP_3) | instskip(SKIP_1) | instid1(VALU_DEP_2)
	v_lshlrev_b64 v[10:11], 1, v[10:11]
	s_cmp_eq_u64 s[8:9], 1
	v_lshlrev_b64 v[16:17], 1, v[14:15]
	s_cselect_b32 s3, -1, 0
	s_delay_alu instid0(VALU_DEP_2) | instskip(NEXT) | instid1(VALU_DEP_3)
	v_add_co_u32 v10, vcc_lo, s16, v10
	v_add_co_ci_u32_e32 v11, vcc_lo, s17, v11, vcc_lo
	s_delay_alu instid0(VALU_DEP_2) | instskip(NEXT) | instid1(VALU_DEP_2)
	v_add_co_u32 v16, vcc_lo, v10, v16
	v_add_co_ci_u32_e32 v17, vcc_lo, v11, v17, vcc_lo
	v_cmp_lt_i64_e32 vcc_lo, -1, v[14:15]
	s_delay_alu instid0(VALU_DEP_2) | instskip(NEXT) | instid1(VALU_DEP_1)
	v_cmp_ge_u64_e64 s1, v[16:17], v[10:11]
	s_and_b32 s1, s1, vcc_lo
	s_delay_alu instid0(SALU_CYCLE_1)
	s_and_b32 s4, s3, s1
	s_mov_b32 s1, -1
	s_and_saveexec_b32 s3, s4
	s_cbranch_execz .LBB6_69
; %bb.62:
	v_lshlrev_b64 v[10:11], 1, v[12:13]
	v_lshlrev_b64 v[14:15], 1, v[4:5]
	;; [unrolled: 1-line block ×3, first 2 shown]
	v_mov_b32_e32 v19, v18
	s_mov_b32 s4, 0
	s_delay_alu instid0(VALU_DEP_3) | instskip(NEXT) | instid1(VALU_DEP_4)
	v_add_co_u32 v10, vcc_lo, v10, v14
	v_add_co_ci_u32_e32 v11, vcc_lo, v11, v15, vcc_lo
	v_lshlrev_b64 v[14:15], 1, v[6:7]
	s_delay_alu instid0(VALU_DEP_3) | instskip(NEXT) | instid1(VALU_DEP_3)
	v_add_co_u32 v16, vcc_lo, v10, v16
	v_add_co_ci_u32_e32 v11, vcc_lo, v11, v17, vcc_lo
	v_and_b32_e32 v10, -2, v8
	s_delay_alu instid0(VALU_DEP_3) | instskip(NEXT) | instid1(VALU_DEP_3)
	v_sub_co_u32 v14, vcc_lo, v16, v14
	v_sub_co_ci_u32_e32 v15, vcc_lo, v11, v15, vcc_lo
	v_mov_b32_e32 v11, v9
	s_delay_alu instid0(VALU_DEP_3) | instskip(NEXT) | instid1(VALU_DEP_3)
	v_add_co_u32 v14, vcc_lo, v14, s16
	v_add_co_ci_u32_e32 v15, vcc_lo, s17, v15, vcc_lo
	s_delay_alu instid0(VALU_DEP_3) | instskip(NEXT) | instid1(VALU_DEP_3)
	v_dual_mov_b32 v17, v11 :: v_dual_mov_b32 v16, v10
	v_add_co_u32 v14, vcc_lo, v14, 2
	s_delay_alu instid0(VALU_DEP_3)
	v_add_co_ci_u32_e32 v15, vcc_lo, 0, v15, vcc_lo
	s_branch .LBB6_64
.LBB6_63:                               ;   in Loop: Header=BB6_64 Depth=1
	s_or_b32 exec_lo, exec_lo, s1
	v_add_co_u32 v16, vcc_lo, v16, -2
	v_add_co_ci_u32_e32 v17, vcc_lo, -1, v17, vcc_lo
	v_add_co_u32 v14, s1, v14, 4
	s_delay_alu instid0(VALU_DEP_1) | instskip(NEXT) | instid1(VALU_DEP_3)
	v_add_co_ci_u32_e64 v15, s1, 0, v15, s1
	v_cmp_eq_u64_e32 vcc_lo, 0, v[16:17]
	s_or_b32 s4, vcc_lo, s4
	s_delay_alu instid0(SALU_CYCLE_1)
	s_and_not1_b32 exec_lo, exec_lo, s4
	s_cbranch_execz .LBB6_68
.LBB6_64:                               ; =>This Inner Loop Header: Depth=1
	global_load_b32 v20, v[14:15], off offset:-2
	s_mov_b32 s5, exec_lo
	s_waitcnt vmcnt(0)
	v_and_b32_e32 v21, 0xffff0000, v20
	v_lshlrev_b32_e32 v22, 16, v20
	s_delay_alu instid0(VALU_DEP_2) | instskip(NEXT) | instid1(VALU_DEP_2)
	v_div_scale_f32 v20, null, v19, v19, v21
	v_div_scale_f32 v23, null, v18, v18, v22
	v_div_scale_f32 v28, vcc_lo, v21, v19, v21
	s_delay_alu instid0(VALU_DEP_3) | instskip(NEXT) | instid1(VALU_DEP_2)
	v_rcp_f32_e32 v24, v20
	v_rcp_f32_e32 v25, v23
	s_waitcnt_depctr 0xfff
	v_fma_f32 v26, -v20, v24, 1.0
	v_fma_f32 v27, -v23, v25, 1.0
	s_delay_alu instid0(VALU_DEP_1) | instskip(SKIP_1) | instid1(VALU_DEP_1)
	v_dual_fmac_f32 v25, v27, v25 :: v_dual_fmac_f32 v24, v26, v24
	v_div_scale_f32 v26, s1, v22, v18, v22
	v_mul_f32_e32 v29, v26, v25
	s_delay_alu instid0(VALU_DEP_1) | instskip(NEXT) | instid1(VALU_DEP_1)
	v_fma_f32 v31, -v23, v29, v26
	v_fmac_f32_e32 v29, v31, v25
	v_mul_f32_e32 v27, v28, v24
	s_delay_alu instid0(VALU_DEP_2) | instskip(NEXT) | instid1(VALU_DEP_2)
	v_fma_f32 v23, -v23, v29, v26
	v_fma_f32 v30, -v20, v27, v28
	s_delay_alu instid0(VALU_DEP_1) | instskip(NEXT) | instid1(VALU_DEP_1)
	v_fmac_f32_e32 v27, v30, v24
	v_fma_f32 v20, -v20, v27, v28
	s_delay_alu instid0(VALU_DEP_1) | instskip(SKIP_3) | instid1(VALU_DEP_3)
	v_div_fmas_f32 v20, v20, v24, v27
	s_mov_b32 vcc_lo, s1
	v_div_fmas_f32 v23, v23, v25, v29
	v_cmp_lt_f32_e32 vcc_lo, 0, v21
	v_div_fixup_f32 v20, v20, v19, v21
	s_delay_alu instid0(VALU_DEP_3)
	v_div_fixup_f32 v21, v23, v18, v22
	v_cmpx_lt_f32_e32 0, v22
	s_cbranch_execz .LBB6_66
; %bb.65:                               ;   in Loop: Header=BB6_64 Depth=1
	s_delay_alu instid0(VALU_DEP_2) | instskip(SKIP_1) | instid1(VALU_DEP_2)
	v_bfe_u32 v22, v21, 16, 1
	v_cmp_o_f32_e64 s1, v21, v21
	v_add3_u32 v22, v21, v22, 0x7fff
	s_delay_alu instid0(VALU_DEP_1) | instskip(NEXT) | instid1(VALU_DEP_1)
	v_lshrrev_b32_e32 v22, 16, v22
	v_cndmask_b32_e64 v21, 0x7fc0, v22, s1
	global_store_b16 v[14:15], v21, off offset:-2
.LBB6_66:                               ;   in Loop: Header=BB6_64 Depth=1
	s_or_b32 exec_lo, exec_lo, s5
	s_and_saveexec_b32 s1, vcc_lo
	s_cbranch_execz .LBB6_63
; %bb.67:                               ;   in Loop: Header=BB6_64 Depth=1
	v_bfe_u32 v21, v20, 16, 1
	v_cmp_o_f32_e32 vcc_lo, v20, v20
	s_delay_alu instid0(VALU_DEP_2) | instskip(NEXT) | instid1(VALU_DEP_1)
	v_add3_u32 v21, v20, v21, 0x7fff
	v_lshrrev_b32_e32 v21, 16, v21
	s_delay_alu instid0(VALU_DEP_1)
	v_cndmask_b32_e32 v20, 0x7fc0, v21, vcc_lo
	global_store_b16 v[14:15], v20, off
	s_branch .LBB6_63
.LBB6_68:
	s_or_b32 exec_lo, exec_lo, s4
	v_cmp_ne_u64_e32 vcc_lo, v[8:9], v[10:11]
	v_add_co_u32 v0, s1, v0, v10
	s_delay_alu instid0(VALU_DEP_1)
	v_add_co_ci_u32_e64 v1, s1, v1, v11, s1
	s_or_not1_b32 s1, vcc_lo, exec_lo
.LBB6_69:
	s_or_b32 exec_lo, exec_lo, s3
	s_delay_alu instid0(SALU_CYCLE_1) | instskip(SKIP_1) | instid1(SALU_CYCLE_1)
	s_and_not1_b32 s0, s0, exec_lo
	s_and_b32 s1, s1, exec_lo
	s_or_b32 s0, s0, s1
.LBB6_70:
	s_or_b32 exec_lo, exec_lo, s2
	s_delay_alu instid0(VALU_DEP_3) | instid1(SALU_CYCLE_1)
	s_and_b32 exec_lo, exec_lo, s0
	s_cbranch_execz .LBB6_75
; %bb.71:
	v_lshlrev_b64 v[8:9], 1, v[12:13]
	v_lshlrev_b64 v[10:11], 1, v[0:1]
	;; [unrolled: 1-line block ×3, first 2 shown]
	s_lshl_b64 s[2:3], s[8:9], 1
	s_mov_b32 s1, 0
	s_delay_alu instid0(VALU_DEP_2) | instskip(NEXT) | instid1(VALU_DEP_3)
	v_add_co_u32 v10, vcc_lo, v8, v10
	v_add_co_ci_u32_e32 v8, vcc_lo, v9, v11, vcc_lo
	s_delay_alu instid0(VALU_DEP_2) | instskip(NEXT) | instid1(VALU_DEP_2)
	v_mul_lo_u32 v12, s9, v10
	v_mul_lo_u32 v11, s8, v8
	v_mad_u64_u32 v[8:9], null, s8, v10, v[4:5]
	v_lshlrev_b64 v[4:5], 1, v[6:7]
	s_delay_alu instid0(VALU_DEP_2) | instskip(NEXT) | instid1(VALU_DEP_2)
	v_add3_u32 v6, v12, v9, v11
	v_sub_co_u32 v4, vcc_lo, v8, v4
	s_delay_alu instid0(VALU_DEP_2) | instskip(NEXT) | instid1(VALU_DEP_2)
	v_sub_co_ci_u32_e32 v5, vcc_lo, v6, v5, vcc_lo
	v_add_co_u32 v4, vcc_lo, s16, v4
	s_delay_alu instid0(VALU_DEP_2)
	v_add_co_ci_u32_e32 v5, vcc_lo, s17, v5, vcc_lo
	s_set_inst_prefetch_distance 0x1
	s_branch .LBB6_73
	.p2align	6
.LBB6_72:                               ;   in Loop: Header=BB6_73 Depth=1
	s_or_b32 exec_lo, exec_lo, s0
	v_add_co_u32 v0, vcc_lo, v0, 1
	v_add_co_ci_u32_e32 v1, vcc_lo, 0, v1, vcc_lo
	v_add_co_u32 v4, s0, v4, s2
	s_delay_alu instid0(VALU_DEP_1) | instskip(NEXT) | instid1(VALU_DEP_3)
	v_add_co_ci_u32_e64 v5, s0, s3, v5, s0
	v_cmp_ge_i64_e32 vcc_lo, v[0:1], v[2:3]
	s_or_b32 s1, vcc_lo, s1
	s_delay_alu instid0(SALU_CYCLE_1)
	s_and_not1_b32 exec_lo, exec_lo, s1
	s_cbranch_execz .LBB6_75
.LBB6_73:                               ; =>This Inner Loop Header: Depth=1
	global_load_u16 v6, v[4:5], off
	s_mov_b32 s0, exec_lo
	s_waitcnt vmcnt(0)
	v_lshlrev_b32_e32 v6, 16, v6
	s_delay_alu instid0(VALU_DEP_1)
	v_cmpx_lt_f32_e32 0, v6
	s_cbranch_execz .LBB6_72
; %bb.74:                               ;   in Loop: Header=BB6_73 Depth=1
	v_div_scale_f32 v7, null, v18, v18, v6
	s_delay_alu instid0(VALU_DEP_1) | instskip(SKIP_2) | instid1(VALU_DEP_1)
	v_rcp_f32_e32 v8, v7
	s_waitcnt_depctr 0xfff
	v_fma_f32 v9, -v7, v8, 1.0
	v_fmac_f32_e32 v8, v9, v8
	v_div_scale_f32 v9, vcc_lo, v6, v18, v6
	s_delay_alu instid0(VALU_DEP_1) | instskip(NEXT) | instid1(VALU_DEP_1)
	v_mul_f32_e32 v10, v9, v8
	v_fma_f32 v11, -v7, v10, v9
	s_delay_alu instid0(VALU_DEP_1) | instskip(NEXT) | instid1(VALU_DEP_1)
	v_fmac_f32_e32 v10, v11, v8
	v_fma_f32 v7, -v7, v10, v9
	s_delay_alu instid0(VALU_DEP_1) | instskip(NEXT) | instid1(VALU_DEP_1)
	v_div_fmas_f32 v7, v7, v8, v10
	v_div_fixup_f32 v6, v7, v18, v6
	s_delay_alu instid0(VALU_DEP_1) | instskip(SKIP_1) | instid1(VALU_DEP_2)
	v_bfe_u32 v7, v6, 16, 1
	v_cmp_o_f32_e32 vcc_lo, v6, v6
	v_add3_u32 v7, v6, v7, 0x7fff
	s_delay_alu instid0(VALU_DEP_1) | instskip(NEXT) | instid1(VALU_DEP_1)
	v_lshrrev_b32_e32 v7, 16, v7
	v_cndmask_b32_e32 v6, 0x7fc0, v7, vcc_lo
	global_store_b16 v[4:5], v6, off
	s_branch .LBB6_72
.LBB6_75:
	s_set_inst_prefetch_distance 0x2
	s_nop 0
	s_sendmsg sendmsg(MSG_DEALLOC_VGPRS)
	s_endpgm
	.section	.rodata,"a",@progbits
	.p2align	6, 0x0
	.amdhsa_kernel _ZN2at6native12_GLOBAL__N_130segment_reduce_backward_kernelIN3c108BFloat16ElEEvNS0_13ReductionTypeEPT_PKS6_S9_S9_PKT0_SC_llS6_lllllll
		.amdhsa_group_segment_fixed_size 0
		.amdhsa_private_segment_fixed_size 0
		.amdhsa_kernarg_size 392
		.amdhsa_user_sgpr_count 15
		.amdhsa_user_sgpr_dispatch_ptr 0
		.amdhsa_user_sgpr_queue_ptr 0
		.amdhsa_user_sgpr_kernarg_segment_ptr 1
		.amdhsa_user_sgpr_dispatch_id 0
		.amdhsa_user_sgpr_private_segment_size 0
		.amdhsa_wavefront_size32 1
		.amdhsa_uses_dynamic_stack 0
		.amdhsa_enable_private_segment 0
		.amdhsa_system_sgpr_workgroup_id_x 1
		.amdhsa_system_sgpr_workgroup_id_y 0
		.amdhsa_system_sgpr_workgroup_id_z 0
		.amdhsa_system_sgpr_workgroup_info 0
		.amdhsa_system_vgpr_workitem_id 0
		.amdhsa_next_free_vgpr 33
		.amdhsa_next_free_sgpr 44
		.amdhsa_reserve_vcc 1
		.amdhsa_float_round_mode_32 0
		.amdhsa_float_round_mode_16_64 0
		.amdhsa_float_denorm_mode_32 3
		.amdhsa_float_denorm_mode_16_64 3
		.amdhsa_dx10_clamp 1
		.amdhsa_ieee_mode 1
		.amdhsa_fp16_overflow 0
		.amdhsa_workgroup_processor_mode 1
		.amdhsa_memory_ordered 1
		.amdhsa_forward_progress 0
		.amdhsa_shared_vgpr_count 0
		.amdhsa_exception_fp_ieee_invalid_op 0
		.amdhsa_exception_fp_denorm_src 0
		.amdhsa_exception_fp_ieee_div_zero 0
		.amdhsa_exception_fp_ieee_overflow 0
		.amdhsa_exception_fp_ieee_underflow 0
		.amdhsa_exception_fp_ieee_inexact 0
		.amdhsa_exception_int_div_zero 0
	.end_amdhsa_kernel
	.section	.text._ZN2at6native12_GLOBAL__N_130segment_reduce_backward_kernelIN3c108BFloat16ElEEvNS0_13ReductionTypeEPT_PKS6_S9_S9_PKT0_SC_llS6_lllllll,"axG",@progbits,_ZN2at6native12_GLOBAL__N_130segment_reduce_backward_kernelIN3c108BFloat16ElEEvNS0_13ReductionTypeEPT_PKS6_S9_S9_PKT0_SC_llS6_lllllll,comdat
.Lfunc_end6:
	.size	_ZN2at6native12_GLOBAL__N_130segment_reduce_backward_kernelIN3c108BFloat16ElEEvNS0_13ReductionTypeEPT_PKS6_S9_S9_PKT0_SC_llS6_lllllll, .Lfunc_end6-_ZN2at6native12_GLOBAL__N_130segment_reduce_backward_kernelIN3c108BFloat16ElEEvNS0_13ReductionTypeEPT_PKS6_S9_S9_PKT0_SC_llS6_lllllll
                                        ; -- End function
	.section	.AMDGPU.csdata,"",@progbits
; Kernel info:
; codeLenInByte = 6776
; NumSgprs: 46
; NumVgprs: 33
; ScratchSize: 0
; MemoryBound: 0
; FloatMode: 240
; IeeeMode: 1
; LDSByteSize: 0 bytes/workgroup (compile time only)
; SGPRBlocks: 5
; VGPRBlocks: 4
; NumSGPRsForWavesPerEU: 46
; NumVGPRsForWavesPerEU: 33
; Occupancy: 16
; WaveLimiterHint : 1
; COMPUTE_PGM_RSRC2:SCRATCH_EN: 0
; COMPUTE_PGM_RSRC2:USER_SGPR: 15
; COMPUTE_PGM_RSRC2:TRAP_HANDLER: 0
; COMPUTE_PGM_RSRC2:TGID_X_EN: 1
; COMPUTE_PGM_RSRC2:TGID_Y_EN: 0
; COMPUTE_PGM_RSRC2:TGID_Z_EN: 0
; COMPUTE_PGM_RSRC2:TIDIG_COMP_CNT: 0
	.section	.text._ZN2at6native12_GLOBAL__N_130segment_reduce_backward_kernelIN3c104HalfElEEvNS0_13ReductionTypeEPT_PKS6_S9_S9_PKT0_SC_llS6_lllllll,"axG",@progbits,_ZN2at6native12_GLOBAL__N_130segment_reduce_backward_kernelIN3c104HalfElEEvNS0_13ReductionTypeEPT_PKS6_S9_S9_PKT0_SC_llS6_lllllll,comdat
	.globl	_ZN2at6native12_GLOBAL__N_130segment_reduce_backward_kernelIN3c104HalfElEEvNS0_13ReductionTypeEPT_PKS6_S9_S9_PKT0_SC_llS6_lllllll ; -- Begin function _ZN2at6native12_GLOBAL__N_130segment_reduce_backward_kernelIN3c104HalfElEEvNS0_13ReductionTypeEPT_PKS6_S9_S9_PKT0_SC_llS6_lllllll
	.p2align	8
	.type	_ZN2at6native12_GLOBAL__N_130segment_reduce_backward_kernelIN3c104HalfElEEvNS0_13ReductionTypeEPT_PKS6_S9_S9_PKT0_SC_llS6_lllllll,@function
_ZN2at6native12_GLOBAL__N_130segment_reduce_backward_kernelIN3c104HalfElEEvNS0_13ReductionTypeEPT_PKS6_S9_S9_PKT0_SC_llS6_lllllll: ; @_ZN2at6native12_GLOBAL__N_130segment_reduce_backward_kernelIN3c104HalfElEEvNS0_13ReductionTypeEPT_PKS6_S9_S9_PKT0_SC_llS6_lllllll
; %bb.0:
	s_clause 0x2
	s_load_b512 s[16:31], s[0:1], 0x8
	s_load_b32 s2, s[0:1], 0x94
	s_load_b256 s[4:11], s[0:1], 0x50
	v_mov_b32_e32 v2, 0
	s_delay_alu instid0(VALU_DEP_1)
	v_mov_b32_e32 v1, v2
	s_waitcnt lgkmcnt(0)
	s_and_b32 s2, s2, 0xffff
	s_mul_i32 s3, s4, s29
	s_mul_hi_u32 s12, s4, s28
	s_mul_i32 s5, s5, s28
	s_mul_i32 s4, s4, s28
	v_mad_u64_u32 v[4:5], null, s2, s15, v[0:1]
	s_add_i32 s2, s12, s3
	s_mul_i32 s3, s4, s7
	s_mul_hi_u32 s12, s4, s6
	s_add_i32 s2, s2, s5
	s_add_i32 s3, s12, s3
	s_mul_i32 s2, s2, s6
	s_delay_alu instid0(SALU_CYCLE_1) | instskip(SKIP_1) | instid1(SALU_CYCLE_1)
	s_add_i32 s3, s3, s2
	s_mul_i32 s2, s4, s6
	v_cmp_gt_i64_e32 vcc_lo, s[2:3], v[4:5]
	s_and_saveexec_b32 s2, vcc_lo
	s_cbranch_execz .LBB7_75
; %bb.1:
	v_or_b32_e32 v3, s7, v5
                                        ; implicit-def: $vgpr10_vgpr11
	s_mov_b32 s2, exec_lo
	s_delay_alu instid0(VALU_DEP_1)
	v_cmpx_ne_u64_e32 0, v[2:3]
	s_xor_b32 s3, exec_lo, s2
	s_cbranch_execz .LBB7_3
; %bb.2:
	s_ashr_i32 s4, s7, 31
	s_delay_alu instid0(SALU_CYCLE_1) | instskip(SKIP_2) | instid1(SALU_CYCLE_1)
	s_add_u32 s12, s6, s4
	s_mov_b32 s5, s4
	s_addc_u32 s13, s7, s4
	s_xor_b64 s[12:13], s[12:13], s[4:5]
	s_delay_alu instid0(SALU_CYCLE_1) | instskip(SKIP_3) | instid1(VALU_DEP_1)
	v_cvt_f32_u32_e32 v0, s12
	v_cvt_f32_u32_e32 v1, s13
	s_sub_u32 s2, 0, s12
	s_subb_u32 s5, 0, s13
	v_fmamk_f32 v0, v1, 0x4f800000, v0
	s_delay_alu instid0(VALU_DEP_1) | instskip(SKIP_2) | instid1(VALU_DEP_1)
	v_rcp_f32_e32 v0, v0
	s_waitcnt_depctr 0xfff
	v_mul_f32_e32 v0, 0x5f7ffffc, v0
	v_mul_f32_e32 v1, 0x2f800000, v0
	s_delay_alu instid0(VALU_DEP_1) | instskip(NEXT) | instid1(VALU_DEP_1)
	v_trunc_f32_e32 v1, v1
	v_fmamk_f32 v0, v1, 0xcf800000, v0
	v_cvt_u32_f32_e32 v1, v1
	s_delay_alu instid0(VALU_DEP_2) | instskip(NEXT) | instid1(VALU_DEP_2)
	v_cvt_u32_f32_e32 v0, v0
	v_mul_lo_u32 v2, s2, v1
	s_delay_alu instid0(VALU_DEP_2) | instskip(SKIP_1) | instid1(VALU_DEP_2)
	v_mul_hi_u32 v3, s2, v0
	v_mul_lo_u32 v6, s5, v0
	v_add_nc_u32_e32 v2, v3, v2
	v_mul_lo_u32 v3, s2, v0
	s_delay_alu instid0(VALU_DEP_2) | instskip(NEXT) | instid1(VALU_DEP_2)
	v_add_nc_u32_e32 v2, v2, v6
	v_mul_hi_u32 v6, v0, v3
	s_delay_alu instid0(VALU_DEP_2)
	v_mul_lo_u32 v7, v0, v2
	v_mul_hi_u32 v8, v0, v2
	v_mul_hi_u32 v9, v1, v3
	v_mul_lo_u32 v3, v1, v3
	v_mul_hi_u32 v10, v1, v2
	v_mul_lo_u32 v2, v1, v2
	v_add_co_u32 v6, vcc_lo, v6, v7
	v_add_co_ci_u32_e32 v7, vcc_lo, 0, v8, vcc_lo
	s_delay_alu instid0(VALU_DEP_2) | instskip(NEXT) | instid1(VALU_DEP_2)
	v_add_co_u32 v3, vcc_lo, v6, v3
	v_add_co_ci_u32_e32 v3, vcc_lo, v7, v9, vcc_lo
	v_add_co_ci_u32_e32 v6, vcc_lo, 0, v10, vcc_lo
	v_ashrrev_i32_e32 v9, 31, v5
	s_delay_alu instid0(VALU_DEP_3) | instskip(NEXT) | instid1(VALU_DEP_3)
	v_add_co_u32 v2, vcc_lo, v3, v2
	v_add_co_ci_u32_e32 v3, vcc_lo, 0, v6, vcc_lo
	s_delay_alu instid0(VALU_DEP_2) | instskip(NEXT) | instid1(VALU_DEP_2)
	v_add_co_u32 v0, vcc_lo, v0, v2
	v_add_co_ci_u32_e32 v1, vcc_lo, v1, v3, vcc_lo
	s_delay_alu instid0(VALU_DEP_2) | instskip(SKIP_1) | instid1(VALU_DEP_3)
	v_mul_hi_u32 v2, s2, v0
	v_mul_lo_u32 v6, s5, v0
	v_mul_lo_u32 v3, s2, v1
	s_delay_alu instid0(VALU_DEP_1) | instskip(SKIP_1) | instid1(VALU_DEP_2)
	v_add_nc_u32_e32 v2, v2, v3
	v_mul_lo_u32 v3, s2, v0
	v_add_nc_u32_e32 v2, v2, v6
	s_delay_alu instid0(VALU_DEP_2) | instskip(NEXT) | instid1(VALU_DEP_2)
	v_mul_hi_u32 v6, v0, v3
	v_mul_lo_u32 v7, v0, v2
	v_mul_hi_u32 v8, v0, v2
	v_mul_hi_u32 v10, v1, v3
	v_mul_lo_u32 v3, v1, v3
	v_mul_hi_u32 v11, v1, v2
	v_mul_lo_u32 v2, v1, v2
	v_add_co_u32 v6, vcc_lo, v6, v7
	v_add_co_ci_u32_e32 v7, vcc_lo, 0, v8, vcc_lo
	s_delay_alu instid0(VALU_DEP_2) | instskip(NEXT) | instid1(VALU_DEP_2)
	v_add_co_u32 v3, vcc_lo, v6, v3
	v_add_co_ci_u32_e32 v3, vcc_lo, v7, v10, vcc_lo
	v_add_co_ci_u32_e32 v6, vcc_lo, 0, v11, vcc_lo
	v_add_co_u32 v7, vcc_lo, v4, v9
	v_add_co_ci_u32_e32 v8, vcc_lo, v5, v9, vcc_lo
	s_delay_alu instid0(VALU_DEP_4) | instskip(NEXT) | instid1(VALU_DEP_4)
	v_add_co_u32 v2, vcc_lo, v3, v2
	v_add_co_ci_u32_e32 v3, vcc_lo, 0, v6, vcc_lo
	s_delay_alu instid0(VALU_DEP_4) | instskip(NEXT) | instid1(VALU_DEP_3)
	v_xor_b32_e32 v10, v7, v9
	v_add_co_u32 v6, vcc_lo, v0, v2
	s_delay_alu instid0(VALU_DEP_3) | instskip(SKIP_1) | instid1(VALU_DEP_3)
	v_add_co_ci_u32_e32 v11, vcc_lo, v1, v3, vcc_lo
	v_xor_b32_e32 v8, v8, v9
	v_mul_hi_u32 v12, v10, v6
	s_delay_alu instid0(VALU_DEP_3) | instskip(NEXT) | instid1(VALU_DEP_3)
	v_mad_u64_u32 v[0:1], null, v10, v11, 0
	v_mad_u64_u32 v[2:3], null, v8, v6, 0
	;; [unrolled: 1-line block ×3, first 2 shown]
	s_delay_alu instid0(VALU_DEP_3) | instskip(NEXT) | instid1(VALU_DEP_4)
	v_add_co_u32 v0, vcc_lo, v12, v0
	v_add_co_ci_u32_e32 v1, vcc_lo, 0, v1, vcc_lo
	s_delay_alu instid0(VALU_DEP_2) | instskip(NEXT) | instid1(VALU_DEP_2)
	v_add_co_u32 v0, vcc_lo, v0, v2
	v_add_co_ci_u32_e32 v0, vcc_lo, v1, v3, vcc_lo
	v_add_co_ci_u32_e32 v1, vcc_lo, 0, v7, vcc_lo
	s_delay_alu instid0(VALU_DEP_2) | instskip(NEXT) | instid1(VALU_DEP_2)
	v_add_co_u32 v2, vcc_lo, v0, v6
	v_add_co_ci_u32_e32 v3, vcc_lo, 0, v1, vcc_lo
	s_delay_alu instid0(VALU_DEP_2) | instskip(SKIP_1) | instid1(VALU_DEP_3)
	v_mul_lo_u32 v6, s13, v2
	v_mad_u64_u32 v[0:1], null, s12, v2, 0
	v_mul_lo_u32 v7, s12, v3
	s_delay_alu instid0(VALU_DEP_2) | instskip(NEXT) | instid1(VALU_DEP_2)
	v_sub_co_u32 v0, vcc_lo, v10, v0
	v_add3_u32 v1, v1, v7, v6
	s_delay_alu instid0(VALU_DEP_1) | instskip(NEXT) | instid1(VALU_DEP_1)
	v_sub_nc_u32_e32 v6, v8, v1
	v_subrev_co_ci_u32_e64 v6, s2, s13, v6, vcc_lo
	v_add_co_u32 v7, s2, v2, 2
	s_delay_alu instid0(VALU_DEP_1) | instskip(SKIP_3) | instid1(VALU_DEP_3)
	v_add_co_ci_u32_e64 v10, s2, 0, v3, s2
	v_sub_co_u32 v11, s2, v0, s12
	v_sub_co_ci_u32_e32 v1, vcc_lo, v8, v1, vcc_lo
	v_subrev_co_ci_u32_e64 v6, s2, 0, v6, s2
	v_cmp_le_u32_e32 vcc_lo, s12, v11
	s_delay_alu instid0(VALU_DEP_3) | instskip(SKIP_1) | instid1(VALU_DEP_4)
	v_cmp_eq_u32_e64 s2, s13, v1
	v_cndmask_b32_e64 v8, 0, -1, vcc_lo
	v_cmp_le_u32_e32 vcc_lo, s13, v6
	v_cndmask_b32_e64 v11, 0, -1, vcc_lo
	v_cmp_le_u32_e32 vcc_lo, s12, v0
	;; [unrolled: 2-line block ×3, first 2 shown]
	v_cndmask_b32_e64 v12, 0, -1, vcc_lo
	v_cmp_eq_u32_e32 vcc_lo, s13, v6
	s_delay_alu instid0(VALU_DEP_2) | instskip(SKIP_3) | instid1(VALU_DEP_3)
	v_cndmask_b32_e64 v0, v12, v0, s2
	v_cndmask_b32_e32 v6, v11, v8, vcc_lo
	v_add_co_u32 v8, vcc_lo, v2, 1
	v_add_co_ci_u32_e32 v11, vcc_lo, 0, v3, vcc_lo
	v_cmp_ne_u32_e32 vcc_lo, 0, v6
	s_delay_alu instid0(VALU_DEP_2) | instskip(SKIP_2) | instid1(VALU_DEP_3)
	v_dual_cndmask_b32 v1, v11, v10 :: v_dual_cndmask_b32 v6, v8, v7
	v_cmp_ne_u32_e32 vcc_lo, 0, v0
	v_xor_b32_e32 v0, s4, v9
	v_dual_cndmask_b32 v2, v2, v6 :: v_dual_cndmask_b32 v1, v3, v1
	s_delay_alu instid0(VALU_DEP_1) | instskip(NEXT) | instid1(VALU_DEP_2)
	v_xor_b32_e32 v2, v2, v0
	v_xor_b32_e32 v1, v1, v0
	s_delay_alu instid0(VALU_DEP_2) | instskip(NEXT) | instid1(VALU_DEP_2)
	v_sub_co_u32 v10, vcc_lo, v2, v0
	v_sub_co_ci_u32_e32 v11, vcc_lo, v1, v0, vcc_lo
.LBB7_3:
	s_and_not1_saveexec_b32 s2, s3
	s_cbranch_execz .LBB7_5
; %bb.4:
	v_cvt_f32_u32_e32 v0, s6
	s_sub_i32 s3, 0, s6
	v_mov_b32_e32 v11, 0
	s_delay_alu instid0(VALU_DEP_2) | instskip(SKIP_2) | instid1(VALU_DEP_1)
	v_rcp_iflag_f32_e32 v0, v0
	s_waitcnt_depctr 0xfff
	v_mul_f32_e32 v0, 0x4f7ffffe, v0
	v_cvt_u32_f32_e32 v0, v0
	s_delay_alu instid0(VALU_DEP_1) | instskip(NEXT) | instid1(VALU_DEP_1)
	v_mul_lo_u32 v1, s3, v0
	v_mul_hi_u32 v1, v0, v1
	s_delay_alu instid0(VALU_DEP_1) | instskip(NEXT) | instid1(VALU_DEP_1)
	v_add_nc_u32_e32 v0, v0, v1
	v_mul_hi_u32 v0, v4, v0
	s_delay_alu instid0(VALU_DEP_1) | instskip(SKIP_1) | instid1(VALU_DEP_2)
	v_mul_lo_u32 v1, v0, s6
	v_add_nc_u32_e32 v2, 1, v0
	v_sub_nc_u32_e32 v1, v4, v1
	s_delay_alu instid0(VALU_DEP_1) | instskip(SKIP_1) | instid1(VALU_DEP_2)
	v_subrev_nc_u32_e32 v3, s6, v1
	v_cmp_le_u32_e32 vcc_lo, s6, v1
	v_dual_cndmask_b32 v1, v1, v3 :: v_dual_cndmask_b32 v0, v0, v2
	s_delay_alu instid0(VALU_DEP_1) | instskip(NEXT) | instid1(VALU_DEP_2)
	v_cmp_le_u32_e32 vcc_lo, s6, v1
	v_add_nc_u32_e32 v2, 1, v0
	s_delay_alu instid0(VALU_DEP_1)
	v_cndmask_b32_e32 v10, v0, v2, vcc_lo
.LBB7_5:
	s_or_b32 exec_lo, exec_lo, s2
	s_delay_alu instid0(VALU_DEP_1) | instskip(SKIP_2) | instid1(VALU_DEP_1)
	v_or_b32_e32 v1, s29, v11
	v_mov_b32_e32 v0, 0
                                        ; implicit-def: $vgpr8_vgpr9
	s_mov_b32 s2, exec_lo
	v_cmpx_ne_u64_e32 0, v[0:1]
	s_xor_b32 s3, exec_lo, s2
	s_cbranch_execz .LBB7_7
; %bb.6:
	s_ashr_i32 s4, s29, 31
	s_delay_alu instid0(SALU_CYCLE_1) | instskip(SKIP_2) | instid1(SALU_CYCLE_1)
	s_add_u32 s12, s28, s4
	s_mov_b32 s5, s4
	s_addc_u32 s13, s29, s4
	s_xor_b64 s[12:13], s[12:13], s[4:5]
	s_delay_alu instid0(SALU_CYCLE_1) | instskip(SKIP_3) | instid1(VALU_DEP_1)
	v_cvt_f32_u32_e32 v0, s12
	v_cvt_f32_u32_e32 v1, s13
	s_sub_u32 s2, 0, s12
	s_subb_u32 s5, 0, s13
	v_fmamk_f32 v0, v1, 0x4f800000, v0
	s_delay_alu instid0(VALU_DEP_1) | instskip(SKIP_2) | instid1(VALU_DEP_1)
	v_rcp_f32_e32 v0, v0
	s_waitcnt_depctr 0xfff
	v_mul_f32_e32 v0, 0x5f7ffffc, v0
	v_mul_f32_e32 v1, 0x2f800000, v0
	s_delay_alu instid0(VALU_DEP_1) | instskip(NEXT) | instid1(VALU_DEP_1)
	v_trunc_f32_e32 v1, v1
	v_fmamk_f32 v0, v1, 0xcf800000, v0
	v_cvt_u32_f32_e32 v1, v1
	s_delay_alu instid0(VALU_DEP_2) | instskip(NEXT) | instid1(VALU_DEP_2)
	v_cvt_u32_f32_e32 v0, v0
	v_mul_lo_u32 v2, s2, v1
	s_delay_alu instid0(VALU_DEP_2) | instskip(SKIP_1) | instid1(VALU_DEP_2)
	v_mul_hi_u32 v3, s2, v0
	v_mul_lo_u32 v6, s5, v0
	v_add_nc_u32_e32 v2, v3, v2
	v_mul_lo_u32 v3, s2, v0
	s_delay_alu instid0(VALU_DEP_2) | instskip(NEXT) | instid1(VALU_DEP_2)
	v_add_nc_u32_e32 v2, v2, v6
	v_mul_hi_u32 v6, v0, v3
	s_delay_alu instid0(VALU_DEP_2)
	v_mul_lo_u32 v7, v0, v2
	v_mul_hi_u32 v8, v0, v2
	v_mul_hi_u32 v9, v1, v3
	v_mul_lo_u32 v3, v1, v3
	v_mul_hi_u32 v12, v1, v2
	v_mul_lo_u32 v2, v1, v2
	v_add_co_u32 v6, vcc_lo, v6, v7
	v_add_co_ci_u32_e32 v7, vcc_lo, 0, v8, vcc_lo
	s_delay_alu instid0(VALU_DEP_2) | instskip(NEXT) | instid1(VALU_DEP_2)
	v_add_co_u32 v3, vcc_lo, v6, v3
	v_add_co_ci_u32_e32 v3, vcc_lo, v7, v9, vcc_lo
	v_add_co_ci_u32_e32 v6, vcc_lo, 0, v12, vcc_lo
	v_ashrrev_i32_e32 v9, 31, v11
	s_delay_alu instid0(VALU_DEP_3) | instskip(NEXT) | instid1(VALU_DEP_3)
	v_add_co_u32 v2, vcc_lo, v3, v2
	v_add_co_ci_u32_e32 v3, vcc_lo, 0, v6, vcc_lo
	s_delay_alu instid0(VALU_DEP_2) | instskip(NEXT) | instid1(VALU_DEP_2)
	v_add_co_u32 v0, vcc_lo, v0, v2
	v_add_co_ci_u32_e32 v1, vcc_lo, v1, v3, vcc_lo
	s_delay_alu instid0(VALU_DEP_2) | instskip(SKIP_1) | instid1(VALU_DEP_3)
	v_mul_hi_u32 v2, s2, v0
	v_mul_lo_u32 v6, s5, v0
	v_mul_lo_u32 v3, s2, v1
	s_delay_alu instid0(VALU_DEP_1) | instskip(SKIP_1) | instid1(VALU_DEP_2)
	v_add_nc_u32_e32 v2, v2, v3
	v_mul_lo_u32 v3, s2, v0
	v_add_nc_u32_e32 v2, v2, v6
	s_delay_alu instid0(VALU_DEP_2) | instskip(NEXT) | instid1(VALU_DEP_2)
	v_mul_hi_u32 v6, v0, v3
	v_mul_lo_u32 v7, v0, v2
	v_mul_hi_u32 v8, v0, v2
	v_mul_hi_u32 v12, v1, v3
	v_mul_lo_u32 v3, v1, v3
	v_mul_hi_u32 v13, v1, v2
	v_mul_lo_u32 v2, v1, v2
	v_add_co_u32 v6, vcc_lo, v6, v7
	v_add_co_ci_u32_e32 v7, vcc_lo, 0, v8, vcc_lo
	s_delay_alu instid0(VALU_DEP_2) | instskip(NEXT) | instid1(VALU_DEP_2)
	v_add_co_u32 v3, vcc_lo, v6, v3
	v_add_co_ci_u32_e32 v3, vcc_lo, v7, v12, vcc_lo
	v_add_co_ci_u32_e32 v6, vcc_lo, 0, v13, vcc_lo
	v_add_co_u32 v7, vcc_lo, v10, v9
	v_add_co_ci_u32_e32 v8, vcc_lo, v11, v9, vcc_lo
	s_delay_alu instid0(VALU_DEP_4) | instskip(NEXT) | instid1(VALU_DEP_4)
	v_add_co_u32 v2, vcc_lo, v3, v2
	v_add_co_ci_u32_e32 v3, vcc_lo, 0, v6, vcc_lo
	s_delay_alu instid0(VALU_DEP_4) | instskip(NEXT) | instid1(VALU_DEP_3)
	v_xor_b32_e32 v12, v7, v9
	v_add_co_u32 v6, vcc_lo, v0, v2
	s_delay_alu instid0(VALU_DEP_3) | instskip(SKIP_1) | instid1(VALU_DEP_3)
	v_add_co_ci_u32_e32 v13, vcc_lo, v1, v3, vcc_lo
	v_xor_b32_e32 v8, v8, v9
	v_mul_hi_u32 v14, v12, v6
	s_delay_alu instid0(VALU_DEP_3) | instskip(NEXT) | instid1(VALU_DEP_3)
	v_mad_u64_u32 v[0:1], null, v12, v13, 0
	v_mad_u64_u32 v[2:3], null, v8, v6, 0
	;; [unrolled: 1-line block ×3, first 2 shown]
	s_delay_alu instid0(VALU_DEP_3) | instskip(NEXT) | instid1(VALU_DEP_4)
	v_add_co_u32 v0, vcc_lo, v14, v0
	v_add_co_ci_u32_e32 v1, vcc_lo, 0, v1, vcc_lo
	s_delay_alu instid0(VALU_DEP_2) | instskip(NEXT) | instid1(VALU_DEP_2)
	v_add_co_u32 v0, vcc_lo, v0, v2
	v_add_co_ci_u32_e32 v0, vcc_lo, v1, v3, vcc_lo
	v_add_co_ci_u32_e32 v1, vcc_lo, 0, v7, vcc_lo
	s_delay_alu instid0(VALU_DEP_2) | instskip(NEXT) | instid1(VALU_DEP_2)
	v_add_co_u32 v2, vcc_lo, v0, v6
	v_add_co_ci_u32_e32 v3, vcc_lo, 0, v1, vcc_lo
	s_delay_alu instid0(VALU_DEP_2) | instskip(SKIP_1) | instid1(VALU_DEP_3)
	v_mul_lo_u32 v6, s13, v2
	v_mad_u64_u32 v[0:1], null, s12, v2, 0
	v_mul_lo_u32 v7, s12, v3
	s_delay_alu instid0(VALU_DEP_2) | instskip(NEXT) | instid1(VALU_DEP_2)
	v_sub_co_u32 v0, vcc_lo, v12, v0
	v_add3_u32 v1, v1, v7, v6
	s_delay_alu instid0(VALU_DEP_1) | instskip(NEXT) | instid1(VALU_DEP_1)
	v_sub_nc_u32_e32 v6, v8, v1
	v_subrev_co_ci_u32_e64 v6, s2, s13, v6, vcc_lo
	v_add_co_u32 v7, s2, v2, 2
	s_delay_alu instid0(VALU_DEP_1) | instskip(SKIP_3) | instid1(VALU_DEP_3)
	v_add_co_ci_u32_e64 v12, s2, 0, v3, s2
	v_sub_co_u32 v13, s2, v0, s12
	v_sub_co_ci_u32_e32 v1, vcc_lo, v8, v1, vcc_lo
	v_subrev_co_ci_u32_e64 v6, s2, 0, v6, s2
	v_cmp_le_u32_e32 vcc_lo, s12, v13
	s_delay_alu instid0(VALU_DEP_3) | instskip(SKIP_1) | instid1(VALU_DEP_4)
	v_cmp_eq_u32_e64 s2, s13, v1
	v_cndmask_b32_e64 v8, 0, -1, vcc_lo
	v_cmp_le_u32_e32 vcc_lo, s13, v6
	v_cndmask_b32_e64 v13, 0, -1, vcc_lo
	v_cmp_le_u32_e32 vcc_lo, s12, v0
	;; [unrolled: 2-line block ×3, first 2 shown]
	v_cndmask_b32_e64 v14, 0, -1, vcc_lo
	v_cmp_eq_u32_e32 vcc_lo, s13, v6
	s_delay_alu instid0(VALU_DEP_2) | instskip(SKIP_3) | instid1(VALU_DEP_3)
	v_cndmask_b32_e64 v0, v14, v0, s2
	v_cndmask_b32_e32 v6, v13, v8, vcc_lo
	v_add_co_u32 v8, vcc_lo, v2, 1
	v_add_co_ci_u32_e32 v13, vcc_lo, 0, v3, vcc_lo
	v_cmp_ne_u32_e32 vcc_lo, 0, v6
	s_delay_alu instid0(VALU_DEP_2) | instskip(SKIP_2) | instid1(VALU_DEP_3)
	v_dual_cndmask_b32 v1, v13, v12 :: v_dual_cndmask_b32 v6, v8, v7
	v_cmp_ne_u32_e32 vcc_lo, 0, v0
	v_xor_b32_e32 v0, s4, v9
	v_dual_cndmask_b32 v2, v2, v6 :: v_dual_cndmask_b32 v1, v3, v1
	s_delay_alu instid0(VALU_DEP_1) | instskip(NEXT) | instid1(VALU_DEP_2)
	v_xor_b32_e32 v2, v2, v0
	v_xor_b32_e32 v1, v1, v0
	s_delay_alu instid0(VALU_DEP_2) | instskip(NEXT) | instid1(VALU_DEP_2)
	v_sub_co_u32 v8, vcc_lo, v2, v0
	v_sub_co_ci_u32_e32 v9, vcc_lo, v1, v0, vcc_lo
.LBB7_7:
	s_and_not1_saveexec_b32 s2, s3
	s_cbranch_execz .LBB7_9
; %bb.8:
	v_cvt_f32_u32_e32 v0, s28
	s_sub_i32 s3, 0, s28
	v_mov_b32_e32 v9, 0
	s_delay_alu instid0(VALU_DEP_2) | instskip(SKIP_2) | instid1(VALU_DEP_1)
	v_rcp_iflag_f32_e32 v0, v0
	s_waitcnt_depctr 0xfff
	v_mul_f32_e32 v0, 0x4f7ffffe, v0
	v_cvt_u32_f32_e32 v0, v0
	s_delay_alu instid0(VALU_DEP_1) | instskip(NEXT) | instid1(VALU_DEP_1)
	v_mul_lo_u32 v1, s3, v0
	v_mul_hi_u32 v1, v0, v1
	s_delay_alu instid0(VALU_DEP_1) | instskip(NEXT) | instid1(VALU_DEP_1)
	v_add_nc_u32_e32 v0, v0, v1
	v_mul_hi_u32 v0, v10, v0
	s_delay_alu instid0(VALU_DEP_1) | instskip(SKIP_1) | instid1(VALU_DEP_2)
	v_mul_lo_u32 v1, v0, s28
	v_add_nc_u32_e32 v2, 1, v0
	v_sub_nc_u32_e32 v1, v10, v1
	s_delay_alu instid0(VALU_DEP_1) | instskip(SKIP_1) | instid1(VALU_DEP_2)
	v_subrev_nc_u32_e32 v3, s28, v1
	v_cmp_le_u32_e32 vcc_lo, s28, v1
	v_dual_cndmask_b32 v1, v1, v3 :: v_dual_cndmask_b32 v0, v0, v2
	s_delay_alu instid0(VALU_DEP_1) | instskip(NEXT) | instid1(VALU_DEP_2)
	v_cmp_le_u32_e32 vcc_lo, s28, v1
	v_add_nc_u32_e32 v2, 1, v0
	s_delay_alu instid0(VALU_DEP_1)
	v_cndmask_b32_e32 v8, v0, v2, vcc_lo
.LBB7_9:
	s_or_b32 exec_lo, exec_lo, s2
	s_delay_alu instid0(VALU_DEP_1) | instskip(NEXT) | instid1(VALU_DEP_2)
	v_mul_lo_u32 v2, v9, s28
	v_mul_lo_u32 v3, v8, s29
	v_mad_u64_u32 v[0:1], null, v8, s28, 0
	s_delay_alu instid0(VALU_DEP_1) | instskip(NEXT) | instid1(VALU_DEP_2)
	v_add3_u32 v3, v1, v3, v2
	v_mul_lo_u32 v6, v0, s31
	v_mad_u64_u32 v[1:2], null, v0, s30, 0
	v_sub_co_u32 v12, vcc_lo, v10, v0
	s_delay_alu instid0(VALU_DEP_4) | instskip(SKIP_1) | instid1(VALU_DEP_2)
	v_mul_lo_u32 v7, v3, s30
	v_sub_co_ci_u32_e32 v13, vcc_lo, v11, v3, vcc_lo
	v_add3_u32 v2, v2, v6, v7
	s_delay_alu instid0(VALU_DEP_1) | instskip(NEXT) | instid1(VALU_DEP_3)
	v_lshlrev_b64 v[2:3], 3, v[1:2]
	v_lshlrev_b64 v[0:1], 3, v[12:13]
	s_delay_alu instid0(VALU_DEP_2) | instskip(NEXT) | instid1(VALU_DEP_3)
	v_add_co_u32 v2, vcc_lo, s24, v2
	v_add_co_ci_u32_e32 v3, vcc_lo, s25, v3, vcc_lo
	s_delay_alu instid0(VALU_DEP_2) | instskip(NEXT) | instid1(VALU_DEP_2)
	v_add_co_u32 v2, vcc_lo, v2, v0
	v_add_co_ci_u32_e32 v3, vcc_lo, v3, v1, vcc_lo
	global_load_b64 v[14:15], v[2:3], off
	s_waitcnt vmcnt(0)
	v_cmp_ne_u64_e32 vcc_lo, 0, v[14:15]
	s_and_b32 exec_lo, exec_lo, vcc_lo
	s_cbranch_execz .LBB7_75
; %bb.10:
	s_load_b256 s[36:43], s[0:1], 0x70
	s_add_u32 s2, s28, 1
	s_addc_u32 s3, s29, 0
	v_mul_lo_u32 v11, v11, s6
	v_mul_lo_u32 v18, v10, s7
	s_load_b32 s12, s[0:1], 0x0
	s_waitcnt lgkmcnt(0)
	s_mul_i32 s4, s2, s41
	s_mul_hi_u32 s5, s2, s40
	s_mul_i32 s3, s3, s40
	s_add_i32 s4, s5, s4
	s_mul_i32 s2, s2, s40
	s_add_i32 s4, s4, s3
	v_mul_lo_u32 v6, s2, v9
	v_mad_u64_u32 v[2:3], null, s2, v8, 0
	v_mul_lo_u32 v7, s4, v8
	v_mad_u64_u32 v[16:17], null, v8, s38, v[12:13]
	v_mul_lo_u32 v12, v8, s39
	v_mul_lo_u32 v13, v9, s38
	s_and_b32 s2, s12, -3
	s_delay_alu instid0(SALU_CYCLE_1) | instskip(NEXT) | instid1(VALU_DEP_4)
	s_cmp_lg_u32 s2, 0
	v_add3_u32 v3, v3, v6, v7
	v_mad_u64_u32 v[6:7], null, v10, s6, 0
	s_delay_alu instid0(VALU_DEP_3) | instskip(NEXT) | instid1(VALU_DEP_3)
	v_add3_u32 v17, v13, v17, v12
	v_lshlrev_b64 v[2:3], 3, v[2:3]
	s_delay_alu instid0(VALU_DEP_3) | instskip(NEXT) | instid1(VALU_DEP_3)
	v_add3_u32 v7, v7, v18, v11
	v_mul_lo_u32 v17, v17, s36
	s_delay_alu instid0(VALU_DEP_3) | instskip(NEXT) | instid1(VALU_DEP_4)
	v_add_co_u32 v2, vcc_lo, s26, v2
	v_add_co_ci_u32_e32 v3, vcc_lo, s27, v3, vcc_lo
	s_delay_alu instid0(VALU_DEP_2) | instskip(NEXT) | instid1(VALU_DEP_2)
	v_add_co_u32 v0, vcc_lo, v2, v0
	v_add_co_ci_u32_e32 v1, vcc_lo, v3, v1, vcc_lo
	v_sub_co_u32 v10, vcc_lo, v4, v6
	v_sub_co_ci_u32_e32 v11, vcc_lo, v5, v7, vcc_lo
	global_load_b128 v[0:3], v[0:1], off
	v_mad_u64_u32 v[12:13], null, v16, s36, v[10:11]
	v_mul_lo_u32 v16, v16, s37
	s_delay_alu instid0(VALU_DEP_1)
	v_add3_u32 v13, v17, v13, v16
	s_cbranch_scc0 .LBB7_25
; %bb.11:
	s_cmp_lt_i32 s12, 3
	s_mov_b32 s2, -1
	s_cbranch_scc1 .LBB7_39
; %bb.12:
	s_cmp_lt_i32 s12, 4
	s_cbranch_scc1 .LBB7_28
; %bb.13:
	s_cmp_eq_u32 s12, 4
	s_cbranch_scc0 .LBB7_27
; %bb.14:
	s_mov_b32 s13, exec_lo
	s_waitcnt vmcnt(0)
	v_cmpx_gt_i64_e64 v[2:3], v[0:1]
	s_cbranch_execz .LBB7_26
; %bb.15:
	v_lshlrev_b64 v[18:19], 1, v[12:13]
	v_mad_u64_u32 v[20:21], null, v8, s10, 0
	s_load_b32 s1, s[0:1], 0x48
	s_lshl_b64 s[2:3], s[8:9], 1
	s_mov_b64 s[4:5], 0
	s_delay_alu instid0(VALU_DEP_2)
	v_add_co_u32 v16, vcc_lo, s18, v18
	v_add_co_ci_u32_e32 v17, vcc_lo, s19, v19, vcc_lo
	v_add_co_u32 v18, vcc_lo, s20, v18
	v_add_co_ci_u32_e32 v19, vcc_lo, s21, v19, vcc_lo
	v_mul_lo_u32 v29, v20, s9
	global_load_u16 v26, v[16:17], off
	global_load_u16 v27, v[18:19], off
	v_mul_lo_u32 v18, v9, s10
	v_mul_lo_u32 v19, v8, s11
	s_mov_b32 s14, 0
	s_delay_alu instid0(VALU_DEP_1) | instskip(SKIP_1) | instid1(VALU_DEP_2)
	v_add3_u32 v21, v21, v19, v18
	v_lshlrev_b64 v[18:19], 1, v[0:1]
	v_lshlrev_b64 v[22:23], 1, v[20:21]
	s_delay_alu instid0(VALU_DEP_1) | instskip(NEXT) | instid1(VALU_DEP_2)
	v_add_co_u32 v28, vcc_lo, v22, v18
	v_add_co_ci_u32_e32 v24, vcc_lo, v23, v19, vcc_lo
	v_lshlrev_b64 v[22:23], 1, v[4:5]
	s_delay_alu instid0(VALU_DEP_3) | instskip(SKIP_1) | instid1(VALU_DEP_4)
	v_mul_lo_u32 v31, s9, v28
	v_mad_u64_u32 v[18:19], null, v20, s8, v[10:11]
	v_mul_lo_u32 v30, s8, v24
	s_delay_alu instid0(VALU_DEP_4) | instskip(SKIP_2) | instid1(VALU_DEP_3)
	v_mad_u64_u32 v[24:25], null, s8, v28, v[22:23]
	v_mul_lo_u32 v22, v21, s8
	v_lshlrev_b64 v[20:21], 1, v[6:7]
	v_add3_u32 v23, v31, v25, v30
	s_delay_alu instid0(VALU_DEP_2) | instskip(NEXT) | instid1(VALU_DEP_4)
	v_sub_co_u32 v20, vcc_lo, v24, v20
	v_add3_u32 v19, v22, v19, v29
	s_delay_alu instid0(VALU_DEP_3) | instskip(NEXT) | instid1(VALU_DEP_3)
	v_sub_co_ci_u32_e32 v21, vcc_lo, v23, v21, vcc_lo
	v_add_co_u32 v20, vcc_lo, s22, v20
	v_dual_mov_b32 v23, v1 :: v_dual_mov_b32 v22, v0
	s_delay_alu instid0(VALU_DEP_3) | instskip(SKIP_2) | instid1(VALU_DEP_1)
	v_add_co_ci_u32_e32 v21, vcc_lo, s23, v21, vcc_lo
	s_waitcnt vmcnt(0)
	v_mul_f16_e32 v30, v26, v27
	v_cvt_f32_f16_e32 v31, v30
	s_branch .LBB7_18
.LBB7_16:                               ;   in Loop: Header=BB7_18 Depth=1
	s_or_b32 exec_lo, exec_lo, s24
	global_load_u16 v26, v[16:17], off
	s_waitcnt vmcnt(0)
	v_mul_f16_e32 v26, v26, v32
.LBB7_17:                               ;   in Loop: Header=BB7_18 Depth=1
	s_or_b32 exec_lo, exec_lo, s15
	v_add_co_u32 v22, vcc_lo, v22, 1
	v_add_co_ci_u32_e32 v23, vcc_lo, 0, v23, vcc_lo
	v_add_co_u32 v24, s0, s16, v24
	s_delay_alu instid0(VALU_DEP_1) | instskip(NEXT) | instid1(VALU_DEP_3)
	v_add_co_ci_u32_e64 v25, s0, s17, v25, s0
	v_cmp_ge_i64_e32 vcc_lo, v[22:23], v[2:3]
	s_add_u32 s4, s4, 1
	s_addc_u32 s5, s5, 0
	global_store_b16 v[24:25], v26, off
	s_or_b32 s14, vcc_lo, s14
	s_delay_alu instid0(SALU_CYCLE_1)
	s_and_not1_b32 exec_lo, exec_lo, s14
	s_cbranch_execz .LBB7_26
.LBB7_18:                               ; =>This Loop Header: Depth=1
                                        ;     Child Loop BB7_23 Depth 2
	v_mad_u64_u32 v[24:25], null, v22, s8, v[18:19]
	v_mul_lo_u32 v26, v22, s9
	v_mul_lo_u32 v27, v23, s8
	s_mov_b32 s0, exec_lo
	s_delay_alu instid0(VALU_DEP_1) | instskip(NEXT) | instid1(VALU_DEP_1)
	v_add3_u32 v25, v27, v25, v26
	v_lshlrev_b64 v[24:25], 1, v[24:25]
	s_delay_alu instid0(VALU_DEP_1) | instskip(NEXT) | instid1(VALU_DEP_2)
	v_add_co_u32 v26, vcc_lo, s22, v24
	v_add_co_ci_u32_e32 v27, vcc_lo, s23, v25, vcc_lo
	global_load_u16 v27, v[26:27], off
                                        ; implicit-def: $vgpr26
	s_waitcnt vmcnt(0)
	v_cmpx_lg_f16_e32 0, v27
	s_xor_b32 s0, exec_lo, s0
; %bb.19:                               ;   in Loop: Header=BB7_18 Depth=1
	v_cvt_f32_f16_e32 v26, v27
	s_delay_alu instid0(VALU_DEP_1) | instskip(SKIP_2) | instid1(VALU_DEP_1)
	v_rcp_f32_e32 v26, v26
	s_waitcnt_depctr 0xfff
	v_mul_f32_e32 v28, v31, v26
	v_fma_mix_f32 v29, -v27, v28, v30 op_sel_hi:[1,0,1]
	s_delay_alu instid0(VALU_DEP_1) | instskip(NEXT) | instid1(VALU_DEP_1)
	v_fmac_f32_e32 v28, v29, v26
	v_fma_mix_f32 v29, -v27, v28, v30 op_sel_hi:[1,0,1]
	s_delay_alu instid0(VALU_DEP_1) | instskip(NEXT) | instid1(VALU_DEP_1)
	v_mul_f32_e32 v26, v29, v26
	v_and_b32_e32 v26, 0xff800000, v26
	s_delay_alu instid0(VALU_DEP_1) | instskip(NEXT) | instid1(VALU_DEP_1)
	v_add_f32_e32 v26, v26, v28
	v_cvt_f16_f32_e32 v26, v26
	s_delay_alu instid0(VALU_DEP_1)
	v_div_fixup_f16 v26, v26, v27, v30
; %bb.20:                               ;   in Loop: Header=BB7_18 Depth=1
	s_and_not1_saveexec_b32 s15, s0
	s_cbranch_execz .LBB7_17
; %bb.21:                               ;   in Loop: Header=BB7_18 Depth=1
	s_waitcnt lgkmcnt(0)
	v_dual_mov_b32 v32, s1 :: v_dual_mov_b32 v27, v21
	v_dual_mov_b32 v26, v20 :: v_dual_mov_b32 v29, v1
	v_mov_b32_e32 v28, v0
	s_mov_b32 s24, 0
	s_mov_b64 s[6:7], s[4:5]
	s_branch .LBB7_23
	.p2align	6
.LBB7_22:                               ;   in Loop: Header=BB7_23 Depth=2
	v_add_co_u32 v28, vcc_lo, v28, 1
	v_add_co_ci_u32_e32 v29, vcc_lo, 0, v29, vcc_lo
	v_add_co_u32 v26, s0, v26, s2
	s_delay_alu instid0(VALU_DEP_1) | instskip(NEXT) | instid1(VALU_DEP_3)
	v_add_co_ci_u32_e64 v27, s0, s3, v27, s0
	v_cmp_ge_i64_e32 vcc_lo, v[28:29], v[2:3]
	s_add_u32 s6, s6, -1
	s_addc_u32 s7, s7, -1
	s_or_b32 s24, vcc_lo, s24
	s_delay_alu instid0(SALU_CYCLE_1)
	s_and_not1_b32 exec_lo, exec_lo, s24
	s_cbranch_execz .LBB7_16
.LBB7_23:                               ;   Parent Loop BB7_18 Depth=1
                                        ; =>  This Inner Loop Header: Depth=2
	s_cmp_eq_u64 s[6:7], 0
	s_cbranch_scc1 .LBB7_22
; %bb.24:                               ;   in Loop: Header=BB7_23 Depth=2
	global_load_u16 v33, v[26:27], off
	s_waitcnt vmcnt(0)
	v_mul_f16_e32 v32, v33, v32
	s_branch .LBB7_22
.LBB7_25:
	s_cbranch_execnz .LBB7_51
	s_branch .LBB7_75
.LBB7_26:
	s_or_b32 exec_lo, exec_lo, s13
.LBB7_27:
	s_mov_b32 s2, 0
.LBB7_28:
	s_delay_alu instid0(SALU_CYCLE_1)
	s_and_not1_b32 vcc_lo, exec_lo, s2
	s_cbranch_vccnz .LBB7_38
; %bb.29:
	s_waitcnt lgkmcnt(0)
	s_mov_b32 s1, exec_lo
	s_waitcnt vmcnt(0)
	v_cmpx_gt_i64_e64 v[2:3], v[0:1]
	s_cbranch_execz .LBB7_37
; %bb.30:
	v_lshlrev_b64 v[16:17], 1, v[12:13]
	v_mul_lo_u32 v20, v9, s10
	v_mul_lo_u32 v21, v8, s11
	s_cmp_eq_u64 s[8:9], 1
	s_cselect_b32 s0, -1, 0
	s_delay_alu instid0(VALU_DEP_3)
	v_add_co_u32 v16, vcc_lo, s18, v16
	v_add_co_ci_u32_e32 v17, vcc_lo, s19, v17, vcc_lo
	v_sub_co_u32 v18, vcc_lo, v2, v0
	v_sub_co_ci_u32_e32 v19, vcc_lo, v3, v1, vcc_lo
	global_load_u16 v26, v[16:17], off
	v_mad_u64_u32 v[16:17], null, v8, s10, 0
	v_cmp_lt_u64_e32 vcc_lo, 1, v[18:19]
	s_delay_alu instid0(VALU_DEP_2)
	v_add3_u32 v17, v17, v21, v20
	v_dual_mov_b32 v21, v1 :: v_dual_mov_b32 v20, v0
	s_and_b32 s3, vcc_lo, s0
	s_mov_b32 s0, -1
	s_and_saveexec_b32 s2, s3
	s_cbranch_execz .LBB7_34
; %bb.31:
	v_mul_lo_u32 v22, v17, s8
	v_mul_lo_u32 v23, v16, s9
	v_mad_u64_u32 v[20:21], null, v16, s8, 0
	v_lshlrev_b64 v[24:25], 1, v[10:11]
	s_mov_b32 s3, 0
	s_delay_alu instid0(VALU_DEP_2) | instskip(NEXT) | instid1(VALU_DEP_1)
	v_add3_u32 v21, v21, v23, v22
	v_lshlrev_b64 v[22:23], 1, v[20:21]
	v_dual_mov_b32 v21, v19 :: v_dual_and_b32 v20, -2, v18
	s_delay_alu instid0(VALU_DEP_2) | instskip(NEXT) | instid1(VALU_DEP_3)
	v_add_co_u32 v27, vcc_lo, s16, v22
	v_add_co_ci_u32_e32 v28, vcc_lo, s17, v23, vcc_lo
	v_lshlrev_b64 v[22:23], 1, v[0:1]
	s_delay_alu instid0(VALU_DEP_3) | instskip(NEXT) | instid1(VALU_DEP_3)
	v_add_co_u32 v24, vcc_lo, v27, v24
	v_add_co_ci_u32_e32 v25, vcc_lo, v28, v25, vcc_lo
	s_waitcnt vmcnt(0)
	v_perm_b32 v27, v26, v26, 0x5040100
	s_delay_alu instid0(VALU_DEP_3) | instskip(NEXT) | instid1(VALU_DEP_3)
	v_add_co_u32 v22, vcc_lo, v24, v22
	v_add_co_ci_u32_e32 v23, vcc_lo, v25, v23, vcc_lo
	v_dual_mov_b32 v25, v21 :: v_dual_mov_b32 v24, v20
.LBB7_32:                               ; =>This Inner Loop Header: Depth=1
	s_delay_alu instid0(VALU_DEP_1) | instskip(NEXT) | instid1(VALU_DEP_2)
	v_add_co_u32 v24, vcc_lo, v24, -2
	v_add_co_ci_u32_e32 v25, vcc_lo, -1, v25, vcc_lo
	global_store_b32 v[22:23], v27, off
	v_add_co_u32 v22, s0, v22, 4
	v_cmp_eq_u64_e32 vcc_lo, 0, v[24:25]
	v_add_co_ci_u32_e64 v23, s0, 0, v23, s0
	s_or_b32 s3, vcc_lo, s3
	s_delay_alu instid0(SALU_CYCLE_1)
	s_and_not1_b32 exec_lo, exec_lo, s3
	s_cbranch_execnz .LBB7_32
; %bb.33:
	s_or_b32 exec_lo, exec_lo, s3
	v_cmp_ne_u64_e32 vcc_lo, v[18:19], v[20:21]
	v_add_co_u32 v20, s0, v0, v20
	s_delay_alu instid0(VALU_DEP_1)
	v_add_co_ci_u32_e64 v21, s0, v1, v21, s0
	s_or_not1_b32 s0, vcc_lo, exec_lo
.LBB7_34:
	s_or_b32 exec_lo, exec_lo, s2
	s_delay_alu instid0(SALU_CYCLE_1)
	s_and_b32 exec_lo, exec_lo, s0
	s_cbranch_execz .LBB7_37
; %bb.35:
	v_lshlrev_b64 v[16:17], 1, v[16:17]
	v_lshlrev_b64 v[18:19], 1, v[20:21]
	s_lshl_b64 s[2:3], s[8:9], 1
	s_mov_b32 s4, 0
	s_delay_alu instid0(VALU_DEP_1) | instskip(NEXT) | instid1(VALU_DEP_2)
	v_add_co_u32 v22, vcc_lo, v16, v18
	v_add_co_ci_u32_e32 v18, vcc_lo, v17, v19, vcc_lo
	v_lshlrev_b64 v[16:17], 1, v[4:5]
	s_delay_alu instid0(VALU_DEP_3) | instskip(NEXT) | instid1(VALU_DEP_3)
	v_mul_lo_u32 v24, s9, v22
	v_mul_lo_u32 v23, s8, v18
	s_delay_alu instid0(VALU_DEP_3) | instskip(SKIP_1) | instid1(VALU_DEP_2)
	v_mad_u64_u32 v[18:19], null, s8, v22, v[16:17]
	v_lshlrev_b64 v[16:17], 1, v[6:7]
	v_add3_u32 v19, v24, v19, v23
	s_delay_alu instid0(VALU_DEP_2) | instskip(NEXT) | instid1(VALU_DEP_2)
	v_sub_co_u32 v16, vcc_lo, v18, v16
	v_sub_co_ci_u32_e32 v17, vcc_lo, v19, v17, vcc_lo
	s_delay_alu instid0(VALU_DEP_2) | instskip(NEXT) | instid1(VALU_DEP_2)
	v_add_co_u32 v16, vcc_lo, s16, v16
	v_add_co_ci_u32_e32 v17, vcc_lo, s17, v17, vcc_lo
.LBB7_36:                               ; =>This Inner Loop Header: Depth=1
	v_add_co_u32 v20, vcc_lo, v20, 1
	v_add_co_ci_u32_e32 v21, vcc_lo, 0, v21, vcc_lo
	s_waitcnt vmcnt(0)
	global_store_b16 v[16:17], v26, off
	v_add_co_u32 v16, s0, v16, s2
	v_cmp_ge_i64_e32 vcc_lo, v[20:21], v[2:3]
	v_add_co_ci_u32_e64 v17, s0, s3, v17, s0
	s_or_b32 s4, vcc_lo, s4
	s_delay_alu instid0(SALU_CYCLE_1)
	s_and_not1_b32 exec_lo, exec_lo, s4
	s_cbranch_execnz .LBB7_36
.LBB7_37:
	s_or_b32 exec_lo, exec_lo, s1
.LBB7_38:
	s_mov_b32 s2, 0
.LBB7_39:
	s_delay_alu instid0(SALU_CYCLE_1)
	s_and_not1_b32 vcc_lo, exec_lo, s2
	s_cbranch_vccnz .LBB7_50
; %bb.40:
	s_cmp_lg_u32 s12, 1
	s_cbranch_scc1 .LBB7_50
; %bb.41:
	s_waitcnt lgkmcnt(0)
	s_mov_b32 s1, exec_lo
	s_waitcnt vmcnt(0)
	v_cmpx_gt_i64_e64 v[2:3], v[0:1]
	s_cbranch_execz .LBB7_49
; %bb.42:
	v_lshlrev_b64 v[16:17], 1, v[12:13]
	v_mul_lo_u32 v20, v9, s10
	v_mul_lo_u32 v21, v8, s11
	s_cmp_eq_u64 s[8:9], 1
	s_mov_b32 s0, -1
	s_cselect_b32 s2, -1, 0
	v_add_co_u32 v16, vcc_lo, s18, v16
	v_add_co_ci_u32_e32 v17, vcc_lo, s19, v17, vcc_lo
	global_load_u16 v18, v[16:17], off
	v_xor_b32_e32 v16, v14, v15
	v_cls_i32_e32 v17, v15
	s_delay_alu instid0(VALU_DEP_2) | instskip(NEXT) | instid1(VALU_DEP_2)
	v_ashrrev_i32_e32 v16, 31, v16
	v_add_nc_u32_e32 v17, -1, v17
	s_delay_alu instid0(VALU_DEP_2) | instskip(NEXT) | instid1(VALU_DEP_1)
	v_add_nc_u32_e32 v16, 32, v16
	v_min_u32_e32 v16, v17, v16
	s_delay_alu instid0(VALU_DEP_1) | instskip(NEXT) | instid1(VALU_DEP_1)
	v_lshlrev_b64 v[14:15], v16, v[14:15]
	v_min_u32_e32 v14, 1, v14
	s_delay_alu instid0(VALU_DEP_1) | instskip(SKIP_1) | instid1(VALU_DEP_2)
	v_or_b32_e32 v14, v15, v14
	v_sub_nc_u32_e32 v15, 32, v16
	v_cvt_f32_i32_e32 v14, v14
	s_delay_alu instid0(VALU_DEP_1) | instskip(NEXT) | instid1(VALU_DEP_1)
	v_ldexp_f32 v14, v14, v15
	v_cvt_f16_f32_e32 v19, v14
	s_delay_alu instid0(VALU_DEP_1) | instskip(NEXT) | instid1(VALU_DEP_1)
	v_cvt_f32_f16_e32 v14, v19
	v_rcp_f32_e32 v14, v14
	s_waitcnt vmcnt(0)
	v_cvt_f32_f16_e32 v15, v18
	s_waitcnt_depctr 0xfff
	v_mul_f32_e32 v16, v15, v14
	s_delay_alu instid0(VALU_DEP_1) | instskip(NEXT) | instid1(VALU_DEP_1)
	v_fma_mix_f32 v15, -v19, v16, v18 op_sel_hi:[1,0,1]
	v_fmac_f32_e32 v16, v15, v14
	s_delay_alu instid0(VALU_DEP_1) | instskip(NEXT) | instid1(VALU_DEP_1)
	v_fma_mix_f32 v15, -v19, v16, v18 op_sel_hi:[1,0,1]
	v_mul_f32_e32 v14, v15, v14
	s_delay_alu instid0(VALU_DEP_1) | instskip(SKIP_1) | instid1(VALU_DEP_2)
	v_and_b32_e32 v17, 0xff800000, v14
	v_mad_u64_u32 v[14:15], null, v8, s10, 0
	v_add_f32_e32 v22, v17, v16
	v_sub_co_u32 v16, vcc_lo, v2, v0
	v_sub_co_ci_u32_e32 v17, vcc_lo, v3, v1, vcc_lo
	s_delay_alu instid0(VALU_DEP_3) | instskip(SKIP_1) | instid1(VALU_DEP_3)
	v_cvt_f16_f32_e32 v22, v22
	v_add3_u32 v15, v15, v21, v20
	v_cmp_lt_u64_e32 vcc_lo, 1, v[16:17]
	s_delay_alu instid0(VALU_DEP_3) | instskip(SKIP_2) | instid1(SALU_CYCLE_1)
	v_div_fixup_f16 v24, v22, v19, v18
	v_dual_mov_b32 v19, v1 :: v_dual_mov_b32 v18, v0
	s_and_b32 s3, vcc_lo, s2
	s_and_saveexec_b32 s2, s3
	s_cbranch_execz .LBB7_46
; %bb.43:
	v_mul_lo_u32 v20, v15, s8
	v_mul_lo_u32 v21, v14, s9
	v_mad_u64_u32 v[18:19], null, v14, s8, 0
	v_lshlrev_b64 v[22:23], 1, v[10:11]
	s_mov_b32 s3, 0
	s_delay_alu instid0(VALU_DEP_2) | instskip(NEXT) | instid1(VALU_DEP_1)
	v_add3_u32 v19, v19, v21, v20
	v_lshlrev_b64 v[20:21], 1, v[18:19]
	v_dual_mov_b32 v19, v17 :: v_dual_and_b32 v18, -2, v16
	s_delay_alu instid0(VALU_DEP_2) | instskip(NEXT) | instid1(VALU_DEP_3)
	v_add_co_u32 v25, vcc_lo, s16, v20
	v_add_co_ci_u32_e32 v26, vcc_lo, s17, v21, vcc_lo
	v_lshlrev_b64 v[20:21], 1, v[0:1]
	s_delay_alu instid0(VALU_DEP_3) | instskip(NEXT) | instid1(VALU_DEP_3)
	v_add_co_u32 v22, vcc_lo, v25, v22
	v_add_co_ci_u32_e32 v23, vcc_lo, v26, v23, vcc_lo
	v_perm_b32 v25, v24, v24, 0x5040100
	s_delay_alu instid0(VALU_DEP_3) | instskip(NEXT) | instid1(VALU_DEP_3)
	v_add_co_u32 v20, vcc_lo, v22, v20
	v_add_co_ci_u32_e32 v21, vcc_lo, v23, v21, vcc_lo
	v_dual_mov_b32 v23, v19 :: v_dual_mov_b32 v22, v18
.LBB7_44:                               ; =>This Inner Loop Header: Depth=1
	s_delay_alu instid0(VALU_DEP_1) | instskip(NEXT) | instid1(VALU_DEP_2)
	v_add_co_u32 v22, vcc_lo, v22, -2
	v_add_co_ci_u32_e32 v23, vcc_lo, -1, v23, vcc_lo
	global_store_b32 v[20:21], v25, off
	v_add_co_u32 v20, s0, v20, 4
	v_cmp_eq_u64_e32 vcc_lo, 0, v[22:23]
	v_add_co_ci_u32_e64 v21, s0, 0, v21, s0
	s_or_b32 s3, vcc_lo, s3
	s_delay_alu instid0(SALU_CYCLE_1)
	s_and_not1_b32 exec_lo, exec_lo, s3
	s_cbranch_execnz .LBB7_44
; %bb.45:
	s_or_b32 exec_lo, exec_lo, s3
	v_cmp_ne_u64_e32 vcc_lo, v[16:17], v[18:19]
	v_add_co_u32 v18, s0, v0, v18
	s_delay_alu instid0(VALU_DEP_1)
	v_add_co_ci_u32_e64 v19, s0, v1, v19, s0
	s_or_not1_b32 s0, vcc_lo, exec_lo
.LBB7_46:
	s_or_b32 exec_lo, exec_lo, s2
	s_delay_alu instid0(SALU_CYCLE_1)
	s_and_b32 exec_lo, exec_lo, s0
	s_cbranch_execz .LBB7_49
; %bb.47:
	v_lshlrev_b64 v[14:15], 1, v[14:15]
	v_lshlrev_b64 v[16:17], 1, v[18:19]
	s_lshl_b64 s[2:3], s[8:9], 1
	s_mov_b32 s4, 0
	s_delay_alu instid0(VALU_DEP_1) | instskip(NEXT) | instid1(VALU_DEP_2)
	v_add_co_u32 v20, vcc_lo, v14, v16
	v_add_co_ci_u32_e32 v16, vcc_lo, v15, v17, vcc_lo
	v_lshlrev_b64 v[14:15], 1, v[4:5]
	s_delay_alu instid0(VALU_DEP_3) | instskip(NEXT) | instid1(VALU_DEP_3)
	v_mul_lo_u32 v22, s9, v20
	v_mul_lo_u32 v21, s8, v16
	s_delay_alu instid0(VALU_DEP_3) | instskip(SKIP_1) | instid1(VALU_DEP_2)
	v_mad_u64_u32 v[16:17], null, s8, v20, v[14:15]
	v_lshlrev_b64 v[14:15], 1, v[6:7]
	v_add3_u32 v17, v22, v17, v21
	s_delay_alu instid0(VALU_DEP_2) | instskip(NEXT) | instid1(VALU_DEP_2)
	v_sub_co_u32 v14, vcc_lo, v16, v14
	v_sub_co_ci_u32_e32 v15, vcc_lo, v17, v15, vcc_lo
	s_delay_alu instid0(VALU_DEP_2) | instskip(NEXT) | instid1(VALU_DEP_2)
	v_add_co_u32 v14, vcc_lo, s16, v14
	v_add_co_ci_u32_e32 v15, vcc_lo, s17, v15, vcc_lo
.LBB7_48:                               ; =>This Inner Loop Header: Depth=1
	v_add_co_u32 v18, vcc_lo, v18, 1
	v_add_co_ci_u32_e32 v19, vcc_lo, 0, v19, vcc_lo
	global_store_b16 v[14:15], v24, off
	v_add_co_u32 v14, s0, v14, s2
	v_cmp_ge_i64_e32 vcc_lo, v[18:19], v[2:3]
	v_add_co_ci_u32_e64 v15, s0, s3, v15, s0
	s_or_b32 s4, vcc_lo, s4
	s_delay_alu instid0(SALU_CYCLE_1)
	s_and_not1_b32 exec_lo, exec_lo, s4
	s_cbranch_execnz .LBB7_48
.LBB7_49:
	s_or_b32 exec_lo, exec_lo, s1
.LBB7_50:
	s_branch .LBB7_75
.LBB7_51:
	s_waitcnt vmcnt(0)
	v_cmp_le_i64_e32 vcc_lo, v[2:3], v[0:1]
	v_mov_b32_e32 v14, 0
	v_mov_b32_e32 v15, 0
	s_mov_b32 s4, exec_lo
	v_cmpx_gt_i64_e64 v[2:3], v[0:1]
	s_cbranch_execz .LBB7_59
; %bb.52:
	v_mad_u64_u32 v[14:15], null, v8, s10, v[0:1]
	v_mul_lo_u32 v16, v8, s11
	v_mul_lo_u32 v17, v9, s10
	s_lshl_b64 s[2:3], s[8:9], 1
	s_mov_b32 s5, 0
	v_dual_mov_b32 v21, v1 :: v_dual_mov_b32 v20, v0
	s_delay_alu instid0(VALU_DEP_4) | instskip(NEXT) | instid1(VALU_DEP_3)
	v_mul_lo_u32 v19, s9, v14
	v_add3_u32 v17, v17, v15, v16
	v_mad_u64_u32 v[15:16], null, s8, v14, v[4:5]
	s_delay_alu instid0(VALU_DEP_2) | instskip(SKIP_1) | instid1(VALU_DEP_1)
	v_mul_lo_u32 v14, s8, v17
	v_lshlrev_b64 v[17:18], 1, v[12:13]
	v_add_co_u32 v12, s0, s20, v17
	s_delay_alu instid0(VALU_DEP_3) | instskip(NEXT) | instid1(VALU_DEP_3)
	v_add3_u32 v16, v19, v16, v14
	v_add_co_ci_u32_e64 v13, s0, s21, v18, s0
	v_sub_co_u32 v14, s0, v15, v6
	s_delay_alu instid0(VALU_DEP_1) | instskip(SKIP_1) | instid1(VALU_DEP_1)
	v_sub_co_ci_u32_e64 v15, s0, v16, v7, s0
	v_add_co_u32 v16, s0, s18, v17
	v_add_co_ci_u32_e64 v17, s0, s19, v18, s0
	s_delay_alu instid0(VALU_DEP_3)
	v_lshlrev_b64 v[18:19], 1, v[14:15]
	v_mov_b32_e32 v14, 0
	v_mov_b32_e32 v15, 0
	s_set_inst_prefetch_distance 0x1
	s_branch .LBB7_54
	.p2align	6
.LBB7_53:                               ;   in Loop: Header=BB7_54 Depth=1
	s_or_b32 exec_lo, exec_lo, s1
	v_add_co_u32 v20, s0, v20, 1
	s_delay_alu instid0(VALU_DEP_1) | instskip(SKIP_1) | instid1(VALU_DEP_1)
	v_add_co_ci_u32_e64 v21, s0, 0, v21, s0
	v_add_co_u32 v18, s1, v18, s2
	v_add_co_ci_u32_e64 v19, s1, s3, v19, s1
	s_delay_alu instid0(VALU_DEP_3) | instskip(NEXT) | instid1(VALU_DEP_1)
	v_cmp_ge_i64_e64 s0, v[20:21], v[2:3]
	s_or_b32 s5, s0, s5
	s_delay_alu instid0(SALU_CYCLE_1)
	s_and_not1_b32 exec_lo, exec_lo, s5
	s_cbranch_execz .LBB7_58
.LBB7_54:                               ; =>This Inner Loop Header: Depth=1
	s_delay_alu instid0(VALU_DEP_3) | instskip(NEXT) | instid1(VALU_DEP_1)
	v_add_co_u32 v22, s0, s22, v18
	v_add_co_ci_u32_e64 v23, s0, s23, v19, s0
	s_waitcnt lgkmcnt(0)
	s_mov_b32 s1, exec_lo
	global_load_u16 v22, v[22:23], off
	s_waitcnt vmcnt(0)
	v_cmp_u_f16_e64 s6, v22, v22
	v_cmpx_o_f16_e32 v22, v22
	s_cbranch_execz .LBB7_56
; %bb.55:                               ;   in Loop: Header=BB7_54 Depth=1
	global_load_u16 v23, v[12:13], off
	s_and_not1_b32 s6, s6, exec_lo
	s_waitcnt vmcnt(0)
	v_cmp_eq_f16_e64 s0, v22, v23
	s_delay_alu instid0(VALU_DEP_1) | instskip(NEXT) | instid1(SALU_CYCLE_1)
	s_and_b32 s0, s0, exec_lo
	s_or_b32 s6, s6, s0
.LBB7_56:                               ;   in Loop: Header=BB7_54 Depth=1
	s_or_b32 exec_lo, exec_lo, s1
	s_delay_alu instid0(VALU_DEP_2)
	s_and_saveexec_b32 s1, s6
	s_cbranch_execz .LBB7_53
; %bb.57:                               ;   in Loop: Header=BB7_54 Depth=1
	global_load_u16 v24, v[16:17], off
	v_add_co_u32 v22, s0, s16, v18
	s_delay_alu instid0(VALU_DEP_1) | instskip(SKIP_1) | instid1(VALU_DEP_1)
	v_add_co_ci_u32_e64 v23, s0, s17, v19, s0
	v_add_co_u32 v14, s0, v14, 1
	v_add_co_ci_u32_e64 v15, s0, 0, v15, s0
	s_waitcnt vmcnt(0)
	global_store_b16 v[22:23], v24, off
	s_branch .LBB7_53
.LBB7_58:
	s_set_inst_prefetch_distance 0x2
	s_or_b32 exec_lo, exec_lo, s5
.LBB7_59:
	s_delay_alu instid0(SALU_CYCLE_1)
	s_or_b32 exec_lo, exec_lo, s4
	v_cmp_lt_i64_e64 s0, 1, v[14:15]
	s_waitcnt lgkmcnt(0)
	s_xor_b32 s1, vcc_lo, -1
	s_delay_alu instid0(VALU_DEP_1) | instid1(SALU_CYCLE_1)
	s_and_b32 s0, s0, s1
	s_delay_alu instid0(SALU_CYCLE_1)
	s_and_b32 exec_lo, exec_lo, s0
	s_cbranch_execz .LBB7_75
; %bb.60:
	v_clz_i32_u32_e32 v12, v15
	s_mov_b32 s2, exec_lo
	s_delay_alu instid0(VALU_DEP_1) | instskip(NEXT) | instid1(VALU_DEP_1)
	v_min_u32_e32 v16, 32, v12
	v_lshlrev_b64 v[12:13], v16, v[14:15]
	v_mul_lo_u32 v14, v9, s10
	v_sub_nc_u32_e32 v16, 32, v16
	v_mul_lo_u32 v15, v8, s11
	s_delay_alu instid0(VALU_DEP_4) | instskip(NEXT) | instid1(VALU_DEP_1)
	v_min_u32_e32 v12, 1, v12
	v_or_b32_e32 v9, v13, v12
	v_mad_u64_u32 v[12:13], null, v8, s10, 0
	v_sub_co_u32 v8, vcc_lo, v2, v0
	s_delay_alu instid0(VALU_DEP_3) | instskip(SKIP_1) | instid1(VALU_DEP_4)
	v_cvt_f32_u32_e32 v17, v9
	v_sub_co_ci_u32_e32 v9, vcc_lo, v3, v1, vcc_lo
	v_add3_u32 v13, v13, v15, v14
	s_delay_alu instid0(VALU_DEP_3) | instskip(NEXT) | instid1(VALU_DEP_3)
	v_ldexp_f32 v16, v17, v16
	v_cmp_gt_u64_e32 vcc_lo, 34, v[8:9]
	s_delay_alu instid0(VALU_DEP_2)
	v_cvt_f16_f32_e32 v18, v16
	v_cmpx_lt_u64_e32 33, v[8:9]
	s_cbranch_execz .LBB7_70
; %bb.61:
	v_add_co_u32 v14, s0, v12, v0
	s_delay_alu instid0(VALU_DEP_1) | instskip(SKIP_1) | instid1(VALU_DEP_3)
	v_add_co_ci_u32_e64 v16, s0, v13, v1, s0
	v_not_b32_e32 v17, v0
	v_add_co_u32 v10, s0, v14, v10
	v_not_b32_e32 v15, v1
	s_delay_alu instid0(VALU_DEP_4) | instskip(NEXT) | instid1(VALU_DEP_4)
	v_add_co_ci_u32_e64 v11, s0, v16, v11, s0
	v_add_co_u32 v14, s0, v2, v17
	s_delay_alu instid0(VALU_DEP_1) | instskip(NEXT) | instid1(VALU_DEP_3)
	v_add_co_ci_u32_e64 v15, s0, v3, v15, s0
	v_lshlrev_b64 v[10:11], 1, v[10:11]
	s_cmp_eq_u64 s[8:9], 1
	s_delay_alu instid0(VALU_DEP_2) | instskip(SKIP_1) | instid1(VALU_DEP_2)
	v_lshlrev_b64 v[16:17], 1, v[14:15]
	s_cselect_b32 s3, -1, 0
	v_add_co_u32 v10, s0, s16, v10
	s_delay_alu instid0(VALU_DEP_1) | instskip(NEXT) | instid1(VALU_DEP_2)
	v_add_co_ci_u32_e64 v11, s0, s17, v11, s0
	v_add_co_u32 v16, s0, v10, v16
	s_delay_alu instid0(VALU_DEP_1) | instskip(SKIP_1) | instid1(VALU_DEP_2)
	v_add_co_ci_u32_e64 v17, s0, v11, v17, s0
	v_cmp_lt_i64_e64 s0, -1, v[14:15]
	v_cmp_ge_u64_e64 s1, v[16:17], v[10:11]
	s_delay_alu instid0(VALU_DEP_1) | instskip(NEXT) | instid1(SALU_CYCLE_1)
	s_and_b32 s0, s1, s0
	s_and_b32 s1, s3, s0
	s_mov_b32 s0, -1
	s_and_saveexec_b32 s3, s1
	s_cbranch_execz .LBB7_69
; %bb.62:
	v_lshlrev_b64 v[14:15], 1, v[12:13]
	v_lshlrev_b64 v[16:17], 1, v[4:5]
	;; [unrolled: 1-line block ×3, first 2 shown]
	v_and_b32_e32 v10, -2, v8
	s_mov_b32 s4, 0
	s_delay_alu instid0(VALU_DEP_3) | instskip(NEXT) | instid1(VALU_DEP_1)
	v_add_co_u32 v11, s0, v14, v16
	v_add_co_ci_u32_e64 v16, s0, v15, v17, s0
	v_lshlrev_b64 v[14:15], 1, v[6:7]
	s_delay_alu instid0(VALU_DEP_3) | instskip(SKIP_1) | instid1(VALU_DEP_4)
	v_add_co_u32 v17, s0, v11, v19
	v_mov_b32_e32 v11, v9
	v_add_co_ci_u32_e64 v16, s0, v16, v20, s0
	s_delay_alu instid0(VALU_DEP_3) | instskip(NEXT) | instid1(VALU_DEP_1)
	v_sub_co_u32 v14, s0, v17, v14
	v_sub_co_ci_u32_e64 v15, s0, v16, v15, s0
	v_cvt_f32_f16_e32 v16, v18
	s_delay_alu instid0(VALU_DEP_3) | instskip(NEXT) | instid1(VALU_DEP_1)
	v_add_co_u32 v14, s0, v14, s16
	v_add_co_ci_u32_e64 v15, s0, s17, v15, s0
	s_delay_alu instid0(VALU_DEP_3) | instskip(NEXT) | instid1(VALU_DEP_2)
	v_rcp_f32_e32 v19, v16
	v_add_co_u32 v14, s0, v14, 2
	s_delay_alu instid0(VALU_DEP_1)
	v_add_co_ci_u32_e64 v15, s0, 0, v15, s0
	v_dual_mov_b32 v17, v11 :: v_dual_mov_b32 v16, v10
	s_branch .LBB7_64
.LBB7_63:                               ;   in Loop: Header=BB7_64 Depth=1
	s_or_b32 exec_lo, exec_lo, s1
	v_add_co_u32 v16, s0, v16, -2
	s_delay_alu instid0(VALU_DEP_1) | instskip(SKIP_1) | instid1(VALU_DEP_1)
	v_add_co_ci_u32_e64 v17, s0, -1, v17, s0
	v_add_co_u32 v14, s1, v14, 4
	v_add_co_ci_u32_e64 v15, s1, 0, v15, s1
	s_delay_alu instid0(VALU_DEP_3) | instskip(NEXT) | instid1(VALU_DEP_1)
	v_cmp_eq_u64_e64 s0, 0, v[16:17]
	s_or_b32 s4, s0, s4
	s_delay_alu instid0(SALU_CYCLE_1)
	s_and_not1_b32 exec_lo, exec_lo, s4
	s_cbranch_execz .LBB7_68
.LBB7_64:                               ; =>This Inner Loop Header: Depth=1
	global_load_b32 v21, v[14:15], off offset:-2
	s_mov_b32 s5, exec_lo
	s_waitcnt vmcnt(0)
	v_lshrrev_b32_e32 v20, 16, v21
	s_delay_alu instid0(VALU_DEP_1)
	v_cmp_lt_f16_e64 s0, 0, v20
	v_cmpx_lt_f16_e32 0, v21
	s_cbranch_execz .LBB7_66
; %bb.65:                               ;   in Loop: Header=BB7_64 Depth=1
	v_cvt_f32_f16_e32 v22, v21
	s_delay_alu instid0(VALU_DEP_1) | instskip(NEXT) | instid1(VALU_DEP_1)
	v_mul_f32_e32 v22, v22, v19
	v_fma_mix_f32 v23, -v18, v22, v21 op_sel_hi:[1,0,1]
	s_delay_alu instid0(VALU_DEP_1) | instskip(NEXT) | instid1(VALU_DEP_1)
	v_fmac_f32_e32 v22, v23, v19
	v_fma_mix_f32 v23, -v18, v22, v21 op_sel_hi:[1,0,1]
	s_delay_alu instid0(VALU_DEP_1) | instskip(NEXT) | instid1(VALU_DEP_1)
	v_mul_f32_e32 v23, v23, v19
	v_and_b32_e32 v23, 0xff800000, v23
	s_delay_alu instid0(VALU_DEP_1) | instskip(NEXT) | instid1(VALU_DEP_1)
	v_add_f32_e32 v22, v23, v22
	v_cvt_f16_f32_e32 v22, v22
	s_delay_alu instid0(VALU_DEP_1)
	v_div_fixup_f16 v22, v22, v18, v21
	global_store_b16 v[14:15], v22, off offset:-2
.LBB7_66:                               ;   in Loop: Header=BB7_64 Depth=1
	s_or_b32 exec_lo, exec_lo, s5
	s_delay_alu instid0(VALU_DEP_2)
	s_and_saveexec_b32 s1, s0
	s_cbranch_execz .LBB7_63
; %bb.67:                               ;   in Loop: Header=BB7_64 Depth=1
	v_cvt_f32_f16_e32 v22, v20
	s_delay_alu instid0(VALU_DEP_1) | instskip(NEXT) | instid1(VALU_DEP_1)
	v_mul_f32_e32 v22, v22, v19
	v_fma_mix_f32 v23, -v18, v22, v21 op_sel:[0,0,1] op_sel_hi:[1,0,1]
	s_delay_alu instid0(VALU_DEP_1) | instskip(NEXT) | instid1(VALU_DEP_1)
	v_fmac_f32_e32 v22, v23, v19
	v_fma_mix_f32 v21, -v18, v22, v21 op_sel:[0,0,1] op_sel_hi:[1,0,1]
	s_delay_alu instid0(VALU_DEP_1) | instskip(NEXT) | instid1(VALU_DEP_1)
	v_mul_f32_e32 v21, v21, v19
	v_and_b32_e32 v21, 0xff800000, v21
	s_delay_alu instid0(VALU_DEP_1) | instskip(NEXT) | instid1(VALU_DEP_1)
	v_add_f32_e32 v21, v21, v22
	v_cvt_f16_f32_e32 v21, v21
	s_delay_alu instid0(VALU_DEP_1)
	v_div_fixup_f16 v20, v21, v18, v20
	global_store_b16 v[14:15], v20, off
	s_branch .LBB7_63
.LBB7_68:
	s_or_b32 exec_lo, exec_lo, s4
	v_cmp_ne_u64_e64 s0, v[8:9], v[10:11]
	v_add_co_u32 v0, s1, v0, v10
	s_delay_alu instid0(VALU_DEP_1) | instskip(NEXT) | instid1(VALU_DEP_3)
	v_add_co_ci_u32_e64 v1, s1, v1, v11, s1
	s_or_not1_b32 s0, s0, exec_lo
.LBB7_69:
	s_or_b32 exec_lo, exec_lo, s3
	s_delay_alu instid0(SALU_CYCLE_1) | instskip(SKIP_1) | instid1(SALU_CYCLE_1)
	s_and_not1_b32 s1, vcc_lo, exec_lo
	s_and_b32 s0, s0, exec_lo
	s_or_b32 vcc_lo, s1, s0
.LBB7_70:
	s_or_b32 exec_lo, exec_lo, s2
	s_delay_alu instid0(SALU_CYCLE_1)
	s_and_b32 exec_lo, exec_lo, vcc_lo
	s_cbranch_execz .LBB7_75
; %bb.71:
	v_lshlrev_b64 v[8:9], 1, v[12:13]
	v_lshlrev_b64 v[10:11], 1, v[0:1]
	v_lshlrev_b64 v[4:5], 1, v[4:5]
	s_lshl_b64 s[2:3], s[8:9], 1
	s_mov_b32 s1, 0
	s_delay_alu instid0(VALU_DEP_2) | instskip(NEXT) | instid1(VALU_DEP_3)
	v_add_co_u32 v10, vcc_lo, v8, v10
	v_add_co_ci_u32_e32 v8, vcc_lo, v9, v11, vcc_lo
	s_delay_alu instid0(VALU_DEP_2) | instskip(NEXT) | instid1(VALU_DEP_2)
	v_mul_lo_u32 v12, s9, v10
	v_mul_lo_u32 v11, s8, v8
	v_mad_u64_u32 v[8:9], null, s8, v10, v[4:5]
	v_lshlrev_b64 v[4:5], 1, v[6:7]
	v_cvt_f32_f16_e32 v7, v18
	s_delay_alu instid0(VALU_DEP_3) | instskip(NEXT) | instid1(VALU_DEP_3)
	v_add3_u32 v6, v12, v9, v11
	v_sub_co_u32 v4, vcc_lo, v8, v4
	s_delay_alu instid0(VALU_DEP_2) | instskip(NEXT) | instid1(VALU_DEP_4)
	v_sub_co_ci_u32_e32 v5, vcc_lo, v6, v5, vcc_lo
	v_rcp_f32_e32 v6, v7
	s_delay_alu instid0(VALU_DEP_2) | instskip(NEXT) | instid1(VALU_DEP_2)
	v_add_co_u32 v4, vcc_lo, s16, v4
	v_add_co_ci_u32_e32 v5, vcc_lo, s17, v5, vcc_lo
	s_set_inst_prefetch_distance 0x1
	s_branch .LBB7_73
	.p2align	6
.LBB7_72:                               ;   in Loop: Header=BB7_73 Depth=1
	s_or_b32 exec_lo, exec_lo, s0
	v_add_co_u32 v0, vcc_lo, v0, 1
	v_add_co_ci_u32_e32 v1, vcc_lo, 0, v1, vcc_lo
	v_add_co_u32 v4, s0, v4, s2
	s_delay_alu instid0(VALU_DEP_1) | instskip(NEXT) | instid1(VALU_DEP_3)
	v_add_co_ci_u32_e64 v5, s0, s3, v5, s0
	v_cmp_ge_i64_e32 vcc_lo, v[0:1], v[2:3]
	s_or_b32 s1, vcc_lo, s1
	s_delay_alu instid0(SALU_CYCLE_1)
	s_and_not1_b32 exec_lo, exec_lo, s1
	s_cbranch_execz .LBB7_75
.LBB7_73:                               ; =>This Inner Loop Header: Depth=1
	global_load_u16 v7, v[4:5], off
	s_mov_b32 s0, exec_lo
	s_waitcnt vmcnt(0)
	v_cmpx_lt_f16_e32 0, v7
	s_cbranch_execz .LBB7_72
; %bb.74:                               ;   in Loop: Header=BB7_73 Depth=1
	v_cvt_f32_f16_e32 v8, v7
	s_delay_alu instid0(VALU_DEP_1) | instskip(NEXT) | instid1(VALU_DEP_1)
	v_mul_f32_e32 v8, v8, v6
	v_fma_mix_f32 v9, -v18, v8, v7 op_sel_hi:[1,0,1]
	s_delay_alu instid0(VALU_DEP_1) | instskip(NEXT) | instid1(VALU_DEP_1)
	v_fmac_f32_e32 v8, v9, v6
	v_fma_mix_f32 v9, -v18, v8, v7 op_sel_hi:[1,0,1]
	s_delay_alu instid0(VALU_DEP_1) | instskip(NEXT) | instid1(VALU_DEP_1)
	v_mul_f32_e32 v9, v9, v6
	v_and_b32_e32 v9, 0xff800000, v9
	s_delay_alu instid0(VALU_DEP_1) | instskip(NEXT) | instid1(VALU_DEP_1)
	v_add_f32_e32 v8, v9, v8
	v_cvt_f16_f32_e32 v8, v8
	s_delay_alu instid0(VALU_DEP_1)
	v_div_fixup_f16 v7, v8, v18, v7
	global_store_b16 v[4:5], v7, off
	s_branch .LBB7_72
.LBB7_75:
	s_set_inst_prefetch_distance 0x2
	s_nop 0
	s_sendmsg sendmsg(MSG_DEALLOC_VGPRS)
	s_endpgm
	.section	.rodata,"a",@progbits
	.p2align	6, 0x0
	.amdhsa_kernel _ZN2at6native12_GLOBAL__N_130segment_reduce_backward_kernelIN3c104HalfElEEvNS0_13ReductionTypeEPT_PKS6_S9_S9_PKT0_SC_llS6_lllllll
		.amdhsa_group_segment_fixed_size 0
		.amdhsa_private_segment_fixed_size 0
		.amdhsa_kernarg_size 392
		.amdhsa_user_sgpr_count 15
		.amdhsa_user_sgpr_dispatch_ptr 0
		.amdhsa_user_sgpr_queue_ptr 0
		.amdhsa_user_sgpr_kernarg_segment_ptr 1
		.amdhsa_user_sgpr_dispatch_id 0
		.amdhsa_user_sgpr_private_segment_size 0
		.amdhsa_wavefront_size32 1
		.amdhsa_uses_dynamic_stack 0
		.amdhsa_enable_private_segment 0
		.amdhsa_system_sgpr_workgroup_id_x 1
		.amdhsa_system_sgpr_workgroup_id_y 0
		.amdhsa_system_sgpr_workgroup_id_z 0
		.amdhsa_system_sgpr_workgroup_info 0
		.amdhsa_system_vgpr_workitem_id 0
		.amdhsa_next_free_vgpr 34
		.amdhsa_next_free_sgpr 44
		.amdhsa_reserve_vcc 1
		.amdhsa_float_round_mode_32 0
		.amdhsa_float_round_mode_16_64 0
		.amdhsa_float_denorm_mode_32 3
		.amdhsa_float_denorm_mode_16_64 3
		.amdhsa_dx10_clamp 1
		.amdhsa_ieee_mode 1
		.amdhsa_fp16_overflow 0
		.amdhsa_workgroup_processor_mode 1
		.amdhsa_memory_ordered 1
		.amdhsa_forward_progress 0
		.amdhsa_shared_vgpr_count 0
		.amdhsa_exception_fp_ieee_invalid_op 0
		.amdhsa_exception_fp_denorm_src 0
		.amdhsa_exception_fp_ieee_div_zero 0
		.amdhsa_exception_fp_ieee_overflow 0
		.amdhsa_exception_fp_ieee_underflow 0
		.amdhsa_exception_fp_ieee_inexact 0
		.amdhsa_exception_int_div_zero 0
	.end_amdhsa_kernel
	.section	.text._ZN2at6native12_GLOBAL__N_130segment_reduce_backward_kernelIN3c104HalfElEEvNS0_13ReductionTypeEPT_PKS6_S9_S9_PKT0_SC_llS6_lllllll,"axG",@progbits,_ZN2at6native12_GLOBAL__N_130segment_reduce_backward_kernelIN3c104HalfElEEvNS0_13ReductionTypeEPT_PKS6_S9_S9_PKT0_SC_llS6_lllllll,comdat
.Lfunc_end7:
	.size	_ZN2at6native12_GLOBAL__N_130segment_reduce_backward_kernelIN3c104HalfElEEvNS0_13ReductionTypeEPT_PKS6_S9_S9_PKT0_SC_llS6_lllllll, .Lfunc_end7-_ZN2at6native12_GLOBAL__N_130segment_reduce_backward_kernelIN3c104HalfElEEvNS0_13ReductionTypeEPT_PKS6_S9_S9_PKT0_SC_llS6_lllllll
                                        ; -- End function
	.section	.AMDGPU.csdata,"",@progbits
; Kernel info:
; codeLenInByte = 6320
; NumSgprs: 46
; NumVgprs: 34
; ScratchSize: 0
; MemoryBound: 0
; FloatMode: 240
; IeeeMode: 1
; LDSByteSize: 0 bytes/workgroup (compile time only)
; SGPRBlocks: 5
; VGPRBlocks: 4
; NumSGPRsForWavesPerEU: 46
; NumVGPRsForWavesPerEU: 34
; Occupancy: 16
; WaveLimiterHint : 1
; COMPUTE_PGM_RSRC2:SCRATCH_EN: 0
; COMPUTE_PGM_RSRC2:USER_SGPR: 15
; COMPUTE_PGM_RSRC2:TRAP_HANDLER: 0
; COMPUTE_PGM_RSRC2:TGID_X_EN: 1
; COMPUTE_PGM_RSRC2:TGID_Y_EN: 0
; COMPUTE_PGM_RSRC2:TGID_Z_EN: 0
; COMPUTE_PGM_RSRC2:TIDIG_COMP_CNT: 0
	.section	.text._ZN2at6native12_GLOBAL__N_129segment_reduce_forward_kernelIdiEEvNS0_13ReductionTypeEPT_PKS4_PKT0_SA_llbS4_lllllll,"axG",@progbits,_ZN2at6native12_GLOBAL__N_129segment_reduce_forward_kernelIdiEEvNS0_13ReductionTypeEPT_PKS4_PKT0_SA_llbS4_lllllll,comdat
	.globl	_ZN2at6native12_GLOBAL__N_129segment_reduce_forward_kernelIdiEEvNS0_13ReductionTypeEPT_PKS4_PKT0_SA_llbS4_lllllll ; -- Begin function _ZN2at6native12_GLOBAL__N_129segment_reduce_forward_kernelIdiEEvNS0_13ReductionTypeEPT_PKS4_PKT0_SA_llbS4_lllllll
	.p2align	8
	.type	_ZN2at6native12_GLOBAL__N_129segment_reduce_forward_kernelIdiEEvNS0_13ReductionTypeEPT_PKS4_PKT0_SA_llbS4_lllllll,@function
_ZN2at6native12_GLOBAL__N_129segment_reduce_forward_kernelIdiEEvNS0_13ReductionTypeEPT_PKS4_PKT0_SA_llbS4_lllllll: ; @_ZN2at6native12_GLOBAL__N_129segment_reduce_forward_kernelIdiEEvNS0_13ReductionTypeEPT_PKS4_PKT0_SA_llbS4_lllllll
; %bb.0:
	s_clause 0x2
	s_load_b128 s[36:39], s[0:1], 0x28
	s_load_b32 s2, s[0:1], 0x8c
	s_load_b512 s[16:31], s[0:1], 0x40
	v_mov_b32_e32 v4, 0
	s_delay_alu instid0(VALU_DEP_1)
	v_mov_b32_e32 v1, v4
	s_waitcnt lgkmcnt(0)
	s_and_b32 s2, s2, 0xffff
	s_mul_i32 s3, s18, s37
	s_mul_hi_u32 s4, s18, s36
	s_mul_i32 s5, s19, s36
	s_mul_i32 s6, s18, s36
	v_mad_u64_u32 v[2:3], null, s2, s15, v[0:1]
	s_add_i32 s2, s4, s3
	s_mul_i32 s3, s6, s21
	s_mul_hi_u32 s4, s6, s20
	s_add_i32 s2, s2, s5
	s_add_i32 s3, s4, s3
	s_mul_i32 s2, s2, s20
	s_delay_alu instid0(SALU_CYCLE_1) | instskip(SKIP_1) | instid1(SALU_CYCLE_1)
	s_add_i32 s3, s3, s2
	s_mul_i32 s2, s6, s20
	v_cmp_gt_i64_e32 vcc_lo, s[2:3], v[2:3]
	s_and_saveexec_b32 s2, vcc_lo
	s_cbranch_execz .LBB8_35
; %bb.1:
	v_or_b32_e32 v5, s21, v3
                                        ; implicit-def: $vgpr6_vgpr7
	s_mov_b32 s2, exec_lo
	s_delay_alu instid0(VALU_DEP_1)
	v_cmpx_ne_u64_e32 0, v[4:5]
	s_xor_b32 s3, exec_lo, s2
	s_cbranch_execz .LBB8_3
; %bb.2:
	s_ashr_i32 s4, s21, 31
	s_delay_alu instid0(SALU_CYCLE_1) | instskip(SKIP_2) | instid1(SALU_CYCLE_1)
	s_add_u32 s6, s20, s4
	s_mov_b32 s5, s4
	s_addc_u32 s7, s21, s4
	s_xor_b64 s[6:7], s[6:7], s[4:5]
	s_delay_alu instid0(SALU_CYCLE_1) | instskip(SKIP_3) | instid1(VALU_DEP_1)
	v_cvt_f32_u32_e32 v0, s6
	v_cvt_f32_u32_e32 v1, s7
	s_sub_u32 s2, 0, s6
	s_subb_u32 s5, 0, s7
	v_fmamk_f32 v0, v1, 0x4f800000, v0
	s_delay_alu instid0(VALU_DEP_1) | instskip(SKIP_2) | instid1(VALU_DEP_1)
	v_rcp_f32_e32 v0, v0
	s_waitcnt_depctr 0xfff
	v_mul_f32_e32 v0, 0x5f7ffffc, v0
	v_mul_f32_e32 v1, 0x2f800000, v0
	s_delay_alu instid0(VALU_DEP_1) | instskip(NEXT) | instid1(VALU_DEP_1)
	v_trunc_f32_e32 v1, v1
	v_fmamk_f32 v0, v1, 0xcf800000, v0
	v_cvt_u32_f32_e32 v1, v1
	s_delay_alu instid0(VALU_DEP_2) | instskip(NEXT) | instid1(VALU_DEP_2)
	v_cvt_u32_f32_e32 v0, v0
	v_mul_lo_u32 v4, s2, v1
	s_delay_alu instid0(VALU_DEP_2) | instskip(SKIP_1) | instid1(VALU_DEP_2)
	v_mul_hi_u32 v5, s2, v0
	v_mul_lo_u32 v6, s5, v0
	v_add_nc_u32_e32 v4, v5, v4
	v_mul_lo_u32 v5, s2, v0
	s_delay_alu instid0(VALU_DEP_2) | instskip(NEXT) | instid1(VALU_DEP_2)
	v_add_nc_u32_e32 v4, v4, v6
	v_mul_hi_u32 v6, v0, v5
	s_delay_alu instid0(VALU_DEP_2)
	v_mul_lo_u32 v7, v0, v4
	v_mul_hi_u32 v8, v0, v4
	v_mul_hi_u32 v9, v1, v5
	v_mul_lo_u32 v5, v1, v5
	v_mul_hi_u32 v10, v1, v4
	v_mul_lo_u32 v4, v1, v4
	v_add_co_u32 v6, vcc_lo, v6, v7
	v_add_co_ci_u32_e32 v7, vcc_lo, 0, v8, vcc_lo
	s_delay_alu instid0(VALU_DEP_2) | instskip(NEXT) | instid1(VALU_DEP_2)
	v_add_co_u32 v5, vcc_lo, v6, v5
	v_add_co_ci_u32_e32 v5, vcc_lo, v7, v9, vcc_lo
	v_add_co_ci_u32_e32 v6, vcc_lo, 0, v10, vcc_lo
	v_ashrrev_i32_e32 v9, 31, v3
	s_delay_alu instid0(VALU_DEP_3) | instskip(NEXT) | instid1(VALU_DEP_3)
	v_add_co_u32 v4, vcc_lo, v5, v4
	v_add_co_ci_u32_e32 v5, vcc_lo, 0, v6, vcc_lo
	s_delay_alu instid0(VALU_DEP_2) | instskip(NEXT) | instid1(VALU_DEP_2)
	v_add_co_u32 v0, vcc_lo, v0, v4
	v_add_co_ci_u32_e32 v1, vcc_lo, v1, v5, vcc_lo
	s_delay_alu instid0(VALU_DEP_2) | instskip(SKIP_1) | instid1(VALU_DEP_3)
	v_mul_hi_u32 v4, s2, v0
	v_mul_lo_u32 v6, s5, v0
	v_mul_lo_u32 v5, s2, v1
	s_delay_alu instid0(VALU_DEP_1) | instskip(SKIP_1) | instid1(VALU_DEP_2)
	v_add_nc_u32_e32 v4, v4, v5
	v_mul_lo_u32 v5, s2, v0
	v_add_nc_u32_e32 v4, v4, v6
	s_delay_alu instid0(VALU_DEP_2) | instskip(NEXT) | instid1(VALU_DEP_2)
	v_mul_hi_u32 v6, v0, v5
	v_mul_lo_u32 v7, v0, v4
	v_mul_hi_u32 v8, v0, v4
	v_mul_hi_u32 v10, v1, v5
	v_mul_lo_u32 v5, v1, v5
	v_mul_hi_u32 v11, v1, v4
	v_mul_lo_u32 v4, v1, v4
	v_add_co_u32 v6, vcc_lo, v6, v7
	v_add_co_ci_u32_e32 v7, vcc_lo, 0, v8, vcc_lo
	s_delay_alu instid0(VALU_DEP_2) | instskip(NEXT) | instid1(VALU_DEP_2)
	v_add_co_u32 v5, vcc_lo, v6, v5
	v_add_co_ci_u32_e32 v5, vcc_lo, v7, v10, vcc_lo
	v_add_co_ci_u32_e32 v6, vcc_lo, 0, v11, vcc_lo
	v_add_co_u32 v7, vcc_lo, v2, v9
	v_add_co_ci_u32_e32 v8, vcc_lo, v3, v9, vcc_lo
	s_delay_alu instid0(VALU_DEP_4) | instskip(NEXT) | instid1(VALU_DEP_4)
	v_add_co_u32 v4, vcc_lo, v5, v4
	v_add_co_ci_u32_e32 v5, vcc_lo, 0, v6, vcc_lo
	s_delay_alu instid0(VALU_DEP_4) | instskip(NEXT) | instid1(VALU_DEP_3)
	v_xor_b32_e32 v10, v7, v9
	v_add_co_u32 v6, vcc_lo, v0, v4
	s_delay_alu instid0(VALU_DEP_3) | instskip(SKIP_1) | instid1(VALU_DEP_3)
	v_add_co_ci_u32_e32 v11, vcc_lo, v1, v5, vcc_lo
	v_xor_b32_e32 v8, v8, v9
	v_mul_hi_u32 v12, v10, v6
	s_delay_alu instid0(VALU_DEP_3) | instskip(NEXT) | instid1(VALU_DEP_3)
	v_mad_u64_u32 v[0:1], null, v10, v11, 0
	v_mad_u64_u32 v[4:5], null, v8, v6, 0
	;; [unrolled: 1-line block ×3, first 2 shown]
	s_delay_alu instid0(VALU_DEP_3) | instskip(NEXT) | instid1(VALU_DEP_4)
	v_add_co_u32 v0, vcc_lo, v12, v0
	v_add_co_ci_u32_e32 v1, vcc_lo, 0, v1, vcc_lo
	s_delay_alu instid0(VALU_DEP_2) | instskip(NEXT) | instid1(VALU_DEP_2)
	v_add_co_u32 v0, vcc_lo, v0, v4
	v_add_co_ci_u32_e32 v0, vcc_lo, v1, v5, vcc_lo
	v_add_co_ci_u32_e32 v1, vcc_lo, 0, v7, vcc_lo
	s_delay_alu instid0(VALU_DEP_2) | instskip(NEXT) | instid1(VALU_DEP_2)
	v_add_co_u32 v4, vcc_lo, v0, v6
	v_add_co_ci_u32_e32 v5, vcc_lo, 0, v1, vcc_lo
	s_delay_alu instid0(VALU_DEP_2) | instskip(SKIP_1) | instid1(VALU_DEP_3)
	v_mul_lo_u32 v6, s7, v4
	v_mad_u64_u32 v[0:1], null, s6, v4, 0
	v_mul_lo_u32 v7, s6, v5
	s_delay_alu instid0(VALU_DEP_2) | instskip(NEXT) | instid1(VALU_DEP_2)
	v_sub_co_u32 v0, vcc_lo, v10, v0
	v_add3_u32 v1, v1, v7, v6
	s_delay_alu instid0(VALU_DEP_1) | instskip(NEXT) | instid1(VALU_DEP_1)
	v_sub_nc_u32_e32 v6, v8, v1
	v_subrev_co_ci_u32_e64 v6, s2, s7, v6, vcc_lo
	v_add_co_u32 v7, s2, v4, 2
	s_delay_alu instid0(VALU_DEP_1) | instskip(SKIP_3) | instid1(VALU_DEP_3)
	v_add_co_ci_u32_e64 v10, s2, 0, v5, s2
	v_sub_co_u32 v11, s2, v0, s6
	v_sub_co_ci_u32_e32 v1, vcc_lo, v8, v1, vcc_lo
	v_subrev_co_ci_u32_e64 v6, s2, 0, v6, s2
	v_cmp_le_u32_e32 vcc_lo, s6, v11
	s_delay_alu instid0(VALU_DEP_3) | instskip(SKIP_1) | instid1(VALU_DEP_4)
	v_cmp_eq_u32_e64 s2, s7, v1
	v_cndmask_b32_e64 v8, 0, -1, vcc_lo
	v_cmp_le_u32_e32 vcc_lo, s7, v6
	v_cndmask_b32_e64 v11, 0, -1, vcc_lo
	v_cmp_le_u32_e32 vcc_lo, s6, v0
	;; [unrolled: 2-line block ×3, first 2 shown]
	v_cndmask_b32_e64 v12, 0, -1, vcc_lo
	v_cmp_eq_u32_e32 vcc_lo, s7, v6
	s_delay_alu instid0(VALU_DEP_2) | instskip(SKIP_3) | instid1(VALU_DEP_3)
	v_cndmask_b32_e64 v0, v12, v0, s2
	v_cndmask_b32_e32 v6, v11, v8, vcc_lo
	v_add_co_u32 v8, vcc_lo, v4, 1
	v_add_co_ci_u32_e32 v11, vcc_lo, 0, v5, vcc_lo
	v_cmp_ne_u32_e32 vcc_lo, 0, v6
	s_delay_alu instid0(VALU_DEP_2) | instskip(SKIP_2) | instid1(VALU_DEP_3)
	v_dual_cndmask_b32 v1, v11, v10 :: v_dual_cndmask_b32 v6, v8, v7
	v_cmp_ne_u32_e32 vcc_lo, 0, v0
	v_xor_b32_e32 v0, s4, v9
	v_dual_cndmask_b32 v4, v4, v6 :: v_dual_cndmask_b32 v1, v5, v1
	s_delay_alu instid0(VALU_DEP_1) | instskip(NEXT) | instid1(VALU_DEP_2)
	v_xor_b32_e32 v4, v4, v0
	v_xor_b32_e32 v1, v1, v0
	s_delay_alu instid0(VALU_DEP_2) | instskip(NEXT) | instid1(VALU_DEP_2)
	v_sub_co_u32 v6, vcc_lo, v4, v0
	v_sub_co_ci_u32_e32 v7, vcc_lo, v1, v0, vcc_lo
.LBB8_3:
	s_or_saveexec_b32 s2, s3
	s_load_b256 s[4:11], s[0:1], 0x8
	s_xor_b32 exec_lo, exec_lo, s2
	s_cbranch_execz .LBB8_5
; %bb.4:
	v_cvt_f32_u32_e32 v0, s20
	s_sub_i32 s3, 0, s20
	v_mov_b32_e32 v7, 0
	s_delay_alu instid0(VALU_DEP_2) | instskip(SKIP_2) | instid1(VALU_DEP_1)
	v_rcp_iflag_f32_e32 v0, v0
	s_waitcnt_depctr 0xfff
	v_mul_f32_e32 v0, 0x4f7ffffe, v0
	v_cvt_u32_f32_e32 v0, v0
	s_delay_alu instid0(VALU_DEP_1) | instskip(NEXT) | instid1(VALU_DEP_1)
	v_mul_lo_u32 v1, s3, v0
	v_mul_hi_u32 v1, v0, v1
	s_delay_alu instid0(VALU_DEP_1) | instskip(NEXT) | instid1(VALU_DEP_1)
	v_add_nc_u32_e32 v0, v0, v1
	v_mul_hi_u32 v0, v2, v0
	s_delay_alu instid0(VALU_DEP_1) | instskip(SKIP_1) | instid1(VALU_DEP_2)
	v_mul_lo_u32 v1, v0, s20
	v_add_nc_u32_e32 v4, 1, v0
	v_sub_nc_u32_e32 v1, v2, v1
	s_delay_alu instid0(VALU_DEP_1) | instskip(SKIP_1) | instid1(VALU_DEP_2)
	v_subrev_nc_u32_e32 v5, s20, v1
	v_cmp_le_u32_e32 vcc_lo, s20, v1
	v_dual_cndmask_b32 v1, v1, v5 :: v_dual_cndmask_b32 v0, v0, v4
	s_delay_alu instid0(VALU_DEP_1) | instskip(NEXT) | instid1(VALU_DEP_2)
	v_cmp_le_u32_e32 vcc_lo, s20, v1
	v_add_nc_u32_e32 v4, 1, v0
	s_delay_alu instid0(VALU_DEP_1)
	v_cndmask_b32_e32 v6, v0, v4, vcc_lo
.LBB8_5:
	s_or_b32 exec_lo, exec_lo, s2
	v_or_b32_e32 v1, s37, v7
	v_mov_b32_e32 v0, 0
	s_delay_alu instid0(VALU_DEP_1) | instskip(SKIP_1) | instid1(SALU_CYCLE_1)
	v_cmp_ne_u64_e32 vcc_lo, 0, v[0:1]
                                        ; implicit-def: $vgpr0_vgpr1
	s_and_saveexec_b32 s2, vcc_lo
	s_xor_b32 s3, exec_lo, s2
	s_cbranch_execz .LBB8_7
; %bb.6:
	s_ashr_i32 s12, s37, 31
	s_delay_alu instid0(SALU_CYCLE_1) | instskip(SKIP_2) | instid1(SALU_CYCLE_1)
	s_add_u32 s14, s36, s12
	s_mov_b32 s13, s12
	s_addc_u32 s15, s37, s12
	s_xor_b64 s[14:15], s[14:15], s[12:13]
	s_delay_alu instid0(SALU_CYCLE_1) | instskip(SKIP_3) | instid1(VALU_DEP_1)
	v_cvt_f32_u32_e32 v0, s14
	v_cvt_f32_u32_e32 v1, s15
	s_sub_u32 s2, 0, s14
	s_subb_u32 s13, 0, s15
	v_fmamk_f32 v0, v1, 0x4f800000, v0
	s_delay_alu instid0(VALU_DEP_1) | instskip(SKIP_2) | instid1(VALU_DEP_1)
	v_rcp_f32_e32 v0, v0
	s_waitcnt_depctr 0xfff
	v_mul_f32_e32 v0, 0x5f7ffffc, v0
	v_mul_f32_e32 v1, 0x2f800000, v0
	s_delay_alu instid0(VALU_DEP_1) | instskip(NEXT) | instid1(VALU_DEP_1)
	v_trunc_f32_e32 v1, v1
	v_fmamk_f32 v0, v1, 0xcf800000, v0
	v_cvt_u32_f32_e32 v1, v1
	s_delay_alu instid0(VALU_DEP_2) | instskip(NEXT) | instid1(VALU_DEP_2)
	v_cvt_u32_f32_e32 v0, v0
	v_mul_lo_u32 v4, s2, v1
	s_delay_alu instid0(VALU_DEP_2) | instskip(SKIP_1) | instid1(VALU_DEP_2)
	v_mul_hi_u32 v5, s2, v0
	v_mul_lo_u32 v8, s13, v0
	v_add_nc_u32_e32 v4, v5, v4
	v_mul_lo_u32 v5, s2, v0
	s_delay_alu instid0(VALU_DEP_2) | instskip(NEXT) | instid1(VALU_DEP_2)
	v_add_nc_u32_e32 v4, v4, v8
	v_mul_hi_u32 v8, v0, v5
	s_delay_alu instid0(VALU_DEP_2)
	v_mul_lo_u32 v9, v0, v4
	v_mul_hi_u32 v10, v0, v4
	v_mul_hi_u32 v11, v1, v5
	v_mul_lo_u32 v5, v1, v5
	v_mul_hi_u32 v12, v1, v4
	v_mul_lo_u32 v4, v1, v4
	v_add_co_u32 v8, vcc_lo, v8, v9
	v_add_co_ci_u32_e32 v9, vcc_lo, 0, v10, vcc_lo
	s_delay_alu instid0(VALU_DEP_2) | instskip(NEXT) | instid1(VALU_DEP_2)
	v_add_co_u32 v5, vcc_lo, v8, v5
	v_add_co_ci_u32_e32 v5, vcc_lo, v9, v11, vcc_lo
	v_add_co_ci_u32_e32 v8, vcc_lo, 0, v12, vcc_lo
	v_ashrrev_i32_e32 v11, 31, v7
	s_delay_alu instid0(VALU_DEP_3) | instskip(NEXT) | instid1(VALU_DEP_3)
	v_add_co_u32 v4, vcc_lo, v5, v4
	v_add_co_ci_u32_e32 v5, vcc_lo, 0, v8, vcc_lo
	s_delay_alu instid0(VALU_DEP_2) | instskip(NEXT) | instid1(VALU_DEP_2)
	v_add_co_u32 v0, vcc_lo, v0, v4
	v_add_co_ci_u32_e32 v1, vcc_lo, v1, v5, vcc_lo
	s_delay_alu instid0(VALU_DEP_2) | instskip(SKIP_1) | instid1(VALU_DEP_3)
	v_mul_hi_u32 v4, s2, v0
	v_mul_lo_u32 v8, s13, v0
	v_mul_lo_u32 v5, s2, v1
	s_delay_alu instid0(VALU_DEP_1) | instskip(SKIP_1) | instid1(VALU_DEP_2)
	v_add_nc_u32_e32 v4, v4, v5
	v_mul_lo_u32 v5, s2, v0
	v_add_nc_u32_e32 v4, v4, v8
	s_delay_alu instid0(VALU_DEP_2) | instskip(NEXT) | instid1(VALU_DEP_2)
	v_mul_hi_u32 v8, v0, v5
	v_mul_lo_u32 v9, v0, v4
	v_mul_hi_u32 v10, v0, v4
	v_mul_hi_u32 v12, v1, v5
	v_mul_lo_u32 v5, v1, v5
	v_mul_hi_u32 v13, v1, v4
	v_mul_lo_u32 v4, v1, v4
	v_add_co_u32 v8, vcc_lo, v8, v9
	v_add_co_ci_u32_e32 v9, vcc_lo, 0, v10, vcc_lo
	s_delay_alu instid0(VALU_DEP_2) | instskip(NEXT) | instid1(VALU_DEP_2)
	v_add_co_u32 v5, vcc_lo, v8, v5
	v_add_co_ci_u32_e32 v5, vcc_lo, v9, v12, vcc_lo
	v_add_co_ci_u32_e32 v8, vcc_lo, 0, v13, vcc_lo
	v_add_co_u32 v9, vcc_lo, v6, v11
	v_add_co_ci_u32_e32 v10, vcc_lo, v7, v11, vcc_lo
	s_delay_alu instid0(VALU_DEP_4) | instskip(NEXT) | instid1(VALU_DEP_4)
	v_add_co_u32 v4, vcc_lo, v5, v4
	v_add_co_ci_u32_e32 v5, vcc_lo, 0, v8, vcc_lo
	s_delay_alu instid0(VALU_DEP_4) | instskip(NEXT) | instid1(VALU_DEP_3)
	v_xor_b32_e32 v12, v9, v11
	v_add_co_u32 v8, vcc_lo, v0, v4
	s_delay_alu instid0(VALU_DEP_3) | instskip(SKIP_1) | instid1(VALU_DEP_3)
	v_add_co_ci_u32_e32 v13, vcc_lo, v1, v5, vcc_lo
	v_xor_b32_e32 v10, v10, v11
	v_mul_hi_u32 v14, v12, v8
	s_delay_alu instid0(VALU_DEP_3) | instskip(NEXT) | instid1(VALU_DEP_3)
	v_mad_u64_u32 v[0:1], null, v12, v13, 0
	v_mad_u64_u32 v[4:5], null, v10, v8, 0
	;; [unrolled: 1-line block ×3, first 2 shown]
	s_delay_alu instid0(VALU_DEP_3) | instskip(NEXT) | instid1(VALU_DEP_4)
	v_add_co_u32 v0, vcc_lo, v14, v0
	v_add_co_ci_u32_e32 v1, vcc_lo, 0, v1, vcc_lo
	s_delay_alu instid0(VALU_DEP_2) | instskip(NEXT) | instid1(VALU_DEP_2)
	v_add_co_u32 v0, vcc_lo, v0, v4
	v_add_co_ci_u32_e32 v0, vcc_lo, v1, v5, vcc_lo
	v_add_co_ci_u32_e32 v1, vcc_lo, 0, v9, vcc_lo
	s_delay_alu instid0(VALU_DEP_2) | instskip(NEXT) | instid1(VALU_DEP_2)
	v_add_co_u32 v4, vcc_lo, v0, v8
	v_add_co_ci_u32_e32 v5, vcc_lo, 0, v1, vcc_lo
	s_delay_alu instid0(VALU_DEP_2) | instskip(SKIP_1) | instid1(VALU_DEP_3)
	v_mul_lo_u32 v8, s15, v4
	v_mad_u64_u32 v[0:1], null, s14, v4, 0
	v_mul_lo_u32 v9, s14, v5
	s_delay_alu instid0(VALU_DEP_2) | instskip(NEXT) | instid1(VALU_DEP_2)
	v_sub_co_u32 v0, vcc_lo, v12, v0
	v_add3_u32 v1, v1, v9, v8
	s_delay_alu instid0(VALU_DEP_1) | instskip(NEXT) | instid1(VALU_DEP_1)
	v_sub_nc_u32_e32 v8, v10, v1
	v_subrev_co_ci_u32_e64 v8, s2, s15, v8, vcc_lo
	v_add_co_u32 v9, s2, v4, 2
	s_delay_alu instid0(VALU_DEP_1) | instskip(SKIP_3) | instid1(VALU_DEP_3)
	v_add_co_ci_u32_e64 v12, s2, 0, v5, s2
	v_sub_co_u32 v13, s2, v0, s14
	v_sub_co_ci_u32_e32 v1, vcc_lo, v10, v1, vcc_lo
	v_subrev_co_ci_u32_e64 v8, s2, 0, v8, s2
	v_cmp_le_u32_e32 vcc_lo, s14, v13
	s_delay_alu instid0(VALU_DEP_3) | instskip(SKIP_1) | instid1(VALU_DEP_4)
	v_cmp_eq_u32_e64 s2, s15, v1
	v_cndmask_b32_e64 v10, 0, -1, vcc_lo
	v_cmp_le_u32_e32 vcc_lo, s15, v8
	v_cndmask_b32_e64 v13, 0, -1, vcc_lo
	v_cmp_le_u32_e32 vcc_lo, s14, v0
	;; [unrolled: 2-line block ×3, first 2 shown]
	v_cndmask_b32_e64 v14, 0, -1, vcc_lo
	v_cmp_eq_u32_e32 vcc_lo, s15, v8
	s_delay_alu instid0(VALU_DEP_2) | instskip(SKIP_3) | instid1(VALU_DEP_3)
	v_cndmask_b32_e64 v0, v14, v0, s2
	v_cndmask_b32_e32 v8, v13, v10, vcc_lo
	v_add_co_u32 v10, vcc_lo, v4, 1
	v_add_co_ci_u32_e32 v13, vcc_lo, 0, v5, vcc_lo
	v_cmp_ne_u32_e32 vcc_lo, 0, v8
	s_delay_alu instid0(VALU_DEP_2) | instskip(SKIP_2) | instid1(VALU_DEP_3)
	v_dual_cndmask_b32 v1, v13, v12 :: v_dual_cndmask_b32 v8, v10, v9
	v_cmp_ne_u32_e32 vcc_lo, 0, v0
	v_xor_b32_e32 v9, s12, v11
	v_dual_cndmask_b32 v0, v5, v1 :: v_dual_cndmask_b32 v1, v4, v8
	s_delay_alu instid0(VALU_DEP_1) | instskip(NEXT) | instid1(VALU_DEP_2)
	v_xor_b32_e32 v4, v0, v9
	v_xor_b32_e32 v1, v1, v9
	s_delay_alu instid0(VALU_DEP_1) | instskip(NEXT) | instid1(VALU_DEP_3)
	v_sub_co_u32 v0, vcc_lo, v1, v9
	v_sub_co_ci_u32_e32 v1, vcc_lo, v4, v9, vcc_lo
.LBB8_7:
	s_and_not1_saveexec_b32 s2, s3
	s_cbranch_execz .LBB8_9
; %bb.8:
	v_cvt_f32_u32_e32 v0, s36
	s_sub_i32 s3, 0, s36
	s_delay_alu instid0(VALU_DEP_1) | instskip(SKIP_2) | instid1(VALU_DEP_1)
	v_rcp_iflag_f32_e32 v0, v0
	s_waitcnt_depctr 0xfff
	v_mul_f32_e32 v0, 0x4f7ffffe, v0
	v_cvt_u32_f32_e32 v0, v0
	s_delay_alu instid0(VALU_DEP_1) | instskip(NEXT) | instid1(VALU_DEP_1)
	v_mul_lo_u32 v1, s3, v0
	v_mul_hi_u32 v1, v0, v1
	s_delay_alu instid0(VALU_DEP_1) | instskip(NEXT) | instid1(VALU_DEP_1)
	v_add_nc_u32_e32 v0, v0, v1
	v_mul_hi_u32 v0, v6, v0
	s_delay_alu instid0(VALU_DEP_1) | instskip(SKIP_1) | instid1(VALU_DEP_2)
	v_mul_lo_u32 v1, v0, s36
	v_add_nc_u32_e32 v4, 1, v0
	v_sub_nc_u32_e32 v1, v6, v1
	s_delay_alu instid0(VALU_DEP_1) | instskip(SKIP_1) | instid1(VALU_DEP_2)
	v_subrev_nc_u32_e32 v5, s36, v1
	v_cmp_le_u32_e32 vcc_lo, s36, v1
	v_dual_cndmask_b32 v1, v1, v5 :: v_dual_cndmask_b32 v0, v0, v4
	s_delay_alu instid0(VALU_DEP_1) | instskip(NEXT) | instid1(VALU_DEP_2)
	v_cmp_le_u32_e32 vcc_lo, s36, v1
	v_dual_mov_b32 v1, 0 :: v_dual_add_nc_u32 v4, 1, v0
	s_delay_alu instid0(VALU_DEP_1)
	v_cndmask_b32_e32 v0, v0, v4, vcc_lo
.LBB8_9:
	s_or_b32 exec_lo, exec_lo, s2
	s_add_u32 s2, s36, 1
	s_addc_u32 s13, s37, 0
	s_mul_i32 s3, s2, s31
	s_mul_hi_u32 s12, s2, s30
	s_mul_i32 s13, s13, s30
	s_add_i32 s3, s12, s3
	s_mul_i32 s2, s2, s30
	s_add_i32 s3, s3, s13
	v_mul_lo_u32 v4, v1, s36
	v_mul_lo_u32 v5, v0, s37
	v_mad_u64_u32 v[9:10], null, v0, s36, 0
	v_mul_lo_u32 v8, s3, v0
	v_mul_lo_u32 v13, s2, v1
	v_mad_u64_u32 v[11:12], null, s2, v0, 0
	s_load_b32 s3, s[0:1], 0x0
	v_mul_lo_u32 v15, v7, s20
	v_add3_u32 v10, v10, v5, v4
	v_sub_co_u32 v4, vcc_lo, v6, v9
	v_mul_lo_u32 v16, v6, s21
	v_add3_u32 v12, v12, v13, v8
	s_delay_alu instid0(VALU_DEP_4) | instskip(NEXT) | instid1(VALU_DEP_2)
	v_sub_co_ci_u32_e32 v5, vcc_lo, v7, v10, vcc_lo
	v_lshlrev_b64 v[13:14], 2, v[11:12]
	s_delay_alu instid0(VALU_DEP_2) | instskip(SKIP_1) | instid1(VALU_DEP_2)
	v_lshlrev_b64 v[11:12], 2, v[4:5]
	s_waitcnt lgkmcnt(0)
	v_add_co_u32 v8, vcc_lo, s10, v13
	s_delay_alu instid0(VALU_DEP_3) | instskip(SKIP_1) | instid1(VALU_DEP_2)
	v_add_co_ci_u32_e32 v14, vcc_lo, s11, v14, vcc_lo
	s_mov_b32 s10, exec_lo
	v_add_co_u32 v13, vcc_lo, v8, v11
	s_delay_alu instid0(VALU_DEP_2)
	v_add_co_ci_u32_e32 v14, vcc_lo, v14, v12, vcc_lo
	v_mad_u64_u32 v[7:8], null, v6, s20, 0
	global_load_b64 v[13:14], v[13:14], off
	v_add3_u32 v8, v8, v16, v15
	v_dual_mov_b32 v15, s16 :: v_dual_mov_b32 v16, s17
	s_waitcnt vmcnt(0)
	v_cmpx_lt_i32_e64 v13, v14
	s_cbranch_execz .LBB8_28
; %bb.10:
	v_mul_lo_u32 v6, v1, s24
	v_mul_lo_u32 v19, v0, s25
	v_mad_u64_u32 v[15:16], null, v0, s24, 0
	v_ashrrev_i32_e32 v18, 31, v13
	v_mov_b32_e32 v17, v13
	s_cmp_lg_u32 s3, 0
	s_mov_b32 s12, 0
	s_cselect_b32 s11, -1, 0
	s_and_b32 s2, s3, -3
	s_delay_alu instid0(VALU_DEP_3) | instskip(SKIP_3) | instid1(VALU_DEP_2)
	v_add3_u32 v16, v16, v19, v6
	v_lshlrev_b64 v[17:18], 3, v[17:18]
	s_cmp_lg_u32 s2, 1
	s_cselect_b32 s13, -1, 0
	v_lshlrev_b64 v[15:16], 3, v[15:16]
	s_delay_alu instid0(VALU_DEP_1) | instskip(NEXT) | instid1(VALU_DEP_2)
	v_add_co_u32 v6, vcc_lo, v15, v17
	v_add_co_ci_u32_e32 v17, vcc_lo, v16, v18, vcc_lo
	v_lshlrev_b64 v[15:16], 3, v[2:3]
	s_delay_alu instid0(VALU_DEP_3) | instskip(NEXT) | instid1(VALU_DEP_3)
	v_mul_lo_u32 v20, s23, v6
	v_mul_lo_u32 v19, s22, v17
	s_delay_alu instid0(VALU_DEP_3) | instskip(SKIP_1) | instid1(VALU_DEP_2)
	v_mad_u64_u32 v[17:18], null, s22, v6, v[15:16]
	v_lshlrev_b64 v[15:16], 3, v[7:8]
	v_add3_u32 v6, v20, v18, v19
	v_mov_b32_e32 v20, s17
	s_delay_alu instid0(VALU_DEP_3) | instskip(SKIP_1) | instid1(VALU_DEP_4)
	v_sub_co_u32 v15, vcc_lo, v17, v15
	v_mov_b32_e32 v19, s16
	v_sub_co_ci_u32_e32 v6, vcc_lo, v6, v16, vcc_lo
	s_delay_alu instid0(VALU_DEP_3) | instskip(NEXT) | instid1(VALU_DEP_2)
	v_add_co_u32 v17, vcc_lo, s6, v15
	v_add_co_ci_u32_e32 v18, vcc_lo, s7, v6, vcc_lo
	s_lshl_b64 s[6:7], s[22:23], 3
	s_branch .LBB8_12
.LBB8_11:                               ;   in Loop: Header=BB8_12 Depth=1
	s_delay_alu instid0(VALU_DEP_1) | instskip(SKIP_1) | instid1(VALU_DEP_1)
	v_dual_mov_b32 v20, v16 :: v_dual_add_nc_u32 v13, 1, v13
	v_add_co_u32 v17, s2, v17, s6
	v_add_co_ci_u32_e64 v18, s2, s7, v18, s2
	s_delay_alu instid0(VALU_DEP_3) | instskip(SKIP_2) | instid1(SALU_CYCLE_1)
	v_cmp_ge_i32_e32 vcc_lo, v13, v14
	v_mov_b32_e32 v19, v15
	s_or_b32 s12, vcc_lo, s12
	s_and_not1_b32 exec_lo, exec_lo, s12
	s_cbranch_execz .LBB8_27
.LBB8_12:                               ; =>This Inner Loop Header: Depth=1
	global_load_b64 v[21:22], v[17:18], off
	s_and_b32 vcc_lo, exec_lo, s11
	s_cbranch_vccz .LBB8_18
; %bb.13:                               ;   in Loop: Header=BB8_12 Depth=1
	s_and_b32 vcc_lo, exec_lo, s13
	s_cbranch_vccz .LBB8_19
; %bb.14:                               ;   in Loop: Header=BB8_12 Depth=1
	s_cmp_lt_i32 s3, 4
	s_cbranch_scc1 .LBB8_20
; %bb.15:                               ;   in Loop: Header=BB8_12 Depth=1
	v_dual_mov_b32 v15, v19 :: v_dual_mov_b32 v16, v20
	s_cmp_eq_u32 s3, 4
	s_cbranch_scc0 .LBB8_17
; %bb.16:                               ;   in Loop: Header=BB8_12 Depth=1
	s_waitcnt vmcnt(0)
	v_mul_f64 v[15:16], v[21:22], v[19:20]
.LBB8_17:                               ;   in Loop: Header=BB8_12 Depth=1
	s_cbranch_execz .LBB8_21
	s_branch .LBB8_23
.LBB8_18:                               ;   in Loop: Header=BB8_12 Depth=1
                                        ; implicit-def: $vgpr15_vgpr16
	s_branch .LBB8_26
.LBB8_19:                               ;   in Loop: Header=BB8_12 Depth=1
                                        ; implicit-def: $vgpr15_vgpr16
	s_cbranch_execnz .LBB8_24
	s_branch .LBB8_25
.LBB8_20:                               ;   in Loop: Header=BB8_12 Depth=1
                                        ; implicit-def: $vgpr15_vgpr16
.LBB8_21:                               ;   in Loop: Header=BB8_12 Depth=1
	v_dual_mov_b32 v15, v19 :: v_dual_mov_b32 v16, v20
	s_cmp_lg_u32 s3, 2
	s_cbranch_scc1 .LBB8_23
; %bb.22:                               ;   in Loop: Header=BB8_12 Depth=1
	s_waitcnt vmcnt(0)
	v_cmp_u_f64_e32 vcc_lo, v[21:22], v[21:22]
	v_cmp_lt_f64_e64 s2, v[21:22], v[19:20]
	s_delay_alu instid0(VALU_DEP_1)
	s_or_b32 vcc_lo, vcc_lo, s2
	v_dual_cndmask_b32 v16, v20, v22 :: v_dual_cndmask_b32 v15, v19, v21
.LBB8_23:                               ;   in Loop: Header=BB8_12 Depth=1
	s_branch .LBB8_25
.LBB8_24:                               ;   in Loop: Header=BB8_12 Depth=1
	s_waitcnt vmcnt(0)
	v_add_f64 v[15:16], v[21:22], v[19:20]
.LBB8_25:                               ;   in Loop: Header=BB8_12 Depth=1
	s_cbranch_execnz .LBB8_11
.LBB8_26:                               ;   in Loop: Header=BB8_12 Depth=1
	s_waitcnt vmcnt(0)
	v_cmp_u_f64_e32 vcc_lo, v[21:22], v[21:22]
	v_cmp_lt_f64_e64 s2, v[19:20], v[21:22]
	s_delay_alu instid0(VALU_DEP_1)
	s_or_b32 vcc_lo, vcc_lo, s2
	v_dual_cndmask_b32 v16, v20, v22 :: v_dual_cndmask_b32 v15, v19, v21
	s_branch .LBB8_11
.LBB8_27:
	s_or_b32 exec_lo, exec_lo, s12
.LBB8_28:
	s_delay_alu instid0(SALU_CYCLE_1) | instskip(SKIP_4) | instid1(VALU_DEP_1)
	s_or_b32 exec_lo, exec_lo, s10
	v_mul_lo_u32 v6, v10, s38
	v_mul_lo_u32 v10, v9, s39
	v_mad_u64_u32 v[13:14], null, v9, s38, 0
	s_mov_b32 s2, exec_lo
	v_add3_u32 v14, v14, v10, v6
	s_delay_alu instid0(VALU_DEP_1) | instskip(NEXT) | instid1(VALU_DEP_1)
	v_lshlrev_b64 v[9:10], 2, v[13:14]
	v_add_co_u32 v6, vcc_lo, s8, v9
	s_delay_alu instid0(VALU_DEP_2) | instskip(NEXT) | instid1(VALU_DEP_2)
	v_add_co_ci_u32_e32 v10, vcc_lo, s9, v10, vcc_lo
	v_add_co_u32 v9, vcc_lo, v6, v11
	s_delay_alu instid0(VALU_DEP_2)
	v_add_co_ci_u32_e32 v10, vcc_lo, v10, v12, vcc_lo
	global_load_b32 v6, v[9:10], off
	s_waitcnt vmcnt(0)
	v_cmpx_lt_i32_e32 -1, v6
	s_xor_b32 s2, exec_lo, s2
	s_cbranch_execz .LBB8_34
; %bb.29:
	s_load_b32 s0, s[0:1], 0x38
	v_cmp_ne_u32_e32 vcc_lo, 0, v6
	v_mov_b32_e32 v9, 0
	v_mov_b32_e32 v10, 0x7ff80000
	s_waitcnt lgkmcnt(0)
	s_bitcmp1_b32 s0, 0
	s_cselect_b32 s0, -1, 0
	s_cmp_lg_u32 s3, 1
	s_cselect_b32 s1, -1, 0
	s_delay_alu instid0(SALU_CYCLE_1) | instskip(NEXT) | instid1(SALU_CYCLE_1)
	s_or_b32 s0, s1, s0
	s_or_b32 s0, s0, vcc_lo
	s_delay_alu instid0(SALU_CYCLE_1)
	s_and_saveexec_b32 s1, s0
	s_cbranch_execz .LBB8_33
; %bb.30:
	v_cmp_o_f64_e64 s0, v[15:16], v[15:16]
	s_cmp_eq_u32 s3, 1
	s_cselect_b32 s3, -1, 0
	s_delay_alu instid0(SALU_CYCLE_1)
	s_and_b32 s3, s3, vcc_lo
	s_delay_alu instid0(VALU_DEP_1) | instid1(SALU_CYCLE_1)
	s_and_b32 s3, s3, s0
	s_delay_alu instid0(SALU_CYCLE_1)
	s_and_saveexec_b32 s0, s3
	s_cbranch_execz .LBB8_32
; %bb.31:
	v_cvt_f64_u32_e32 v[9:10], v6
	s_delay_alu instid0(VALU_DEP_1) | instskip(NEXT) | instid1(VALU_DEP_1)
	v_div_scale_f64 v[11:12], null, v[9:10], v[9:10], v[15:16]
	v_rcp_f64_e32 v[13:14], v[11:12]
	s_waitcnt_depctr 0xfff
	v_fma_f64 v[17:18], -v[11:12], v[13:14], 1.0
	s_delay_alu instid0(VALU_DEP_1) | instskip(NEXT) | instid1(VALU_DEP_1)
	v_fma_f64 v[13:14], v[13:14], v[17:18], v[13:14]
	v_fma_f64 v[17:18], -v[11:12], v[13:14], 1.0
	s_delay_alu instid0(VALU_DEP_1) | instskip(SKIP_1) | instid1(VALU_DEP_1)
	v_fma_f64 v[13:14], v[13:14], v[17:18], v[13:14]
	v_div_scale_f64 v[17:18], vcc_lo, v[15:16], v[9:10], v[15:16]
	v_mul_f64 v[19:20], v[17:18], v[13:14]
	s_delay_alu instid0(VALU_DEP_1) | instskip(NEXT) | instid1(VALU_DEP_1)
	v_fma_f64 v[11:12], -v[11:12], v[19:20], v[17:18]
	v_div_fmas_f64 v[11:12], v[11:12], v[13:14], v[19:20]
	s_delay_alu instid0(VALU_DEP_1)
	v_div_fixup_f64 v[15:16], v[11:12], v[9:10], v[15:16]
.LBB8_32:
	s_or_b32 exec_lo, exec_lo, s0
	s_delay_alu instid0(VALU_DEP_1)
	v_dual_mov_b32 v9, v15 :: v_dual_mov_b32 v10, v16
.LBB8_33:
	s_or_b32 exec_lo, exec_lo, s1
	s_mul_i32 s0, s28, s27
	s_mul_hi_u32 s1, s28, s26
	s_mul_i32 s3, s29, s26
	s_add_i32 s0, s1, s0
	s_mul_i32 s1, s28, s26
	s_add_i32 s0, s0, s3
	v_mul_lo_u32 v13, s1, v1
	v_mul_lo_u32 v6, s0, v0
	v_mad_u64_u32 v[11:12], null, s1, v0, 0
	v_mul_lo_u32 v5, v5, s26
	v_mul_lo_u32 v14, v4, s27
	v_mad_u64_u32 v[0:1], null, v4, s26, 0
	v_sub_co_u32 v2, vcc_lo, v2, v7
	v_add3_u32 v12, v12, v13, v6
	v_sub_co_ci_u32_e32 v3, vcc_lo, v3, v8, vcc_lo
	s_delay_alu instid0(VALU_DEP_4) | instskip(NEXT) | instid1(VALU_DEP_3)
	v_add3_u32 v1, v1, v14, v5
	v_lshlrev_b64 v[4:5], 3, v[11:12]
	s_delay_alu instid0(VALU_DEP_3) | instskip(NEXT) | instid1(VALU_DEP_3)
	v_lshlrev_b64 v[2:3], 3, v[2:3]
	v_lshlrev_b64 v[0:1], 3, v[0:1]
	s_delay_alu instid0(VALU_DEP_3) | instskip(NEXT) | instid1(VALU_DEP_4)
	v_add_co_u32 v4, vcc_lo, s4, v4
	v_add_co_ci_u32_e32 v5, vcc_lo, s5, v5, vcc_lo
	s_delay_alu instid0(VALU_DEP_2) | instskip(NEXT) | instid1(VALU_DEP_2)
	v_add_co_u32 v0, vcc_lo, v4, v0
	v_add_co_ci_u32_e32 v1, vcc_lo, v5, v1, vcc_lo
	s_delay_alu instid0(VALU_DEP_2) | instskip(NEXT) | instid1(VALU_DEP_2)
	v_add_co_u32 v0, vcc_lo, v0, v2
	v_add_co_ci_u32_e32 v1, vcc_lo, v1, v3, vcc_lo
	global_store_b64 v[0:1], v[9:10], off
.LBB8_34:
	s_and_not1_saveexec_b32 s0, s2
	s_cbranch_execnz .LBB8_36
.LBB8_35:
	s_nop 0
	s_sendmsg sendmsg(MSG_DEALLOC_VGPRS)
	s_endpgm
.LBB8_36:
	s_cbranch_execnz .LBB8_38
; %bb.37:
	; divergent unreachable
	s_nop 0
	s_sendmsg sendmsg(MSG_DEALLOC_VGPRS)
	s_endpgm
.LBB8_38:
	s_trap 2
	s_sendmsg_rtn_b32 s0, sendmsg(MSG_RTN_GET_DOORBELL)
	s_mov_b32 ttmp2, m0
	s_waitcnt lgkmcnt(0)
	s_and_b32 s0, s0, 0x3ff
	s_delay_alu instid0(SALU_CYCLE_1) | instskip(NEXT) | instid1(SALU_CYCLE_1)
	s_bitset1_b32 s0, 10
	s_mov_b32 m0, s0
	s_sendmsg sendmsg(MSG_INTERRUPT)
	s_mov_b32 m0, ttmp2
.LBB8_39:                               ; =>This Inner Loop Header: Depth=1
	s_sethalt 5
	s_branch .LBB8_39
	.section	.rodata,"a",@progbits
	.p2align	6, 0x0
	.amdhsa_kernel _ZN2at6native12_GLOBAL__N_129segment_reduce_forward_kernelIdiEEvNS0_13ReductionTypeEPT_PKS4_PKT0_SA_llbS4_lllllll
		.amdhsa_group_segment_fixed_size 0
		.amdhsa_private_segment_fixed_size 0
		.amdhsa_kernarg_size 384
		.amdhsa_user_sgpr_count 15
		.amdhsa_user_sgpr_dispatch_ptr 0
		.amdhsa_user_sgpr_queue_ptr 0
		.amdhsa_user_sgpr_kernarg_segment_ptr 1
		.amdhsa_user_sgpr_dispatch_id 0
		.amdhsa_user_sgpr_private_segment_size 0
		.amdhsa_wavefront_size32 1
		.amdhsa_uses_dynamic_stack 0
		.amdhsa_enable_private_segment 0
		.amdhsa_system_sgpr_workgroup_id_x 1
		.amdhsa_system_sgpr_workgroup_id_y 0
		.amdhsa_system_sgpr_workgroup_id_z 0
		.amdhsa_system_sgpr_workgroup_info 0
		.amdhsa_system_vgpr_workitem_id 0
		.amdhsa_next_free_vgpr 23
		.amdhsa_next_free_sgpr 40
		.amdhsa_reserve_vcc 1
		.amdhsa_float_round_mode_32 0
		.amdhsa_float_round_mode_16_64 0
		.amdhsa_float_denorm_mode_32 3
		.amdhsa_float_denorm_mode_16_64 3
		.amdhsa_dx10_clamp 1
		.amdhsa_ieee_mode 1
		.amdhsa_fp16_overflow 0
		.amdhsa_workgroup_processor_mode 1
		.amdhsa_memory_ordered 1
		.amdhsa_forward_progress 0
		.amdhsa_shared_vgpr_count 0
		.amdhsa_exception_fp_ieee_invalid_op 0
		.amdhsa_exception_fp_denorm_src 0
		.amdhsa_exception_fp_ieee_div_zero 0
		.amdhsa_exception_fp_ieee_overflow 0
		.amdhsa_exception_fp_ieee_underflow 0
		.amdhsa_exception_fp_ieee_inexact 0
		.amdhsa_exception_int_div_zero 0
	.end_amdhsa_kernel
	.section	.text._ZN2at6native12_GLOBAL__N_129segment_reduce_forward_kernelIdiEEvNS0_13ReductionTypeEPT_PKS4_PKT0_SA_llbS4_lllllll,"axG",@progbits,_ZN2at6native12_GLOBAL__N_129segment_reduce_forward_kernelIdiEEvNS0_13ReductionTypeEPT_PKS4_PKT0_SA_llbS4_lllllll,comdat
.Lfunc_end8:
	.size	_ZN2at6native12_GLOBAL__N_129segment_reduce_forward_kernelIdiEEvNS0_13ReductionTypeEPT_PKS4_PKT0_SA_llbS4_lllllll, .Lfunc_end8-_ZN2at6native12_GLOBAL__N_129segment_reduce_forward_kernelIdiEEvNS0_13ReductionTypeEPT_PKS4_PKT0_SA_llbS4_lllllll
                                        ; -- End function
	.section	.AMDGPU.csdata,"",@progbits
; Kernel info:
; codeLenInByte = 3444
; NumSgprs: 42
; NumVgprs: 23
; ScratchSize: 0
; MemoryBound: 0
; FloatMode: 240
; IeeeMode: 1
; LDSByteSize: 0 bytes/workgroup (compile time only)
; SGPRBlocks: 5
; VGPRBlocks: 2
; NumSGPRsForWavesPerEU: 42
; NumVGPRsForWavesPerEU: 23
; Occupancy: 16
; WaveLimiterHint : 0
; COMPUTE_PGM_RSRC2:SCRATCH_EN: 0
; COMPUTE_PGM_RSRC2:USER_SGPR: 15
; COMPUTE_PGM_RSRC2:TRAP_HANDLER: 0
; COMPUTE_PGM_RSRC2:TGID_X_EN: 1
; COMPUTE_PGM_RSRC2:TGID_Y_EN: 0
; COMPUTE_PGM_RSRC2:TGID_Z_EN: 0
; COMPUTE_PGM_RSRC2:TIDIG_COMP_CNT: 0
	.section	.text._ZN7rocprim17ROCPRIM_400000_NS6detail17trampoline_kernelINS0_14default_configENS1_32segmented_reduce_config_selectorIdEEZNS1_21segmented_reduce_implIS3_PKdPdPKidN6hipcub16HIPCUB_304000_NS6detail27convert_result_type_wrapperIS8_S9_N2at6native12_GLOBAL__N_19CustomMaxEEEEE10hipError_tPvRmT0_T1_jT2_SQ_T4_T3_P12ihipStream_tbEUlT_E_NS1_11comp_targetILNS1_3genE0ELNS1_11target_archE4294967295ELNS1_3gpuE0ELNS1_3repE0EEENS1_30default_config_static_selectorELNS0_4arch9wavefront6targetE0EEEvSP_,"axG",@progbits,_ZN7rocprim17ROCPRIM_400000_NS6detail17trampoline_kernelINS0_14default_configENS1_32segmented_reduce_config_selectorIdEEZNS1_21segmented_reduce_implIS3_PKdPdPKidN6hipcub16HIPCUB_304000_NS6detail27convert_result_type_wrapperIS8_S9_N2at6native12_GLOBAL__N_19CustomMaxEEEEE10hipError_tPvRmT0_T1_jT2_SQ_T4_T3_P12ihipStream_tbEUlT_E_NS1_11comp_targetILNS1_3genE0ELNS1_11target_archE4294967295ELNS1_3gpuE0ELNS1_3repE0EEENS1_30default_config_static_selectorELNS0_4arch9wavefront6targetE0EEEvSP_,comdat
	.globl	_ZN7rocprim17ROCPRIM_400000_NS6detail17trampoline_kernelINS0_14default_configENS1_32segmented_reduce_config_selectorIdEEZNS1_21segmented_reduce_implIS3_PKdPdPKidN6hipcub16HIPCUB_304000_NS6detail27convert_result_type_wrapperIS8_S9_N2at6native12_GLOBAL__N_19CustomMaxEEEEE10hipError_tPvRmT0_T1_jT2_SQ_T4_T3_P12ihipStream_tbEUlT_E_NS1_11comp_targetILNS1_3genE0ELNS1_11target_archE4294967295ELNS1_3gpuE0ELNS1_3repE0EEENS1_30default_config_static_selectorELNS0_4arch9wavefront6targetE0EEEvSP_ ; -- Begin function _ZN7rocprim17ROCPRIM_400000_NS6detail17trampoline_kernelINS0_14default_configENS1_32segmented_reduce_config_selectorIdEEZNS1_21segmented_reduce_implIS3_PKdPdPKidN6hipcub16HIPCUB_304000_NS6detail27convert_result_type_wrapperIS8_S9_N2at6native12_GLOBAL__N_19CustomMaxEEEEE10hipError_tPvRmT0_T1_jT2_SQ_T4_T3_P12ihipStream_tbEUlT_E_NS1_11comp_targetILNS1_3genE0ELNS1_11target_archE4294967295ELNS1_3gpuE0ELNS1_3repE0EEENS1_30default_config_static_selectorELNS0_4arch9wavefront6targetE0EEEvSP_
	.p2align	8
	.type	_ZN7rocprim17ROCPRIM_400000_NS6detail17trampoline_kernelINS0_14default_configENS1_32segmented_reduce_config_selectorIdEEZNS1_21segmented_reduce_implIS3_PKdPdPKidN6hipcub16HIPCUB_304000_NS6detail27convert_result_type_wrapperIS8_S9_N2at6native12_GLOBAL__N_19CustomMaxEEEEE10hipError_tPvRmT0_T1_jT2_SQ_T4_T3_P12ihipStream_tbEUlT_E_NS1_11comp_targetILNS1_3genE0ELNS1_11target_archE4294967295ELNS1_3gpuE0ELNS1_3repE0EEENS1_30default_config_static_selectorELNS0_4arch9wavefront6targetE0EEEvSP_,@function
_ZN7rocprim17ROCPRIM_400000_NS6detail17trampoline_kernelINS0_14default_configENS1_32segmented_reduce_config_selectorIdEEZNS1_21segmented_reduce_implIS3_PKdPdPKidN6hipcub16HIPCUB_304000_NS6detail27convert_result_type_wrapperIS8_S9_N2at6native12_GLOBAL__N_19CustomMaxEEEEE10hipError_tPvRmT0_T1_jT2_SQ_T4_T3_P12ihipStream_tbEUlT_E_NS1_11comp_targetILNS1_3genE0ELNS1_11target_archE4294967295ELNS1_3gpuE0ELNS1_3repE0EEENS1_30default_config_static_selectorELNS0_4arch9wavefront6targetE0EEEvSP_: ; @_ZN7rocprim17ROCPRIM_400000_NS6detail17trampoline_kernelINS0_14default_configENS1_32segmented_reduce_config_selectorIdEEZNS1_21segmented_reduce_implIS3_PKdPdPKidN6hipcub16HIPCUB_304000_NS6detail27convert_result_type_wrapperIS8_S9_N2at6native12_GLOBAL__N_19CustomMaxEEEEE10hipError_tPvRmT0_T1_jT2_SQ_T4_T3_P12ihipStream_tbEUlT_E_NS1_11comp_targetILNS1_3genE0ELNS1_11target_archE4294967295ELNS1_3gpuE0ELNS1_3repE0EEENS1_30default_config_static_selectorELNS0_4arch9wavefront6targetE0EEEvSP_
; %bb.0:
	.section	.rodata,"a",@progbits
	.p2align	6, 0x0
	.amdhsa_kernel _ZN7rocprim17ROCPRIM_400000_NS6detail17trampoline_kernelINS0_14default_configENS1_32segmented_reduce_config_selectorIdEEZNS1_21segmented_reduce_implIS3_PKdPdPKidN6hipcub16HIPCUB_304000_NS6detail27convert_result_type_wrapperIS8_S9_N2at6native12_GLOBAL__N_19CustomMaxEEEEE10hipError_tPvRmT0_T1_jT2_SQ_T4_T3_P12ihipStream_tbEUlT_E_NS1_11comp_targetILNS1_3genE0ELNS1_11target_archE4294967295ELNS1_3gpuE0ELNS1_3repE0EEENS1_30default_config_static_selectorELNS0_4arch9wavefront6targetE0EEEvSP_
		.amdhsa_group_segment_fixed_size 0
		.amdhsa_private_segment_fixed_size 0
		.amdhsa_kernarg_size 56
		.amdhsa_user_sgpr_count 15
		.amdhsa_user_sgpr_dispatch_ptr 0
		.amdhsa_user_sgpr_queue_ptr 0
		.amdhsa_user_sgpr_kernarg_segment_ptr 1
		.amdhsa_user_sgpr_dispatch_id 0
		.amdhsa_user_sgpr_private_segment_size 0
		.amdhsa_wavefront_size32 1
		.amdhsa_uses_dynamic_stack 0
		.amdhsa_enable_private_segment 0
		.amdhsa_system_sgpr_workgroup_id_x 1
		.amdhsa_system_sgpr_workgroup_id_y 0
		.amdhsa_system_sgpr_workgroup_id_z 0
		.amdhsa_system_sgpr_workgroup_info 0
		.amdhsa_system_vgpr_workitem_id 0
		.amdhsa_next_free_vgpr 1
		.amdhsa_next_free_sgpr 1
		.amdhsa_reserve_vcc 0
		.amdhsa_float_round_mode_32 0
		.amdhsa_float_round_mode_16_64 0
		.amdhsa_float_denorm_mode_32 3
		.amdhsa_float_denorm_mode_16_64 3
		.amdhsa_dx10_clamp 1
		.amdhsa_ieee_mode 1
		.amdhsa_fp16_overflow 0
		.amdhsa_workgroup_processor_mode 1
		.amdhsa_memory_ordered 1
		.amdhsa_forward_progress 0
		.amdhsa_shared_vgpr_count 0
		.amdhsa_exception_fp_ieee_invalid_op 0
		.amdhsa_exception_fp_denorm_src 0
		.amdhsa_exception_fp_ieee_div_zero 0
		.amdhsa_exception_fp_ieee_overflow 0
		.amdhsa_exception_fp_ieee_underflow 0
		.amdhsa_exception_fp_ieee_inexact 0
		.amdhsa_exception_int_div_zero 0
	.end_amdhsa_kernel
	.section	.text._ZN7rocprim17ROCPRIM_400000_NS6detail17trampoline_kernelINS0_14default_configENS1_32segmented_reduce_config_selectorIdEEZNS1_21segmented_reduce_implIS3_PKdPdPKidN6hipcub16HIPCUB_304000_NS6detail27convert_result_type_wrapperIS8_S9_N2at6native12_GLOBAL__N_19CustomMaxEEEEE10hipError_tPvRmT0_T1_jT2_SQ_T4_T3_P12ihipStream_tbEUlT_E_NS1_11comp_targetILNS1_3genE0ELNS1_11target_archE4294967295ELNS1_3gpuE0ELNS1_3repE0EEENS1_30default_config_static_selectorELNS0_4arch9wavefront6targetE0EEEvSP_,"axG",@progbits,_ZN7rocprim17ROCPRIM_400000_NS6detail17trampoline_kernelINS0_14default_configENS1_32segmented_reduce_config_selectorIdEEZNS1_21segmented_reduce_implIS3_PKdPdPKidN6hipcub16HIPCUB_304000_NS6detail27convert_result_type_wrapperIS8_S9_N2at6native12_GLOBAL__N_19CustomMaxEEEEE10hipError_tPvRmT0_T1_jT2_SQ_T4_T3_P12ihipStream_tbEUlT_E_NS1_11comp_targetILNS1_3genE0ELNS1_11target_archE4294967295ELNS1_3gpuE0ELNS1_3repE0EEENS1_30default_config_static_selectorELNS0_4arch9wavefront6targetE0EEEvSP_,comdat
.Lfunc_end9:
	.size	_ZN7rocprim17ROCPRIM_400000_NS6detail17trampoline_kernelINS0_14default_configENS1_32segmented_reduce_config_selectorIdEEZNS1_21segmented_reduce_implIS3_PKdPdPKidN6hipcub16HIPCUB_304000_NS6detail27convert_result_type_wrapperIS8_S9_N2at6native12_GLOBAL__N_19CustomMaxEEEEE10hipError_tPvRmT0_T1_jT2_SQ_T4_T3_P12ihipStream_tbEUlT_E_NS1_11comp_targetILNS1_3genE0ELNS1_11target_archE4294967295ELNS1_3gpuE0ELNS1_3repE0EEENS1_30default_config_static_selectorELNS0_4arch9wavefront6targetE0EEEvSP_, .Lfunc_end9-_ZN7rocprim17ROCPRIM_400000_NS6detail17trampoline_kernelINS0_14default_configENS1_32segmented_reduce_config_selectorIdEEZNS1_21segmented_reduce_implIS3_PKdPdPKidN6hipcub16HIPCUB_304000_NS6detail27convert_result_type_wrapperIS8_S9_N2at6native12_GLOBAL__N_19CustomMaxEEEEE10hipError_tPvRmT0_T1_jT2_SQ_T4_T3_P12ihipStream_tbEUlT_E_NS1_11comp_targetILNS1_3genE0ELNS1_11target_archE4294967295ELNS1_3gpuE0ELNS1_3repE0EEENS1_30default_config_static_selectorELNS0_4arch9wavefront6targetE0EEEvSP_
                                        ; -- End function
	.section	.AMDGPU.csdata,"",@progbits
; Kernel info:
; codeLenInByte = 0
; NumSgprs: 0
; NumVgprs: 0
; ScratchSize: 0
; MemoryBound: 0
; FloatMode: 240
; IeeeMode: 1
; LDSByteSize: 0 bytes/workgroup (compile time only)
; SGPRBlocks: 0
; VGPRBlocks: 0
; NumSGPRsForWavesPerEU: 1
; NumVGPRsForWavesPerEU: 1
; Occupancy: 16
; WaveLimiterHint : 0
; COMPUTE_PGM_RSRC2:SCRATCH_EN: 0
; COMPUTE_PGM_RSRC2:USER_SGPR: 15
; COMPUTE_PGM_RSRC2:TRAP_HANDLER: 0
; COMPUTE_PGM_RSRC2:TGID_X_EN: 1
; COMPUTE_PGM_RSRC2:TGID_Y_EN: 0
; COMPUTE_PGM_RSRC2:TGID_Z_EN: 0
; COMPUTE_PGM_RSRC2:TIDIG_COMP_CNT: 0
	.section	.text._ZN7rocprim17ROCPRIM_400000_NS6detail17trampoline_kernelINS0_14default_configENS1_32segmented_reduce_config_selectorIdEEZNS1_21segmented_reduce_implIS3_PKdPdPKidN6hipcub16HIPCUB_304000_NS6detail27convert_result_type_wrapperIS8_S9_N2at6native12_GLOBAL__N_19CustomMaxEEEEE10hipError_tPvRmT0_T1_jT2_SQ_T4_T3_P12ihipStream_tbEUlT_E_NS1_11comp_targetILNS1_3genE5ELNS1_11target_archE942ELNS1_3gpuE9ELNS1_3repE0EEENS1_30default_config_static_selectorELNS0_4arch9wavefront6targetE0EEEvSP_,"axG",@progbits,_ZN7rocprim17ROCPRIM_400000_NS6detail17trampoline_kernelINS0_14default_configENS1_32segmented_reduce_config_selectorIdEEZNS1_21segmented_reduce_implIS3_PKdPdPKidN6hipcub16HIPCUB_304000_NS6detail27convert_result_type_wrapperIS8_S9_N2at6native12_GLOBAL__N_19CustomMaxEEEEE10hipError_tPvRmT0_T1_jT2_SQ_T4_T3_P12ihipStream_tbEUlT_E_NS1_11comp_targetILNS1_3genE5ELNS1_11target_archE942ELNS1_3gpuE9ELNS1_3repE0EEENS1_30default_config_static_selectorELNS0_4arch9wavefront6targetE0EEEvSP_,comdat
	.globl	_ZN7rocprim17ROCPRIM_400000_NS6detail17trampoline_kernelINS0_14default_configENS1_32segmented_reduce_config_selectorIdEEZNS1_21segmented_reduce_implIS3_PKdPdPKidN6hipcub16HIPCUB_304000_NS6detail27convert_result_type_wrapperIS8_S9_N2at6native12_GLOBAL__N_19CustomMaxEEEEE10hipError_tPvRmT0_T1_jT2_SQ_T4_T3_P12ihipStream_tbEUlT_E_NS1_11comp_targetILNS1_3genE5ELNS1_11target_archE942ELNS1_3gpuE9ELNS1_3repE0EEENS1_30default_config_static_selectorELNS0_4arch9wavefront6targetE0EEEvSP_ ; -- Begin function _ZN7rocprim17ROCPRIM_400000_NS6detail17trampoline_kernelINS0_14default_configENS1_32segmented_reduce_config_selectorIdEEZNS1_21segmented_reduce_implIS3_PKdPdPKidN6hipcub16HIPCUB_304000_NS6detail27convert_result_type_wrapperIS8_S9_N2at6native12_GLOBAL__N_19CustomMaxEEEEE10hipError_tPvRmT0_T1_jT2_SQ_T4_T3_P12ihipStream_tbEUlT_E_NS1_11comp_targetILNS1_3genE5ELNS1_11target_archE942ELNS1_3gpuE9ELNS1_3repE0EEENS1_30default_config_static_selectorELNS0_4arch9wavefront6targetE0EEEvSP_
	.p2align	8
	.type	_ZN7rocprim17ROCPRIM_400000_NS6detail17trampoline_kernelINS0_14default_configENS1_32segmented_reduce_config_selectorIdEEZNS1_21segmented_reduce_implIS3_PKdPdPKidN6hipcub16HIPCUB_304000_NS6detail27convert_result_type_wrapperIS8_S9_N2at6native12_GLOBAL__N_19CustomMaxEEEEE10hipError_tPvRmT0_T1_jT2_SQ_T4_T3_P12ihipStream_tbEUlT_E_NS1_11comp_targetILNS1_3genE5ELNS1_11target_archE942ELNS1_3gpuE9ELNS1_3repE0EEENS1_30default_config_static_selectorELNS0_4arch9wavefront6targetE0EEEvSP_,@function
_ZN7rocprim17ROCPRIM_400000_NS6detail17trampoline_kernelINS0_14default_configENS1_32segmented_reduce_config_selectorIdEEZNS1_21segmented_reduce_implIS3_PKdPdPKidN6hipcub16HIPCUB_304000_NS6detail27convert_result_type_wrapperIS8_S9_N2at6native12_GLOBAL__N_19CustomMaxEEEEE10hipError_tPvRmT0_T1_jT2_SQ_T4_T3_P12ihipStream_tbEUlT_E_NS1_11comp_targetILNS1_3genE5ELNS1_11target_archE942ELNS1_3gpuE9ELNS1_3repE0EEENS1_30default_config_static_selectorELNS0_4arch9wavefront6targetE0EEEvSP_: ; @_ZN7rocprim17ROCPRIM_400000_NS6detail17trampoline_kernelINS0_14default_configENS1_32segmented_reduce_config_selectorIdEEZNS1_21segmented_reduce_implIS3_PKdPdPKidN6hipcub16HIPCUB_304000_NS6detail27convert_result_type_wrapperIS8_S9_N2at6native12_GLOBAL__N_19CustomMaxEEEEE10hipError_tPvRmT0_T1_jT2_SQ_T4_T3_P12ihipStream_tbEUlT_E_NS1_11comp_targetILNS1_3genE5ELNS1_11target_archE942ELNS1_3gpuE9ELNS1_3repE0EEENS1_30default_config_static_selectorELNS0_4arch9wavefront6targetE0EEEvSP_
; %bb.0:
	.section	.rodata,"a",@progbits
	.p2align	6, 0x0
	.amdhsa_kernel _ZN7rocprim17ROCPRIM_400000_NS6detail17trampoline_kernelINS0_14default_configENS1_32segmented_reduce_config_selectorIdEEZNS1_21segmented_reduce_implIS3_PKdPdPKidN6hipcub16HIPCUB_304000_NS6detail27convert_result_type_wrapperIS8_S9_N2at6native12_GLOBAL__N_19CustomMaxEEEEE10hipError_tPvRmT0_T1_jT2_SQ_T4_T3_P12ihipStream_tbEUlT_E_NS1_11comp_targetILNS1_3genE5ELNS1_11target_archE942ELNS1_3gpuE9ELNS1_3repE0EEENS1_30default_config_static_selectorELNS0_4arch9wavefront6targetE0EEEvSP_
		.amdhsa_group_segment_fixed_size 0
		.amdhsa_private_segment_fixed_size 0
		.amdhsa_kernarg_size 56
		.amdhsa_user_sgpr_count 15
		.amdhsa_user_sgpr_dispatch_ptr 0
		.amdhsa_user_sgpr_queue_ptr 0
		.amdhsa_user_sgpr_kernarg_segment_ptr 1
		.amdhsa_user_sgpr_dispatch_id 0
		.amdhsa_user_sgpr_private_segment_size 0
		.amdhsa_wavefront_size32 1
		.amdhsa_uses_dynamic_stack 0
		.amdhsa_enable_private_segment 0
		.amdhsa_system_sgpr_workgroup_id_x 1
		.amdhsa_system_sgpr_workgroup_id_y 0
		.amdhsa_system_sgpr_workgroup_id_z 0
		.amdhsa_system_sgpr_workgroup_info 0
		.amdhsa_system_vgpr_workitem_id 0
		.amdhsa_next_free_vgpr 1
		.amdhsa_next_free_sgpr 1
		.amdhsa_reserve_vcc 0
		.amdhsa_float_round_mode_32 0
		.amdhsa_float_round_mode_16_64 0
		.amdhsa_float_denorm_mode_32 3
		.amdhsa_float_denorm_mode_16_64 3
		.amdhsa_dx10_clamp 1
		.amdhsa_ieee_mode 1
		.amdhsa_fp16_overflow 0
		.amdhsa_workgroup_processor_mode 1
		.amdhsa_memory_ordered 1
		.amdhsa_forward_progress 0
		.amdhsa_shared_vgpr_count 0
		.amdhsa_exception_fp_ieee_invalid_op 0
		.amdhsa_exception_fp_denorm_src 0
		.amdhsa_exception_fp_ieee_div_zero 0
		.amdhsa_exception_fp_ieee_overflow 0
		.amdhsa_exception_fp_ieee_underflow 0
		.amdhsa_exception_fp_ieee_inexact 0
		.amdhsa_exception_int_div_zero 0
	.end_amdhsa_kernel
	.section	.text._ZN7rocprim17ROCPRIM_400000_NS6detail17trampoline_kernelINS0_14default_configENS1_32segmented_reduce_config_selectorIdEEZNS1_21segmented_reduce_implIS3_PKdPdPKidN6hipcub16HIPCUB_304000_NS6detail27convert_result_type_wrapperIS8_S9_N2at6native12_GLOBAL__N_19CustomMaxEEEEE10hipError_tPvRmT0_T1_jT2_SQ_T4_T3_P12ihipStream_tbEUlT_E_NS1_11comp_targetILNS1_3genE5ELNS1_11target_archE942ELNS1_3gpuE9ELNS1_3repE0EEENS1_30default_config_static_selectorELNS0_4arch9wavefront6targetE0EEEvSP_,"axG",@progbits,_ZN7rocprim17ROCPRIM_400000_NS6detail17trampoline_kernelINS0_14default_configENS1_32segmented_reduce_config_selectorIdEEZNS1_21segmented_reduce_implIS3_PKdPdPKidN6hipcub16HIPCUB_304000_NS6detail27convert_result_type_wrapperIS8_S9_N2at6native12_GLOBAL__N_19CustomMaxEEEEE10hipError_tPvRmT0_T1_jT2_SQ_T4_T3_P12ihipStream_tbEUlT_E_NS1_11comp_targetILNS1_3genE5ELNS1_11target_archE942ELNS1_3gpuE9ELNS1_3repE0EEENS1_30default_config_static_selectorELNS0_4arch9wavefront6targetE0EEEvSP_,comdat
.Lfunc_end10:
	.size	_ZN7rocprim17ROCPRIM_400000_NS6detail17trampoline_kernelINS0_14default_configENS1_32segmented_reduce_config_selectorIdEEZNS1_21segmented_reduce_implIS3_PKdPdPKidN6hipcub16HIPCUB_304000_NS6detail27convert_result_type_wrapperIS8_S9_N2at6native12_GLOBAL__N_19CustomMaxEEEEE10hipError_tPvRmT0_T1_jT2_SQ_T4_T3_P12ihipStream_tbEUlT_E_NS1_11comp_targetILNS1_3genE5ELNS1_11target_archE942ELNS1_3gpuE9ELNS1_3repE0EEENS1_30default_config_static_selectorELNS0_4arch9wavefront6targetE0EEEvSP_, .Lfunc_end10-_ZN7rocprim17ROCPRIM_400000_NS6detail17trampoline_kernelINS0_14default_configENS1_32segmented_reduce_config_selectorIdEEZNS1_21segmented_reduce_implIS3_PKdPdPKidN6hipcub16HIPCUB_304000_NS6detail27convert_result_type_wrapperIS8_S9_N2at6native12_GLOBAL__N_19CustomMaxEEEEE10hipError_tPvRmT0_T1_jT2_SQ_T4_T3_P12ihipStream_tbEUlT_E_NS1_11comp_targetILNS1_3genE5ELNS1_11target_archE942ELNS1_3gpuE9ELNS1_3repE0EEENS1_30default_config_static_selectorELNS0_4arch9wavefront6targetE0EEEvSP_
                                        ; -- End function
	.section	.AMDGPU.csdata,"",@progbits
; Kernel info:
; codeLenInByte = 0
; NumSgprs: 0
; NumVgprs: 0
; ScratchSize: 0
; MemoryBound: 0
; FloatMode: 240
; IeeeMode: 1
; LDSByteSize: 0 bytes/workgroup (compile time only)
; SGPRBlocks: 0
; VGPRBlocks: 0
; NumSGPRsForWavesPerEU: 1
; NumVGPRsForWavesPerEU: 1
; Occupancy: 16
; WaveLimiterHint : 0
; COMPUTE_PGM_RSRC2:SCRATCH_EN: 0
; COMPUTE_PGM_RSRC2:USER_SGPR: 15
; COMPUTE_PGM_RSRC2:TRAP_HANDLER: 0
; COMPUTE_PGM_RSRC2:TGID_X_EN: 1
; COMPUTE_PGM_RSRC2:TGID_Y_EN: 0
; COMPUTE_PGM_RSRC2:TGID_Z_EN: 0
; COMPUTE_PGM_RSRC2:TIDIG_COMP_CNT: 0
	.section	.text._ZN7rocprim17ROCPRIM_400000_NS6detail17trampoline_kernelINS0_14default_configENS1_32segmented_reduce_config_selectorIdEEZNS1_21segmented_reduce_implIS3_PKdPdPKidN6hipcub16HIPCUB_304000_NS6detail27convert_result_type_wrapperIS8_S9_N2at6native12_GLOBAL__N_19CustomMaxEEEEE10hipError_tPvRmT0_T1_jT2_SQ_T4_T3_P12ihipStream_tbEUlT_E_NS1_11comp_targetILNS1_3genE10ELNS1_11target_archE1201ELNS1_3gpuE5ELNS1_3repE0EEENS1_30default_config_static_selectorELNS0_4arch9wavefront6targetE0EEEvSP_,"axG",@progbits,_ZN7rocprim17ROCPRIM_400000_NS6detail17trampoline_kernelINS0_14default_configENS1_32segmented_reduce_config_selectorIdEEZNS1_21segmented_reduce_implIS3_PKdPdPKidN6hipcub16HIPCUB_304000_NS6detail27convert_result_type_wrapperIS8_S9_N2at6native12_GLOBAL__N_19CustomMaxEEEEE10hipError_tPvRmT0_T1_jT2_SQ_T4_T3_P12ihipStream_tbEUlT_E_NS1_11comp_targetILNS1_3genE10ELNS1_11target_archE1201ELNS1_3gpuE5ELNS1_3repE0EEENS1_30default_config_static_selectorELNS0_4arch9wavefront6targetE0EEEvSP_,comdat
	.globl	_ZN7rocprim17ROCPRIM_400000_NS6detail17trampoline_kernelINS0_14default_configENS1_32segmented_reduce_config_selectorIdEEZNS1_21segmented_reduce_implIS3_PKdPdPKidN6hipcub16HIPCUB_304000_NS6detail27convert_result_type_wrapperIS8_S9_N2at6native12_GLOBAL__N_19CustomMaxEEEEE10hipError_tPvRmT0_T1_jT2_SQ_T4_T3_P12ihipStream_tbEUlT_E_NS1_11comp_targetILNS1_3genE10ELNS1_11target_archE1201ELNS1_3gpuE5ELNS1_3repE0EEENS1_30default_config_static_selectorELNS0_4arch9wavefront6targetE0EEEvSP_ ; -- Begin function _ZN7rocprim17ROCPRIM_400000_NS6detail17trampoline_kernelINS0_14default_configENS1_32segmented_reduce_config_selectorIdEEZNS1_21segmented_reduce_implIS3_PKdPdPKidN6hipcub16HIPCUB_304000_NS6detail27convert_result_type_wrapperIS8_S9_N2at6native12_GLOBAL__N_19CustomMaxEEEEE10hipError_tPvRmT0_T1_jT2_SQ_T4_T3_P12ihipStream_tbEUlT_E_NS1_11comp_targetILNS1_3genE10ELNS1_11target_archE1201ELNS1_3gpuE5ELNS1_3repE0EEENS1_30default_config_static_selectorELNS0_4arch9wavefront6targetE0EEEvSP_
	.p2align	8
	.type	_ZN7rocprim17ROCPRIM_400000_NS6detail17trampoline_kernelINS0_14default_configENS1_32segmented_reduce_config_selectorIdEEZNS1_21segmented_reduce_implIS3_PKdPdPKidN6hipcub16HIPCUB_304000_NS6detail27convert_result_type_wrapperIS8_S9_N2at6native12_GLOBAL__N_19CustomMaxEEEEE10hipError_tPvRmT0_T1_jT2_SQ_T4_T3_P12ihipStream_tbEUlT_E_NS1_11comp_targetILNS1_3genE10ELNS1_11target_archE1201ELNS1_3gpuE5ELNS1_3repE0EEENS1_30default_config_static_selectorELNS0_4arch9wavefront6targetE0EEEvSP_,@function
_ZN7rocprim17ROCPRIM_400000_NS6detail17trampoline_kernelINS0_14default_configENS1_32segmented_reduce_config_selectorIdEEZNS1_21segmented_reduce_implIS3_PKdPdPKidN6hipcub16HIPCUB_304000_NS6detail27convert_result_type_wrapperIS8_S9_N2at6native12_GLOBAL__N_19CustomMaxEEEEE10hipError_tPvRmT0_T1_jT2_SQ_T4_T3_P12ihipStream_tbEUlT_E_NS1_11comp_targetILNS1_3genE10ELNS1_11target_archE1201ELNS1_3gpuE5ELNS1_3repE0EEENS1_30default_config_static_selectorELNS0_4arch9wavefront6targetE0EEEvSP_: ; @_ZN7rocprim17ROCPRIM_400000_NS6detail17trampoline_kernelINS0_14default_configENS1_32segmented_reduce_config_selectorIdEEZNS1_21segmented_reduce_implIS3_PKdPdPKidN6hipcub16HIPCUB_304000_NS6detail27convert_result_type_wrapperIS8_S9_N2at6native12_GLOBAL__N_19CustomMaxEEEEE10hipError_tPvRmT0_T1_jT2_SQ_T4_T3_P12ihipStream_tbEUlT_E_NS1_11comp_targetILNS1_3genE10ELNS1_11target_archE1201ELNS1_3gpuE5ELNS1_3repE0EEENS1_30default_config_static_selectorELNS0_4arch9wavefront6targetE0EEEvSP_
; %bb.0:
	.section	.rodata,"a",@progbits
	.p2align	6, 0x0
	.amdhsa_kernel _ZN7rocprim17ROCPRIM_400000_NS6detail17trampoline_kernelINS0_14default_configENS1_32segmented_reduce_config_selectorIdEEZNS1_21segmented_reduce_implIS3_PKdPdPKidN6hipcub16HIPCUB_304000_NS6detail27convert_result_type_wrapperIS8_S9_N2at6native12_GLOBAL__N_19CustomMaxEEEEE10hipError_tPvRmT0_T1_jT2_SQ_T4_T3_P12ihipStream_tbEUlT_E_NS1_11comp_targetILNS1_3genE10ELNS1_11target_archE1201ELNS1_3gpuE5ELNS1_3repE0EEENS1_30default_config_static_selectorELNS0_4arch9wavefront6targetE0EEEvSP_
		.amdhsa_group_segment_fixed_size 0
		.amdhsa_private_segment_fixed_size 0
		.amdhsa_kernarg_size 56
		.amdhsa_user_sgpr_count 15
		.amdhsa_user_sgpr_dispatch_ptr 0
		.amdhsa_user_sgpr_queue_ptr 0
		.amdhsa_user_sgpr_kernarg_segment_ptr 1
		.amdhsa_user_sgpr_dispatch_id 0
		.amdhsa_user_sgpr_private_segment_size 0
		.amdhsa_wavefront_size32 1
		.amdhsa_uses_dynamic_stack 0
		.amdhsa_enable_private_segment 0
		.amdhsa_system_sgpr_workgroup_id_x 1
		.amdhsa_system_sgpr_workgroup_id_y 0
		.amdhsa_system_sgpr_workgroup_id_z 0
		.amdhsa_system_sgpr_workgroup_info 0
		.amdhsa_system_vgpr_workitem_id 0
		.amdhsa_next_free_vgpr 1
		.amdhsa_next_free_sgpr 1
		.amdhsa_reserve_vcc 0
		.amdhsa_float_round_mode_32 0
		.amdhsa_float_round_mode_16_64 0
		.amdhsa_float_denorm_mode_32 3
		.amdhsa_float_denorm_mode_16_64 3
		.amdhsa_dx10_clamp 1
		.amdhsa_ieee_mode 1
		.amdhsa_fp16_overflow 0
		.amdhsa_workgroup_processor_mode 1
		.amdhsa_memory_ordered 1
		.amdhsa_forward_progress 0
		.amdhsa_shared_vgpr_count 0
		.amdhsa_exception_fp_ieee_invalid_op 0
		.amdhsa_exception_fp_denorm_src 0
		.amdhsa_exception_fp_ieee_div_zero 0
		.amdhsa_exception_fp_ieee_overflow 0
		.amdhsa_exception_fp_ieee_underflow 0
		.amdhsa_exception_fp_ieee_inexact 0
		.amdhsa_exception_int_div_zero 0
	.end_amdhsa_kernel
	.section	.text._ZN7rocprim17ROCPRIM_400000_NS6detail17trampoline_kernelINS0_14default_configENS1_32segmented_reduce_config_selectorIdEEZNS1_21segmented_reduce_implIS3_PKdPdPKidN6hipcub16HIPCUB_304000_NS6detail27convert_result_type_wrapperIS8_S9_N2at6native12_GLOBAL__N_19CustomMaxEEEEE10hipError_tPvRmT0_T1_jT2_SQ_T4_T3_P12ihipStream_tbEUlT_E_NS1_11comp_targetILNS1_3genE10ELNS1_11target_archE1201ELNS1_3gpuE5ELNS1_3repE0EEENS1_30default_config_static_selectorELNS0_4arch9wavefront6targetE0EEEvSP_,"axG",@progbits,_ZN7rocprim17ROCPRIM_400000_NS6detail17trampoline_kernelINS0_14default_configENS1_32segmented_reduce_config_selectorIdEEZNS1_21segmented_reduce_implIS3_PKdPdPKidN6hipcub16HIPCUB_304000_NS6detail27convert_result_type_wrapperIS8_S9_N2at6native12_GLOBAL__N_19CustomMaxEEEEE10hipError_tPvRmT0_T1_jT2_SQ_T4_T3_P12ihipStream_tbEUlT_E_NS1_11comp_targetILNS1_3genE10ELNS1_11target_archE1201ELNS1_3gpuE5ELNS1_3repE0EEENS1_30default_config_static_selectorELNS0_4arch9wavefront6targetE0EEEvSP_,comdat
.Lfunc_end11:
	.size	_ZN7rocprim17ROCPRIM_400000_NS6detail17trampoline_kernelINS0_14default_configENS1_32segmented_reduce_config_selectorIdEEZNS1_21segmented_reduce_implIS3_PKdPdPKidN6hipcub16HIPCUB_304000_NS6detail27convert_result_type_wrapperIS8_S9_N2at6native12_GLOBAL__N_19CustomMaxEEEEE10hipError_tPvRmT0_T1_jT2_SQ_T4_T3_P12ihipStream_tbEUlT_E_NS1_11comp_targetILNS1_3genE10ELNS1_11target_archE1201ELNS1_3gpuE5ELNS1_3repE0EEENS1_30default_config_static_selectorELNS0_4arch9wavefront6targetE0EEEvSP_, .Lfunc_end11-_ZN7rocprim17ROCPRIM_400000_NS6detail17trampoline_kernelINS0_14default_configENS1_32segmented_reduce_config_selectorIdEEZNS1_21segmented_reduce_implIS3_PKdPdPKidN6hipcub16HIPCUB_304000_NS6detail27convert_result_type_wrapperIS8_S9_N2at6native12_GLOBAL__N_19CustomMaxEEEEE10hipError_tPvRmT0_T1_jT2_SQ_T4_T3_P12ihipStream_tbEUlT_E_NS1_11comp_targetILNS1_3genE10ELNS1_11target_archE1201ELNS1_3gpuE5ELNS1_3repE0EEENS1_30default_config_static_selectorELNS0_4arch9wavefront6targetE0EEEvSP_
                                        ; -- End function
	.section	.AMDGPU.csdata,"",@progbits
; Kernel info:
; codeLenInByte = 0
; NumSgprs: 0
; NumVgprs: 0
; ScratchSize: 0
; MemoryBound: 0
; FloatMode: 240
; IeeeMode: 1
; LDSByteSize: 0 bytes/workgroup (compile time only)
; SGPRBlocks: 0
; VGPRBlocks: 0
; NumSGPRsForWavesPerEU: 1
; NumVGPRsForWavesPerEU: 1
; Occupancy: 16
; WaveLimiterHint : 0
; COMPUTE_PGM_RSRC2:SCRATCH_EN: 0
; COMPUTE_PGM_RSRC2:USER_SGPR: 15
; COMPUTE_PGM_RSRC2:TRAP_HANDLER: 0
; COMPUTE_PGM_RSRC2:TGID_X_EN: 1
; COMPUTE_PGM_RSRC2:TGID_Y_EN: 0
; COMPUTE_PGM_RSRC2:TGID_Z_EN: 0
; COMPUTE_PGM_RSRC2:TIDIG_COMP_CNT: 0
	.section	.text._ZN7rocprim17ROCPRIM_400000_NS6detail17trampoline_kernelINS0_14default_configENS1_32segmented_reduce_config_selectorIdEEZNS1_21segmented_reduce_implIS3_PKdPdPKidN6hipcub16HIPCUB_304000_NS6detail27convert_result_type_wrapperIS8_S9_N2at6native12_GLOBAL__N_19CustomMaxEEEEE10hipError_tPvRmT0_T1_jT2_SQ_T4_T3_P12ihipStream_tbEUlT_E_NS1_11comp_targetILNS1_3genE4ELNS1_11target_archE910ELNS1_3gpuE8ELNS1_3repE0EEENS1_30default_config_static_selectorELNS0_4arch9wavefront6targetE0EEEvSP_,"axG",@progbits,_ZN7rocprim17ROCPRIM_400000_NS6detail17trampoline_kernelINS0_14default_configENS1_32segmented_reduce_config_selectorIdEEZNS1_21segmented_reduce_implIS3_PKdPdPKidN6hipcub16HIPCUB_304000_NS6detail27convert_result_type_wrapperIS8_S9_N2at6native12_GLOBAL__N_19CustomMaxEEEEE10hipError_tPvRmT0_T1_jT2_SQ_T4_T3_P12ihipStream_tbEUlT_E_NS1_11comp_targetILNS1_3genE4ELNS1_11target_archE910ELNS1_3gpuE8ELNS1_3repE0EEENS1_30default_config_static_selectorELNS0_4arch9wavefront6targetE0EEEvSP_,comdat
	.globl	_ZN7rocprim17ROCPRIM_400000_NS6detail17trampoline_kernelINS0_14default_configENS1_32segmented_reduce_config_selectorIdEEZNS1_21segmented_reduce_implIS3_PKdPdPKidN6hipcub16HIPCUB_304000_NS6detail27convert_result_type_wrapperIS8_S9_N2at6native12_GLOBAL__N_19CustomMaxEEEEE10hipError_tPvRmT0_T1_jT2_SQ_T4_T3_P12ihipStream_tbEUlT_E_NS1_11comp_targetILNS1_3genE4ELNS1_11target_archE910ELNS1_3gpuE8ELNS1_3repE0EEENS1_30default_config_static_selectorELNS0_4arch9wavefront6targetE0EEEvSP_ ; -- Begin function _ZN7rocprim17ROCPRIM_400000_NS6detail17trampoline_kernelINS0_14default_configENS1_32segmented_reduce_config_selectorIdEEZNS1_21segmented_reduce_implIS3_PKdPdPKidN6hipcub16HIPCUB_304000_NS6detail27convert_result_type_wrapperIS8_S9_N2at6native12_GLOBAL__N_19CustomMaxEEEEE10hipError_tPvRmT0_T1_jT2_SQ_T4_T3_P12ihipStream_tbEUlT_E_NS1_11comp_targetILNS1_3genE4ELNS1_11target_archE910ELNS1_3gpuE8ELNS1_3repE0EEENS1_30default_config_static_selectorELNS0_4arch9wavefront6targetE0EEEvSP_
	.p2align	8
	.type	_ZN7rocprim17ROCPRIM_400000_NS6detail17trampoline_kernelINS0_14default_configENS1_32segmented_reduce_config_selectorIdEEZNS1_21segmented_reduce_implIS3_PKdPdPKidN6hipcub16HIPCUB_304000_NS6detail27convert_result_type_wrapperIS8_S9_N2at6native12_GLOBAL__N_19CustomMaxEEEEE10hipError_tPvRmT0_T1_jT2_SQ_T4_T3_P12ihipStream_tbEUlT_E_NS1_11comp_targetILNS1_3genE4ELNS1_11target_archE910ELNS1_3gpuE8ELNS1_3repE0EEENS1_30default_config_static_selectorELNS0_4arch9wavefront6targetE0EEEvSP_,@function
_ZN7rocprim17ROCPRIM_400000_NS6detail17trampoline_kernelINS0_14default_configENS1_32segmented_reduce_config_selectorIdEEZNS1_21segmented_reduce_implIS3_PKdPdPKidN6hipcub16HIPCUB_304000_NS6detail27convert_result_type_wrapperIS8_S9_N2at6native12_GLOBAL__N_19CustomMaxEEEEE10hipError_tPvRmT0_T1_jT2_SQ_T4_T3_P12ihipStream_tbEUlT_E_NS1_11comp_targetILNS1_3genE4ELNS1_11target_archE910ELNS1_3gpuE8ELNS1_3repE0EEENS1_30default_config_static_selectorELNS0_4arch9wavefront6targetE0EEEvSP_: ; @_ZN7rocprim17ROCPRIM_400000_NS6detail17trampoline_kernelINS0_14default_configENS1_32segmented_reduce_config_selectorIdEEZNS1_21segmented_reduce_implIS3_PKdPdPKidN6hipcub16HIPCUB_304000_NS6detail27convert_result_type_wrapperIS8_S9_N2at6native12_GLOBAL__N_19CustomMaxEEEEE10hipError_tPvRmT0_T1_jT2_SQ_T4_T3_P12ihipStream_tbEUlT_E_NS1_11comp_targetILNS1_3genE4ELNS1_11target_archE910ELNS1_3gpuE8ELNS1_3repE0EEENS1_30default_config_static_selectorELNS0_4arch9wavefront6targetE0EEEvSP_
; %bb.0:
	.section	.rodata,"a",@progbits
	.p2align	6, 0x0
	.amdhsa_kernel _ZN7rocprim17ROCPRIM_400000_NS6detail17trampoline_kernelINS0_14default_configENS1_32segmented_reduce_config_selectorIdEEZNS1_21segmented_reduce_implIS3_PKdPdPKidN6hipcub16HIPCUB_304000_NS6detail27convert_result_type_wrapperIS8_S9_N2at6native12_GLOBAL__N_19CustomMaxEEEEE10hipError_tPvRmT0_T1_jT2_SQ_T4_T3_P12ihipStream_tbEUlT_E_NS1_11comp_targetILNS1_3genE4ELNS1_11target_archE910ELNS1_3gpuE8ELNS1_3repE0EEENS1_30default_config_static_selectorELNS0_4arch9wavefront6targetE0EEEvSP_
		.amdhsa_group_segment_fixed_size 0
		.amdhsa_private_segment_fixed_size 0
		.amdhsa_kernarg_size 56
		.amdhsa_user_sgpr_count 15
		.amdhsa_user_sgpr_dispatch_ptr 0
		.amdhsa_user_sgpr_queue_ptr 0
		.amdhsa_user_sgpr_kernarg_segment_ptr 1
		.amdhsa_user_sgpr_dispatch_id 0
		.amdhsa_user_sgpr_private_segment_size 0
		.amdhsa_wavefront_size32 1
		.amdhsa_uses_dynamic_stack 0
		.amdhsa_enable_private_segment 0
		.amdhsa_system_sgpr_workgroup_id_x 1
		.amdhsa_system_sgpr_workgroup_id_y 0
		.amdhsa_system_sgpr_workgroup_id_z 0
		.amdhsa_system_sgpr_workgroup_info 0
		.amdhsa_system_vgpr_workitem_id 0
		.amdhsa_next_free_vgpr 1
		.amdhsa_next_free_sgpr 1
		.amdhsa_reserve_vcc 0
		.amdhsa_float_round_mode_32 0
		.amdhsa_float_round_mode_16_64 0
		.amdhsa_float_denorm_mode_32 3
		.amdhsa_float_denorm_mode_16_64 3
		.amdhsa_dx10_clamp 1
		.amdhsa_ieee_mode 1
		.amdhsa_fp16_overflow 0
		.amdhsa_workgroup_processor_mode 1
		.amdhsa_memory_ordered 1
		.amdhsa_forward_progress 0
		.amdhsa_shared_vgpr_count 0
		.amdhsa_exception_fp_ieee_invalid_op 0
		.amdhsa_exception_fp_denorm_src 0
		.amdhsa_exception_fp_ieee_div_zero 0
		.amdhsa_exception_fp_ieee_overflow 0
		.amdhsa_exception_fp_ieee_underflow 0
		.amdhsa_exception_fp_ieee_inexact 0
		.amdhsa_exception_int_div_zero 0
	.end_amdhsa_kernel
	.section	.text._ZN7rocprim17ROCPRIM_400000_NS6detail17trampoline_kernelINS0_14default_configENS1_32segmented_reduce_config_selectorIdEEZNS1_21segmented_reduce_implIS3_PKdPdPKidN6hipcub16HIPCUB_304000_NS6detail27convert_result_type_wrapperIS8_S9_N2at6native12_GLOBAL__N_19CustomMaxEEEEE10hipError_tPvRmT0_T1_jT2_SQ_T4_T3_P12ihipStream_tbEUlT_E_NS1_11comp_targetILNS1_3genE4ELNS1_11target_archE910ELNS1_3gpuE8ELNS1_3repE0EEENS1_30default_config_static_selectorELNS0_4arch9wavefront6targetE0EEEvSP_,"axG",@progbits,_ZN7rocprim17ROCPRIM_400000_NS6detail17trampoline_kernelINS0_14default_configENS1_32segmented_reduce_config_selectorIdEEZNS1_21segmented_reduce_implIS3_PKdPdPKidN6hipcub16HIPCUB_304000_NS6detail27convert_result_type_wrapperIS8_S9_N2at6native12_GLOBAL__N_19CustomMaxEEEEE10hipError_tPvRmT0_T1_jT2_SQ_T4_T3_P12ihipStream_tbEUlT_E_NS1_11comp_targetILNS1_3genE4ELNS1_11target_archE910ELNS1_3gpuE8ELNS1_3repE0EEENS1_30default_config_static_selectorELNS0_4arch9wavefront6targetE0EEEvSP_,comdat
.Lfunc_end12:
	.size	_ZN7rocprim17ROCPRIM_400000_NS6detail17trampoline_kernelINS0_14default_configENS1_32segmented_reduce_config_selectorIdEEZNS1_21segmented_reduce_implIS3_PKdPdPKidN6hipcub16HIPCUB_304000_NS6detail27convert_result_type_wrapperIS8_S9_N2at6native12_GLOBAL__N_19CustomMaxEEEEE10hipError_tPvRmT0_T1_jT2_SQ_T4_T3_P12ihipStream_tbEUlT_E_NS1_11comp_targetILNS1_3genE4ELNS1_11target_archE910ELNS1_3gpuE8ELNS1_3repE0EEENS1_30default_config_static_selectorELNS0_4arch9wavefront6targetE0EEEvSP_, .Lfunc_end12-_ZN7rocprim17ROCPRIM_400000_NS6detail17trampoline_kernelINS0_14default_configENS1_32segmented_reduce_config_selectorIdEEZNS1_21segmented_reduce_implIS3_PKdPdPKidN6hipcub16HIPCUB_304000_NS6detail27convert_result_type_wrapperIS8_S9_N2at6native12_GLOBAL__N_19CustomMaxEEEEE10hipError_tPvRmT0_T1_jT2_SQ_T4_T3_P12ihipStream_tbEUlT_E_NS1_11comp_targetILNS1_3genE4ELNS1_11target_archE910ELNS1_3gpuE8ELNS1_3repE0EEENS1_30default_config_static_selectorELNS0_4arch9wavefront6targetE0EEEvSP_
                                        ; -- End function
	.section	.AMDGPU.csdata,"",@progbits
; Kernel info:
; codeLenInByte = 0
; NumSgprs: 0
; NumVgprs: 0
; ScratchSize: 0
; MemoryBound: 0
; FloatMode: 240
; IeeeMode: 1
; LDSByteSize: 0 bytes/workgroup (compile time only)
; SGPRBlocks: 0
; VGPRBlocks: 0
; NumSGPRsForWavesPerEU: 1
; NumVGPRsForWavesPerEU: 1
; Occupancy: 16
; WaveLimiterHint : 0
; COMPUTE_PGM_RSRC2:SCRATCH_EN: 0
; COMPUTE_PGM_RSRC2:USER_SGPR: 15
; COMPUTE_PGM_RSRC2:TRAP_HANDLER: 0
; COMPUTE_PGM_RSRC2:TGID_X_EN: 1
; COMPUTE_PGM_RSRC2:TGID_Y_EN: 0
; COMPUTE_PGM_RSRC2:TGID_Z_EN: 0
; COMPUTE_PGM_RSRC2:TIDIG_COMP_CNT: 0
	.section	.text._ZN7rocprim17ROCPRIM_400000_NS6detail17trampoline_kernelINS0_14default_configENS1_32segmented_reduce_config_selectorIdEEZNS1_21segmented_reduce_implIS3_PKdPdPKidN6hipcub16HIPCUB_304000_NS6detail27convert_result_type_wrapperIS8_S9_N2at6native12_GLOBAL__N_19CustomMaxEEEEE10hipError_tPvRmT0_T1_jT2_SQ_T4_T3_P12ihipStream_tbEUlT_E_NS1_11comp_targetILNS1_3genE3ELNS1_11target_archE908ELNS1_3gpuE7ELNS1_3repE0EEENS1_30default_config_static_selectorELNS0_4arch9wavefront6targetE0EEEvSP_,"axG",@progbits,_ZN7rocprim17ROCPRIM_400000_NS6detail17trampoline_kernelINS0_14default_configENS1_32segmented_reduce_config_selectorIdEEZNS1_21segmented_reduce_implIS3_PKdPdPKidN6hipcub16HIPCUB_304000_NS6detail27convert_result_type_wrapperIS8_S9_N2at6native12_GLOBAL__N_19CustomMaxEEEEE10hipError_tPvRmT0_T1_jT2_SQ_T4_T3_P12ihipStream_tbEUlT_E_NS1_11comp_targetILNS1_3genE3ELNS1_11target_archE908ELNS1_3gpuE7ELNS1_3repE0EEENS1_30default_config_static_selectorELNS0_4arch9wavefront6targetE0EEEvSP_,comdat
	.globl	_ZN7rocprim17ROCPRIM_400000_NS6detail17trampoline_kernelINS0_14default_configENS1_32segmented_reduce_config_selectorIdEEZNS1_21segmented_reduce_implIS3_PKdPdPKidN6hipcub16HIPCUB_304000_NS6detail27convert_result_type_wrapperIS8_S9_N2at6native12_GLOBAL__N_19CustomMaxEEEEE10hipError_tPvRmT0_T1_jT2_SQ_T4_T3_P12ihipStream_tbEUlT_E_NS1_11comp_targetILNS1_3genE3ELNS1_11target_archE908ELNS1_3gpuE7ELNS1_3repE0EEENS1_30default_config_static_selectorELNS0_4arch9wavefront6targetE0EEEvSP_ ; -- Begin function _ZN7rocprim17ROCPRIM_400000_NS6detail17trampoline_kernelINS0_14default_configENS1_32segmented_reduce_config_selectorIdEEZNS1_21segmented_reduce_implIS3_PKdPdPKidN6hipcub16HIPCUB_304000_NS6detail27convert_result_type_wrapperIS8_S9_N2at6native12_GLOBAL__N_19CustomMaxEEEEE10hipError_tPvRmT0_T1_jT2_SQ_T4_T3_P12ihipStream_tbEUlT_E_NS1_11comp_targetILNS1_3genE3ELNS1_11target_archE908ELNS1_3gpuE7ELNS1_3repE0EEENS1_30default_config_static_selectorELNS0_4arch9wavefront6targetE0EEEvSP_
	.p2align	8
	.type	_ZN7rocprim17ROCPRIM_400000_NS6detail17trampoline_kernelINS0_14default_configENS1_32segmented_reduce_config_selectorIdEEZNS1_21segmented_reduce_implIS3_PKdPdPKidN6hipcub16HIPCUB_304000_NS6detail27convert_result_type_wrapperIS8_S9_N2at6native12_GLOBAL__N_19CustomMaxEEEEE10hipError_tPvRmT0_T1_jT2_SQ_T4_T3_P12ihipStream_tbEUlT_E_NS1_11comp_targetILNS1_3genE3ELNS1_11target_archE908ELNS1_3gpuE7ELNS1_3repE0EEENS1_30default_config_static_selectorELNS0_4arch9wavefront6targetE0EEEvSP_,@function
_ZN7rocprim17ROCPRIM_400000_NS6detail17trampoline_kernelINS0_14default_configENS1_32segmented_reduce_config_selectorIdEEZNS1_21segmented_reduce_implIS3_PKdPdPKidN6hipcub16HIPCUB_304000_NS6detail27convert_result_type_wrapperIS8_S9_N2at6native12_GLOBAL__N_19CustomMaxEEEEE10hipError_tPvRmT0_T1_jT2_SQ_T4_T3_P12ihipStream_tbEUlT_E_NS1_11comp_targetILNS1_3genE3ELNS1_11target_archE908ELNS1_3gpuE7ELNS1_3repE0EEENS1_30default_config_static_selectorELNS0_4arch9wavefront6targetE0EEEvSP_: ; @_ZN7rocprim17ROCPRIM_400000_NS6detail17trampoline_kernelINS0_14default_configENS1_32segmented_reduce_config_selectorIdEEZNS1_21segmented_reduce_implIS3_PKdPdPKidN6hipcub16HIPCUB_304000_NS6detail27convert_result_type_wrapperIS8_S9_N2at6native12_GLOBAL__N_19CustomMaxEEEEE10hipError_tPvRmT0_T1_jT2_SQ_T4_T3_P12ihipStream_tbEUlT_E_NS1_11comp_targetILNS1_3genE3ELNS1_11target_archE908ELNS1_3gpuE7ELNS1_3repE0EEENS1_30default_config_static_selectorELNS0_4arch9wavefront6targetE0EEEvSP_
; %bb.0:
	.section	.rodata,"a",@progbits
	.p2align	6, 0x0
	.amdhsa_kernel _ZN7rocprim17ROCPRIM_400000_NS6detail17trampoline_kernelINS0_14default_configENS1_32segmented_reduce_config_selectorIdEEZNS1_21segmented_reduce_implIS3_PKdPdPKidN6hipcub16HIPCUB_304000_NS6detail27convert_result_type_wrapperIS8_S9_N2at6native12_GLOBAL__N_19CustomMaxEEEEE10hipError_tPvRmT0_T1_jT2_SQ_T4_T3_P12ihipStream_tbEUlT_E_NS1_11comp_targetILNS1_3genE3ELNS1_11target_archE908ELNS1_3gpuE7ELNS1_3repE0EEENS1_30default_config_static_selectorELNS0_4arch9wavefront6targetE0EEEvSP_
		.amdhsa_group_segment_fixed_size 0
		.amdhsa_private_segment_fixed_size 0
		.amdhsa_kernarg_size 56
		.amdhsa_user_sgpr_count 15
		.amdhsa_user_sgpr_dispatch_ptr 0
		.amdhsa_user_sgpr_queue_ptr 0
		.amdhsa_user_sgpr_kernarg_segment_ptr 1
		.amdhsa_user_sgpr_dispatch_id 0
		.amdhsa_user_sgpr_private_segment_size 0
		.amdhsa_wavefront_size32 1
		.amdhsa_uses_dynamic_stack 0
		.amdhsa_enable_private_segment 0
		.amdhsa_system_sgpr_workgroup_id_x 1
		.amdhsa_system_sgpr_workgroup_id_y 0
		.amdhsa_system_sgpr_workgroup_id_z 0
		.amdhsa_system_sgpr_workgroup_info 0
		.amdhsa_system_vgpr_workitem_id 0
		.amdhsa_next_free_vgpr 1
		.amdhsa_next_free_sgpr 1
		.amdhsa_reserve_vcc 0
		.amdhsa_float_round_mode_32 0
		.amdhsa_float_round_mode_16_64 0
		.amdhsa_float_denorm_mode_32 3
		.amdhsa_float_denorm_mode_16_64 3
		.amdhsa_dx10_clamp 1
		.amdhsa_ieee_mode 1
		.amdhsa_fp16_overflow 0
		.amdhsa_workgroup_processor_mode 1
		.amdhsa_memory_ordered 1
		.amdhsa_forward_progress 0
		.amdhsa_shared_vgpr_count 0
		.amdhsa_exception_fp_ieee_invalid_op 0
		.amdhsa_exception_fp_denorm_src 0
		.amdhsa_exception_fp_ieee_div_zero 0
		.amdhsa_exception_fp_ieee_overflow 0
		.amdhsa_exception_fp_ieee_underflow 0
		.amdhsa_exception_fp_ieee_inexact 0
		.amdhsa_exception_int_div_zero 0
	.end_amdhsa_kernel
	.section	.text._ZN7rocprim17ROCPRIM_400000_NS6detail17trampoline_kernelINS0_14default_configENS1_32segmented_reduce_config_selectorIdEEZNS1_21segmented_reduce_implIS3_PKdPdPKidN6hipcub16HIPCUB_304000_NS6detail27convert_result_type_wrapperIS8_S9_N2at6native12_GLOBAL__N_19CustomMaxEEEEE10hipError_tPvRmT0_T1_jT2_SQ_T4_T3_P12ihipStream_tbEUlT_E_NS1_11comp_targetILNS1_3genE3ELNS1_11target_archE908ELNS1_3gpuE7ELNS1_3repE0EEENS1_30default_config_static_selectorELNS0_4arch9wavefront6targetE0EEEvSP_,"axG",@progbits,_ZN7rocprim17ROCPRIM_400000_NS6detail17trampoline_kernelINS0_14default_configENS1_32segmented_reduce_config_selectorIdEEZNS1_21segmented_reduce_implIS3_PKdPdPKidN6hipcub16HIPCUB_304000_NS6detail27convert_result_type_wrapperIS8_S9_N2at6native12_GLOBAL__N_19CustomMaxEEEEE10hipError_tPvRmT0_T1_jT2_SQ_T4_T3_P12ihipStream_tbEUlT_E_NS1_11comp_targetILNS1_3genE3ELNS1_11target_archE908ELNS1_3gpuE7ELNS1_3repE0EEENS1_30default_config_static_selectorELNS0_4arch9wavefront6targetE0EEEvSP_,comdat
.Lfunc_end13:
	.size	_ZN7rocprim17ROCPRIM_400000_NS6detail17trampoline_kernelINS0_14default_configENS1_32segmented_reduce_config_selectorIdEEZNS1_21segmented_reduce_implIS3_PKdPdPKidN6hipcub16HIPCUB_304000_NS6detail27convert_result_type_wrapperIS8_S9_N2at6native12_GLOBAL__N_19CustomMaxEEEEE10hipError_tPvRmT0_T1_jT2_SQ_T4_T3_P12ihipStream_tbEUlT_E_NS1_11comp_targetILNS1_3genE3ELNS1_11target_archE908ELNS1_3gpuE7ELNS1_3repE0EEENS1_30default_config_static_selectorELNS0_4arch9wavefront6targetE0EEEvSP_, .Lfunc_end13-_ZN7rocprim17ROCPRIM_400000_NS6detail17trampoline_kernelINS0_14default_configENS1_32segmented_reduce_config_selectorIdEEZNS1_21segmented_reduce_implIS3_PKdPdPKidN6hipcub16HIPCUB_304000_NS6detail27convert_result_type_wrapperIS8_S9_N2at6native12_GLOBAL__N_19CustomMaxEEEEE10hipError_tPvRmT0_T1_jT2_SQ_T4_T3_P12ihipStream_tbEUlT_E_NS1_11comp_targetILNS1_3genE3ELNS1_11target_archE908ELNS1_3gpuE7ELNS1_3repE0EEENS1_30default_config_static_selectorELNS0_4arch9wavefront6targetE0EEEvSP_
                                        ; -- End function
	.section	.AMDGPU.csdata,"",@progbits
; Kernel info:
; codeLenInByte = 0
; NumSgprs: 0
; NumVgprs: 0
; ScratchSize: 0
; MemoryBound: 0
; FloatMode: 240
; IeeeMode: 1
; LDSByteSize: 0 bytes/workgroup (compile time only)
; SGPRBlocks: 0
; VGPRBlocks: 0
; NumSGPRsForWavesPerEU: 1
; NumVGPRsForWavesPerEU: 1
; Occupancy: 16
; WaveLimiterHint : 0
; COMPUTE_PGM_RSRC2:SCRATCH_EN: 0
; COMPUTE_PGM_RSRC2:USER_SGPR: 15
; COMPUTE_PGM_RSRC2:TRAP_HANDLER: 0
; COMPUTE_PGM_RSRC2:TGID_X_EN: 1
; COMPUTE_PGM_RSRC2:TGID_Y_EN: 0
; COMPUTE_PGM_RSRC2:TGID_Z_EN: 0
; COMPUTE_PGM_RSRC2:TIDIG_COMP_CNT: 0
	.section	.text._ZN7rocprim17ROCPRIM_400000_NS6detail17trampoline_kernelINS0_14default_configENS1_32segmented_reduce_config_selectorIdEEZNS1_21segmented_reduce_implIS3_PKdPdPKidN6hipcub16HIPCUB_304000_NS6detail27convert_result_type_wrapperIS8_S9_N2at6native12_GLOBAL__N_19CustomMaxEEEEE10hipError_tPvRmT0_T1_jT2_SQ_T4_T3_P12ihipStream_tbEUlT_E_NS1_11comp_targetILNS1_3genE2ELNS1_11target_archE906ELNS1_3gpuE6ELNS1_3repE0EEENS1_30default_config_static_selectorELNS0_4arch9wavefront6targetE0EEEvSP_,"axG",@progbits,_ZN7rocprim17ROCPRIM_400000_NS6detail17trampoline_kernelINS0_14default_configENS1_32segmented_reduce_config_selectorIdEEZNS1_21segmented_reduce_implIS3_PKdPdPKidN6hipcub16HIPCUB_304000_NS6detail27convert_result_type_wrapperIS8_S9_N2at6native12_GLOBAL__N_19CustomMaxEEEEE10hipError_tPvRmT0_T1_jT2_SQ_T4_T3_P12ihipStream_tbEUlT_E_NS1_11comp_targetILNS1_3genE2ELNS1_11target_archE906ELNS1_3gpuE6ELNS1_3repE0EEENS1_30default_config_static_selectorELNS0_4arch9wavefront6targetE0EEEvSP_,comdat
	.globl	_ZN7rocprim17ROCPRIM_400000_NS6detail17trampoline_kernelINS0_14default_configENS1_32segmented_reduce_config_selectorIdEEZNS1_21segmented_reduce_implIS3_PKdPdPKidN6hipcub16HIPCUB_304000_NS6detail27convert_result_type_wrapperIS8_S9_N2at6native12_GLOBAL__N_19CustomMaxEEEEE10hipError_tPvRmT0_T1_jT2_SQ_T4_T3_P12ihipStream_tbEUlT_E_NS1_11comp_targetILNS1_3genE2ELNS1_11target_archE906ELNS1_3gpuE6ELNS1_3repE0EEENS1_30default_config_static_selectorELNS0_4arch9wavefront6targetE0EEEvSP_ ; -- Begin function _ZN7rocprim17ROCPRIM_400000_NS6detail17trampoline_kernelINS0_14default_configENS1_32segmented_reduce_config_selectorIdEEZNS1_21segmented_reduce_implIS3_PKdPdPKidN6hipcub16HIPCUB_304000_NS6detail27convert_result_type_wrapperIS8_S9_N2at6native12_GLOBAL__N_19CustomMaxEEEEE10hipError_tPvRmT0_T1_jT2_SQ_T4_T3_P12ihipStream_tbEUlT_E_NS1_11comp_targetILNS1_3genE2ELNS1_11target_archE906ELNS1_3gpuE6ELNS1_3repE0EEENS1_30default_config_static_selectorELNS0_4arch9wavefront6targetE0EEEvSP_
	.p2align	8
	.type	_ZN7rocprim17ROCPRIM_400000_NS6detail17trampoline_kernelINS0_14default_configENS1_32segmented_reduce_config_selectorIdEEZNS1_21segmented_reduce_implIS3_PKdPdPKidN6hipcub16HIPCUB_304000_NS6detail27convert_result_type_wrapperIS8_S9_N2at6native12_GLOBAL__N_19CustomMaxEEEEE10hipError_tPvRmT0_T1_jT2_SQ_T4_T3_P12ihipStream_tbEUlT_E_NS1_11comp_targetILNS1_3genE2ELNS1_11target_archE906ELNS1_3gpuE6ELNS1_3repE0EEENS1_30default_config_static_selectorELNS0_4arch9wavefront6targetE0EEEvSP_,@function
_ZN7rocprim17ROCPRIM_400000_NS6detail17trampoline_kernelINS0_14default_configENS1_32segmented_reduce_config_selectorIdEEZNS1_21segmented_reduce_implIS3_PKdPdPKidN6hipcub16HIPCUB_304000_NS6detail27convert_result_type_wrapperIS8_S9_N2at6native12_GLOBAL__N_19CustomMaxEEEEE10hipError_tPvRmT0_T1_jT2_SQ_T4_T3_P12ihipStream_tbEUlT_E_NS1_11comp_targetILNS1_3genE2ELNS1_11target_archE906ELNS1_3gpuE6ELNS1_3repE0EEENS1_30default_config_static_selectorELNS0_4arch9wavefront6targetE0EEEvSP_: ; @_ZN7rocprim17ROCPRIM_400000_NS6detail17trampoline_kernelINS0_14default_configENS1_32segmented_reduce_config_selectorIdEEZNS1_21segmented_reduce_implIS3_PKdPdPKidN6hipcub16HIPCUB_304000_NS6detail27convert_result_type_wrapperIS8_S9_N2at6native12_GLOBAL__N_19CustomMaxEEEEE10hipError_tPvRmT0_T1_jT2_SQ_T4_T3_P12ihipStream_tbEUlT_E_NS1_11comp_targetILNS1_3genE2ELNS1_11target_archE906ELNS1_3gpuE6ELNS1_3repE0EEENS1_30default_config_static_selectorELNS0_4arch9wavefront6targetE0EEEvSP_
; %bb.0:
	.section	.rodata,"a",@progbits
	.p2align	6, 0x0
	.amdhsa_kernel _ZN7rocprim17ROCPRIM_400000_NS6detail17trampoline_kernelINS0_14default_configENS1_32segmented_reduce_config_selectorIdEEZNS1_21segmented_reduce_implIS3_PKdPdPKidN6hipcub16HIPCUB_304000_NS6detail27convert_result_type_wrapperIS8_S9_N2at6native12_GLOBAL__N_19CustomMaxEEEEE10hipError_tPvRmT0_T1_jT2_SQ_T4_T3_P12ihipStream_tbEUlT_E_NS1_11comp_targetILNS1_3genE2ELNS1_11target_archE906ELNS1_3gpuE6ELNS1_3repE0EEENS1_30default_config_static_selectorELNS0_4arch9wavefront6targetE0EEEvSP_
		.amdhsa_group_segment_fixed_size 0
		.amdhsa_private_segment_fixed_size 0
		.amdhsa_kernarg_size 56
		.amdhsa_user_sgpr_count 15
		.amdhsa_user_sgpr_dispatch_ptr 0
		.amdhsa_user_sgpr_queue_ptr 0
		.amdhsa_user_sgpr_kernarg_segment_ptr 1
		.amdhsa_user_sgpr_dispatch_id 0
		.amdhsa_user_sgpr_private_segment_size 0
		.amdhsa_wavefront_size32 1
		.amdhsa_uses_dynamic_stack 0
		.amdhsa_enable_private_segment 0
		.amdhsa_system_sgpr_workgroup_id_x 1
		.amdhsa_system_sgpr_workgroup_id_y 0
		.amdhsa_system_sgpr_workgroup_id_z 0
		.amdhsa_system_sgpr_workgroup_info 0
		.amdhsa_system_vgpr_workitem_id 0
		.amdhsa_next_free_vgpr 1
		.amdhsa_next_free_sgpr 1
		.amdhsa_reserve_vcc 0
		.amdhsa_float_round_mode_32 0
		.amdhsa_float_round_mode_16_64 0
		.amdhsa_float_denorm_mode_32 3
		.amdhsa_float_denorm_mode_16_64 3
		.amdhsa_dx10_clamp 1
		.amdhsa_ieee_mode 1
		.amdhsa_fp16_overflow 0
		.amdhsa_workgroup_processor_mode 1
		.amdhsa_memory_ordered 1
		.amdhsa_forward_progress 0
		.amdhsa_shared_vgpr_count 0
		.amdhsa_exception_fp_ieee_invalid_op 0
		.amdhsa_exception_fp_denorm_src 0
		.amdhsa_exception_fp_ieee_div_zero 0
		.amdhsa_exception_fp_ieee_overflow 0
		.amdhsa_exception_fp_ieee_underflow 0
		.amdhsa_exception_fp_ieee_inexact 0
		.amdhsa_exception_int_div_zero 0
	.end_amdhsa_kernel
	.section	.text._ZN7rocprim17ROCPRIM_400000_NS6detail17trampoline_kernelINS0_14default_configENS1_32segmented_reduce_config_selectorIdEEZNS1_21segmented_reduce_implIS3_PKdPdPKidN6hipcub16HIPCUB_304000_NS6detail27convert_result_type_wrapperIS8_S9_N2at6native12_GLOBAL__N_19CustomMaxEEEEE10hipError_tPvRmT0_T1_jT2_SQ_T4_T3_P12ihipStream_tbEUlT_E_NS1_11comp_targetILNS1_3genE2ELNS1_11target_archE906ELNS1_3gpuE6ELNS1_3repE0EEENS1_30default_config_static_selectorELNS0_4arch9wavefront6targetE0EEEvSP_,"axG",@progbits,_ZN7rocprim17ROCPRIM_400000_NS6detail17trampoline_kernelINS0_14default_configENS1_32segmented_reduce_config_selectorIdEEZNS1_21segmented_reduce_implIS3_PKdPdPKidN6hipcub16HIPCUB_304000_NS6detail27convert_result_type_wrapperIS8_S9_N2at6native12_GLOBAL__N_19CustomMaxEEEEE10hipError_tPvRmT0_T1_jT2_SQ_T4_T3_P12ihipStream_tbEUlT_E_NS1_11comp_targetILNS1_3genE2ELNS1_11target_archE906ELNS1_3gpuE6ELNS1_3repE0EEENS1_30default_config_static_selectorELNS0_4arch9wavefront6targetE0EEEvSP_,comdat
.Lfunc_end14:
	.size	_ZN7rocprim17ROCPRIM_400000_NS6detail17trampoline_kernelINS0_14default_configENS1_32segmented_reduce_config_selectorIdEEZNS1_21segmented_reduce_implIS3_PKdPdPKidN6hipcub16HIPCUB_304000_NS6detail27convert_result_type_wrapperIS8_S9_N2at6native12_GLOBAL__N_19CustomMaxEEEEE10hipError_tPvRmT0_T1_jT2_SQ_T4_T3_P12ihipStream_tbEUlT_E_NS1_11comp_targetILNS1_3genE2ELNS1_11target_archE906ELNS1_3gpuE6ELNS1_3repE0EEENS1_30default_config_static_selectorELNS0_4arch9wavefront6targetE0EEEvSP_, .Lfunc_end14-_ZN7rocprim17ROCPRIM_400000_NS6detail17trampoline_kernelINS0_14default_configENS1_32segmented_reduce_config_selectorIdEEZNS1_21segmented_reduce_implIS3_PKdPdPKidN6hipcub16HIPCUB_304000_NS6detail27convert_result_type_wrapperIS8_S9_N2at6native12_GLOBAL__N_19CustomMaxEEEEE10hipError_tPvRmT0_T1_jT2_SQ_T4_T3_P12ihipStream_tbEUlT_E_NS1_11comp_targetILNS1_3genE2ELNS1_11target_archE906ELNS1_3gpuE6ELNS1_3repE0EEENS1_30default_config_static_selectorELNS0_4arch9wavefront6targetE0EEEvSP_
                                        ; -- End function
	.section	.AMDGPU.csdata,"",@progbits
; Kernel info:
; codeLenInByte = 0
; NumSgprs: 0
; NumVgprs: 0
; ScratchSize: 0
; MemoryBound: 0
; FloatMode: 240
; IeeeMode: 1
; LDSByteSize: 0 bytes/workgroup (compile time only)
; SGPRBlocks: 0
; VGPRBlocks: 0
; NumSGPRsForWavesPerEU: 1
; NumVGPRsForWavesPerEU: 1
; Occupancy: 16
; WaveLimiterHint : 0
; COMPUTE_PGM_RSRC2:SCRATCH_EN: 0
; COMPUTE_PGM_RSRC2:USER_SGPR: 15
; COMPUTE_PGM_RSRC2:TRAP_HANDLER: 0
; COMPUTE_PGM_RSRC2:TGID_X_EN: 1
; COMPUTE_PGM_RSRC2:TGID_Y_EN: 0
; COMPUTE_PGM_RSRC2:TGID_Z_EN: 0
; COMPUTE_PGM_RSRC2:TIDIG_COMP_CNT: 0
	.section	.text._ZN7rocprim17ROCPRIM_400000_NS6detail17trampoline_kernelINS0_14default_configENS1_32segmented_reduce_config_selectorIdEEZNS1_21segmented_reduce_implIS3_PKdPdPKidN6hipcub16HIPCUB_304000_NS6detail27convert_result_type_wrapperIS8_S9_N2at6native12_GLOBAL__N_19CustomMaxEEEEE10hipError_tPvRmT0_T1_jT2_SQ_T4_T3_P12ihipStream_tbEUlT_E_NS1_11comp_targetILNS1_3genE9ELNS1_11target_archE1100ELNS1_3gpuE3ELNS1_3repE0EEENS1_30default_config_static_selectorELNS0_4arch9wavefront6targetE0EEEvSP_,"axG",@progbits,_ZN7rocprim17ROCPRIM_400000_NS6detail17trampoline_kernelINS0_14default_configENS1_32segmented_reduce_config_selectorIdEEZNS1_21segmented_reduce_implIS3_PKdPdPKidN6hipcub16HIPCUB_304000_NS6detail27convert_result_type_wrapperIS8_S9_N2at6native12_GLOBAL__N_19CustomMaxEEEEE10hipError_tPvRmT0_T1_jT2_SQ_T4_T3_P12ihipStream_tbEUlT_E_NS1_11comp_targetILNS1_3genE9ELNS1_11target_archE1100ELNS1_3gpuE3ELNS1_3repE0EEENS1_30default_config_static_selectorELNS0_4arch9wavefront6targetE0EEEvSP_,comdat
	.globl	_ZN7rocprim17ROCPRIM_400000_NS6detail17trampoline_kernelINS0_14default_configENS1_32segmented_reduce_config_selectorIdEEZNS1_21segmented_reduce_implIS3_PKdPdPKidN6hipcub16HIPCUB_304000_NS6detail27convert_result_type_wrapperIS8_S9_N2at6native12_GLOBAL__N_19CustomMaxEEEEE10hipError_tPvRmT0_T1_jT2_SQ_T4_T3_P12ihipStream_tbEUlT_E_NS1_11comp_targetILNS1_3genE9ELNS1_11target_archE1100ELNS1_3gpuE3ELNS1_3repE0EEENS1_30default_config_static_selectorELNS0_4arch9wavefront6targetE0EEEvSP_ ; -- Begin function _ZN7rocprim17ROCPRIM_400000_NS6detail17trampoline_kernelINS0_14default_configENS1_32segmented_reduce_config_selectorIdEEZNS1_21segmented_reduce_implIS3_PKdPdPKidN6hipcub16HIPCUB_304000_NS6detail27convert_result_type_wrapperIS8_S9_N2at6native12_GLOBAL__N_19CustomMaxEEEEE10hipError_tPvRmT0_T1_jT2_SQ_T4_T3_P12ihipStream_tbEUlT_E_NS1_11comp_targetILNS1_3genE9ELNS1_11target_archE1100ELNS1_3gpuE3ELNS1_3repE0EEENS1_30default_config_static_selectorELNS0_4arch9wavefront6targetE0EEEvSP_
	.p2align	8
	.type	_ZN7rocprim17ROCPRIM_400000_NS6detail17trampoline_kernelINS0_14default_configENS1_32segmented_reduce_config_selectorIdEEZNS1_21segmented_reduce_implIS3_PKdPdPKidN6hipcub16HIPCUB_304000_NS6detail27convert_result_type_wrapperIS8_S9_N2at6native12_GLOBAL__N_19CustomMaxEEEEE10hipError_tPvRmT0_T1_jT2_SQ_T4_T3_P12ihipStream_tbEUlT_E_NS1_11comp_targetILNS1_3genE9ELNS1_11target_archE1100ELNS1_3gpuE3ELNS1_3repE0EEENS1_30default_config_static_selectorELNS0_4arch9wavefront6targetE0EEEvSP_,@function
_ZN7rocprim17ROCPRIM_400000_NS6detail17trampoline_kernelINS0_14default_configENS1_32segmented_reduce_config_selectorIdEEZNS1_21segmented_reduce_implIS3_PKdPdPKidN6hipcub16HIPCUB_304000_NS6detail27convert_result_type_wrapperIS8_S9_N2at6native12_GLOBAL__N_19CustomMaxEEEEE10hipError_tPvRmT0_T1_jT2_SQ_T4_T3_P12ihipStream_tbEUlT_E_NS1_11comp_targetILNS1_3genE9ELNS1_11target_archE1100ELNS1_3gpuE3ELNS1_3repE0EEENS1_30default_config_static_selectorELNS0_4arch9wavefront6targetE0EEEvSP_: ; @_ZN7rocprim17ROCPRIM_400000_NS6detail17trampoline_kernelINS0_14default_configENS1_32segmented_reduce_config_selectorIdEEZNS1_21segmented_reduce_implIS3_PKdPdPKidN6hipcub16HIPCUB_304000_NS6detail27convert_result_type_wrapperIS8_S9_N2at6native12_GLOBAL__N_19CustomMaxEEEEE10hipError_tPvRmT0_T1_jT2_SQ_T4_T3_P12ihipStream_tbEUlT_E_NS1_11comp_targetILNS1_3genE9ELNS1_11target_archE1100ELNS1_3gpuE3ELNS1_3repE0EEENS1_30default_config_static_selectorELNS0_4arch9wavefront6targetE0EEEvSP_
; %bb.0:
	s_mov_b32 s2, s15
	s_clause 0x1
	s_load_b256 s[4:11], s[0:1], 0x0
	s_load_b64 s[14:15], s[0:1], 0x20
	s_mov_b32 s3, 0
	s_load_b64 s[12:13], s[0:1], 0x30
	v_cmp_eq_u32_e32 vcc_lo, 0, v0
	s_waitcnt lgkmcnt(0)
	s_lshl_b64 s[16:17], s[8:9], 2
	s_delay_alu instid0(SALU_CYCLE_1) | instskip(SKIP_4) | instid1(SALU_CYCLE_1)
	s_add_u32 s10, s10, s16
	s_addc_u32 s11, s11, s17
	s_add_u32 s14, s14, s16
	s_addc_u32 s15, s15, s17
	s_lshl_b64 s[0:1], s[2:3], 2
	s_add_u32 s10, s10, s0
	s_addc_u32 s11, s11, s1
	s_add_u32 s0, s14, s0
	s_addc_u32 s1, s15, s1
	s_load_b32 s10, s[10:11], 0x0
	s_load_b32 s15, s[0:1], 0x0
	s_waitcnt lgkmcnt(0)
	s_cmp_gt_i32 s15, s10
	s_cbranch_scc1 .LBB15_3
; %bb.1:
	s_and_b32 s14, vcc_lo, exec_lo
	s_cbranch_execz .LBB15_4
; %bb.2:
	v_dual_mov_b32 v3, s12 :: v_dual_mov_b32 v4, s13
	s_and_saveexec_b32 s0, s14
	s_cbranch_execnz .LBB15_371
	s_branch .LBB15_372
.LBB15_3:
	s_mov_b32 s14, s3
.LBB15_4:
	s_add_i32 s0, s10, 0x1000
	s_delay_alu instid0(SALU_CYCLE_1)
	s_cmp_le_i32 s0, s15
	s_cbranch_scc0 .LBB15_132
; %bb.5:
	s_ashr_i32 s11, s10, 31
	v_lshlrev_b32_e32 v37, 3, v0
	s_lshl_b64 s[16:17], s[10:11], 3
	s_delay_alu instid0(SALU_CYCLE_1) | instskip(SKIP_1) | instid1(VALU_DEP_1)
	s_add_u32 s16, s4, s16
	s_addc_u32 s17, s5, s17
	v_add_co_u32 v13, s1, s16, v37
	s_delay_alu instid0(VALU_DEP_1) | instskip(SKIP_1) | instid1(VALU_DEP_2)
	v_add_co_ci_u32_e64 v14, null, s17, 0, s1
	s_mov_b32 s1, exec_lo
	v_add_co_u32 v1, vcc_lo, 0x1000, v13
	s_delay_alu instid0(VALU_DEP_2)
	v_add_co_ci_u32_e32 v2, vcc_lo, 0, v14, vcc_lo
	v_add_co_u32 v17, vcc_lo, v13, 0x2000
	v_add_co_ci_u32_e32 v18, vcc_lo, 0, v14, vcc_lo
	v_add_co_u32 v3, vcc_lo, 0x2000, v13
	v_add_co_ci_u32_e32 v4, vcc_lo, 0, v14, vcc_lo
	s_clause 0x4
	global_load_b64 v[25:26], v[17:18], off
	global_load_b64 v[31:32], v37, s[16:17]
	global_load_b64 v[29:30], v37, s[16:17] offset:2048
	global_load_b64 v[27:28], v[1:2], off offset:2048
	global_load_b64 v[19:20], v[3:4], off offset:2048
	v_add_co_u32 v1, vcc_lo, 0x3000, v13
	v_add_co_ci_u32_e32 v2, vcc_lo, 0, v14, vcc_lo
	v_add_co_u32 v3, vcc_lo, v13, 0x4000
	v_add_co_ci_u32_e32 v4, vcc_lo, 0, v14, vcc_lo
	;; [unrolled: 2-line block ×7, first 2 shown]
	s_clause 0xa
	global_load_b64 v[23:24], v[3:4], off offset:-4096
	global_load_b64 v[15:16], v[3:4], off
	global_load_b64 v[11:12], v[7:8], off offset:-4096
	global_load_b64 v[7:8], v[7:8], off
	global_load_b64 v[21:22], v[1:2], off offset:2048
	global_load_b64 v[13:14], v[5:6], off offset:2048
	;; [unrolled: 1-line block ×4, first 2 shown]
	global_load_b64 v[3:4], v[35:36], off
	global_load_b64 v[33:34], v[17:18], off offset:-4096
	global_load_b64 v[1:2], v[35:36], off offset:2048
	s_waitcnt vmcnt(14)
	v_dual_mov_b32 v17, v31 :: v_dual_mov_b32 v18, v32
	v_cmpx_o_f64_e32 v[31:32], v[31:32]
	s_cbranch_execz .LBB15_9
; %bb.6:
	s_waitcnt vmcnt(13)
	v_dual_mov_b32 v17, v29 :: v_dual_mov_b32 v18, v30
	s_mov_b32 s11, exec_lo
	v_cmpx_o_f64_e32 v[29:30], v[29:30]
; %bb.7:
	v_cmp_lt_f64_e32 vcc_lo, v[31:32], v[29:30]
	v_dual_cndmask_b32 v18, v32, v30 :: v_dual_cndmask_b32 v17, v31, v29
; %bb.8:
	s_or_b32 exec_lo, exec_lo, s11
.LBB15_9:
	s_delay_alu instid0(SALU_CYCLE_1) | instskip(NEXT) | instid1(SALU_CYCLE_1)
	s_or_b32 exec_lo, exec_lo, s1
	s_mov_b32 s1, exec_lo
	s_delay_alu instid0(VALU_DEP_1)
	v_cmpx_o_f64_e32 v[17:18], v[17:18]
	s_cbranch_execz .LBB15_13
; %bb.10:
	s_waitcnt vmcnt(1)
	v_dual_mov_b32 v36, v34 :: v_dual_mov_b32 v35, v33
	s_mov_b32 s11, exec_lo
	v_cmpx_o_f64_e32 v[33:34], v[33:34]
; %bb.11:
	v_cmp_lt_f64_e32 vcc_lo, v[17:18], v[33:34]
	v_dual_cndmask_b32 v36, v18, v34 :: v_dual_cndmask_b32 v35, v17, v33
; %bb.12:
	s_or_b32 exec_lo, exec_lo, s11
	s_delay_alu instid0(VALU_DEP_1)
	v_dual_mov_b32 v17, v35 :: v_dual_mov_b32 v18, v36
.LBB15_13:
	s_or_b32 exec_lo, exec_lo, s1
	s_delay_alu instid0(SALU_CYCLE_1) | instskip(NEXT) | instid1(VALU_DEP_1)
	s_mov_b32 s1, exec_lo
	v_cmpx_o_f64_e32 v[17:18], v[17:18]
	s_cbranch_execz .LBB15_17
; %bb.14:
	s_waitcnt vmcnt(12)
	v_dual_mov_b32 v36, v28 :: v_dual_mov_b32 v35, v27
	s_mov_b32 s11, exec_lo
	v_cmpx_o_f64_e32 v[27:28], v[27:28]
; %bb.15:
	v_cmp_lt_f64_e32 vcc_lo, v[17:18], v[27:28]
	v_dual_cndmask_b32 v36, v18, v28 :: v_dual_cndmask_b32 v35, v17, v27
; %bb.16:
	s_or_b32 exec_lo, exec_lo, s11
	s_delay_alu instid0(VALU_DEP_1)
	v_dual_mov_b32 v17, v35 :: v_dual_mov_b32 v18, v36
.LBB15_17:
	s_or_b32 exec_lo, exec_lo, s1
	s_delay_alu instid0(SALU_CYCLE_1) | instskip(NEXT) | instid1(VALU_DEP_1)
	s_mov_b32 s1, exec_lo
	v_cmpx_o_f64_e32 v[17:18], v[17:18]
	s_cbranch_execz .LBB15_21
; %bb.18:
	v_dual_mov_b32 v36, v26 :: v_dual_mov_b32 v35, v25
	s_mov_b32 s11, exec_lo
	v_cmpx_o_f64_e32 v[25:26], v[25:26]
; %bb.19:
	v_cmp_lt_f64_e32 vcc_lo, v[17:18], v[25:26]
	v_dual_cndmask_b32 v36, v18, v26 :: v_dual_cndmask_b32 v35, v17, v25
; %bb.20:
	s_or_b32 exec_lo, exec_lo, s11
	s_delay_alu instid0(VALU_DEP_1)
	v_dual_mov_b32 v17, v35 :: v_dual_mov_b32 v18, v36
.LBB15_21:
	s_or_b32 exec_lo, exec_lo, s1
	s_delay_alu instid0(SALU_CYCLE_1) | instskip(NEXT) | instid1(VALU_DEP_1)
	s_mov_b32 s1, exec_lo
	v_cmpx_o_f64_e32 v[17:18], v[17:18]
	s_cbranch_execz .LBB15_25
; %bb.22:
	s_waitcnt vmcnt(11)
	v_dual_mov_b32 v36, v20 :: v_dual_mov_b32 v35, v19
	s_mov_b32 s11, exec_lo
	v_cmpx_o_f64_e32 v[19:20], v[19:20]
; %bb.23:
	v_cmp_lt_f64_e32 vcc_lo, v[17:18], v[19:20]
	v_dual_cndmask_b32 v36, v18, v20 :: v_dual_cndmask_b32 v35, v17, v19
; %bb.24:
	s_or_b32 exec_lo, exec_lo, s11
	s_delay_alu instid0(VALU_DEP_1)
	v_dual_mov_b32 v17, v35 :: v_dual_mov_b32 v18, v36
.LBB15_25:
	s_or_b32 exec_lo, exec_lo, s1
	s_delay_alu instid0(SALU_CYCLE_1) | instskip(NEXT) | instid1(VALU_DEP_1)
	s_mov_b32 s1, exec_lo
	v_cmpx_o_f64_e32 v[17:18], v[17:18]
	s_cbranch_execz .LBB15_29
; %bb.26:
	s_waitcnt vmcnt(10)
	v_dual_mov_b32 v36, v24 :: v_dual_mov_b32 v35, v23
	s_mov_b32 s11, exec_lo
	v_cmpx_o_f64_e32 v[23:24], v[23:24]
; %bb.27:
	v_cmp_lt_f64_e32 vcc_lo, v[17:18], v[23:24]
	v_dual_cndmask_b32 v36, v18, v24 :: v_dual_cndmask_b32 v35, v17, v23
; %bb.28:
	s_or_b32 exec_lo, exec_lo, s11
	s_delay_alu instid0(VALU_DEP_1)
	v_dual_mov_b32 v17, v35 :: v_dual_mov_b32 v18, v36
.LBB15_29:
	;; [unrolled: 18-line block ×11, first 2 shown]
	s_or_b32 exec_lo, exec_lo, s1
	s_add_i32 s1, s10, 0x2000
	s_delay_alu instid0(SALU_CYCLE_1)
	s_cmp_ge_i32 s1, s15
	s_cbranch_scc1 .LBB15_133
; %bb.66:
	v_add_co_u32 v38, s1, s4, v37
	s_delay_alu instid0(VALU_DEP_1)
	v_add_co_ci_u32_e64 v39, null, s5, 0, s1
	s_branch .LBB15_69
.LBB15_67:                              ;   in Loop: Header=BB15_69 Depth=1
	s_or_b32 exec_lo, exec_lo, s11
	s_delay_alu instid0(VALU_DEP_1)
	v_dual_mov_b32 v17, v35 :: v_dual_mov_b32 v18, v36
.LBB15_68:                              ;   in Loop: Header=BB15_69 Depth=1
	s_or_b32 exec_lo, exec_lo, s1
	s_add_i32 s1, s0, 0x2000
	s_addk_i32 s0, 0x1000
	s_cmp_lt_i32 s1, s15
	s_cbranch_scc0 .LBB15_133
.LBB15_69:                              ; =>This Inner Loop Header: Depth=1
	s_ashr_i32 s1, s0, 31
	s_delay_alu instid0(SALU_CYCLE_1) | instskip(SKIP_4) | instid1(VALU_DEP_2)
	s_lshl_b64 s[16:17], s[0:1], 3
	s_mov_b32 s1, exec_lo
	s_waitcnt vmcnt(0)
	v_add_co_u32 v1, vcc_lo, v38, s16
	v_add_co_ci_u32_e32 v2, vcc_lo, s17, v39, vcc_lo
	v_add_co_u32 v3, vcc_lo, 0x1000, v1
	s_delay_alu instid0(VALU_DEP_2)
	v_add_co_ci_u32_e32 v4, vcc_lo, 0, v2, vcc_lo
	v_add_co_u32 v33, vcc_lo, v1, 0x2000
	v_add_co_ci_u32_e32 v34, vcc_lo, 0, v2, vcc_lo
	v_add_co_u32 v5, vcc_lo, 0x2000, v1
	v_add_co_ci_u32_e32 v6, vcc_lo, 0, v2, vcc_lo
	s_clause 0x4
	global_load_b64 v[25:26], v[33:34], off
	global_load_b64 v[31:32], v[1:2], off
	global_load_b64 v[29:30], v[1:2], off offset:2048
	global_load_b64 v[27:28], v[3:4], off offset:2048
	;; [unrolled: 1-line block ×3, first 2 shown]
	v_add_co_u32 v3, vcc_lo, 0x3000, v1
	v_add_co_ci_u32_e32 v4, vcc_lo, 0, v2, vcc_lo
	v_add_co_u32 v5, vcc_lo, v1, 0x4000
	v_add_co_ci_u32_e32 v6, vcc_lo, 0, v2, vcc_lo
	;; [unrolled: 2-line block ×7, first 2 shown]
	s_clause 0xa
	global_load_b64 v[23:24], v[5:6], off offset:-4096
	global_load_b64 v[15:16], v[5:6], off
	global_load_b64 v[11:12], v[7:8], off offset:-4096
	global_load_b64 v[7:8], v[7:8], off
	global_load_b64 v[21:22], v[3:4], off offset:2048
	global_load_b64 v[13:14], v[9:10], off offset:2048
	;; [unrolled: 1-line block ×4, first 2 shown]
	global_load_b64 v[3:4], v[1:2], off
	global_load_b64 v[33:34], v[33:34], off offset:-4096
	global_load_b64 v[1:2], v[1:2], off offset:2048
	v_cmpx_o_f64_e32 v[17:18], v[17:18]
	s_cbranch_execz .LBB15_73
; %bb.70:                               ;   in Loop: Header=BB15_69 Depth=1
	s_waitcnt vmcnt(14)
	v_dual_mov_b32 v36, v32 :: v_dual_mov_b32 v35, v31
	s_mov_b32 s11, exec_lo
	v_cmpx_o_f64_e32 v[31:32], v[31:32]
; %bb.71:                               ;   in Loop: Header=BB15_69 Depth=1
	v_cmp_lt_f64_e32 vcc_lo, v[17:18], v[31:32]
	v_dual_cndmask_b32 v36, v18, v32 :: v_dual_cndmask_b32 v35, v17, v31
; %bb.72:                               ;   in Loop: Header=BB15_69 Depth=1
	s_or_b32 exec_lo, exec_lo, s11
	s_delay_alu instid0(VALU_DEP_1)
	v_dual_mov_b32 v17, v35 :: v_dual_mov_b32 v18, v36
.LBB15_73:                              ;   in Loop: Header=BB15_69 Depth=1
	s_or_b32 exec_lo, exec_lo, s1
	s_delay_alu instid0(SALU_CYCLE_1) | instskip(NEXT) | instid1(VALU_DEP_1)
	s_mov_b32 s1, exec_lo
	v_cmpx_o_f64_e32 v[17:18], v[17:18]
	s_cbranch_execz .LBB15_77
; %bb.74:                               ;   in Loop: Header=BB15_69 Depth=1
	s_waitcnt vmcnt(13)
	v_dual_mov_b32 v36, v30 :: v_dual_mov_b32 v35, v29
	s_mov_b32 s11, exec_lo
	v_cmpx_o_f64_e32 v[29:30], v[29:30]
; %bb.75:                               ;   in Loop: Header=BB15_69 Depth=1
	v_cmp_lt_f64_e32 vcc_lo, v[17:18], v[29:30]
	v_dual_cndmask_b32 v36, v18, v30 :: v_dual_cndmask_b32 v35, v17, v29
; %bb.76:                               ;   in Loop: Header=BB15_69 Depth=1
	s_or_b32 exec_lo, exec_lo, s11
	s_delay_alu instid0(VALU_DEP_1)
	v_dual_mov_b32 v17, v35 :: v_dual_mov_b32 v18, v36
.LBB15_77:                              ;   in Loop: Header=BB15_69 Depth=1
	s_or_b32 exec_lo, exec_lo, s1
	s_delay_alu instid0(SALU_CYCLE_1) | instskip(NEXT) | instid1(VALU_DEP_1)
	s_mov_b32 s1, exec_lo
	;; [unrolled: 18-line block ×7, first 2 shown]
	v_cmpx_o_f64_e32 v[17:18], v[17:18]
	s_cbranch_execz .LBB15_101
; %bb.98:                               ;   in Loop: Header=BB15_69 Depth=1
	s_waitcnt vmcnt(6)
	v_dual_mov_b32 v36, v22 :: v_dual_mov_b32 v35, v21
	s_mov_b32 s11, exec_lo
	v_cmpx_o_f64_e32 v[21:22], v[21:22]
; %bb.99:                               ;   in Loop: Header=BB15_69 Depth=1
	v_cmp_lt_f64_e32 vcc_lo, v[17:18], v[21:22]
	v_dual_cndmask_b32 v36, v18, v22 :: v_dual_cndmask_b32 v35, v17, v21
; %bb.100:                              ;   in Loop: Header=BB15_69 Depth=1
	s_or_b32 exec_lo, exec_lo, s11
	s_delay_alu instid0(VALU_DEP_1)
	v_dual_mov_b32 v17, v35 :: v_dual_mov_b32 v18, v36
.LBB15_101:                             ;   in Loop: Header=BB15_69 Depth=1
	s_or_b32 exec_lo, exec_lo, s1
	s_delay_alu instid0(SALU_CYCLE_1) | instskip(NEXT) | instid1(VALU_DEP_1)
	s_mov_b32 s1, exec_lo
	v_cmpx_o_f64_e32 v[17:18], v[17:18]
	s_cbranch_execz .LBB15_105
; %bb.102:                              ;   in Loop: Header=BB15_69 Depth=1
	s_waitcnt vmcnt(9)
	v_dual_mov_b32 v36, v16 :: v_dual_mov_b32 v35, v15
	s_mov_b32 s11, exec_lo
	v_cmpx_o_f64_e32 v[15:16], v[15:16]
; %bb.103:                              ;   in Loop: Header=BB15_69 Depth=1
	v_cmp_lt_f64_e32 vcc_lo, v[17:18], v[15:16]
	v_dual_cndmask_b32 v36, v18, v16 :: v_dual_cndmask_b32 v35, v17, v15
; %bb.104:                              ;   in Loop: Header=BB15_69 Depth=1
	s_or_b32 exec_lo, exec_lo, s11
	s_delay_alu instid0(VALU_DEP_1)
	v_dual_mov_b32 v17, v35 :: v_dual_mov_b32 v18, v36
.LBB15_105:                             ;   in Loop: Header=BB15_69 Depth=1
	s_or_b32 exec_lo, exec_lo, s1
	s_delay_alu instid0(SALU_CYCLE_1) | instskip(NEXT) | instid1(VALU_DEP_1)
	s_mov_b32 s1, exec_lo
	v_cmpx_o_f64_e32 v[17:18], v[17:18]
	s_cbranch_execz .LBB15_109
; %bb.106:                              ;   in Loop: Header=BB15_69 Depth=1
	s_waitcnt vmcnt(5)
	v_dual_mov_b32 v36, v14 :: v_dual_mov_b32 v35, v13
	s_mov_b32 s11, exec_lo
	v_cmpx_o_f64_e32 v[13:14], v[13:14]
; %bb.107:                              ;   in Loop: Header=BB15_69 Depth=1
	v_cmp_lt_f64_e32 vcc_lo, v[17:18], v[13:14]
	v_dual_cndmask_b32 v36, v18, v14 :: v_dual_cndmask_b32 v35, v17, v13
; %bb.108:                              ;   in Loop: Header=BB15_69 Depth=1
	s_or_b32 exec_lo, exec_lo, s11
	s_delay_alu instid0(VALU_DEP_1)
	v_dual_mov_b32 v17, v35 :: v_dual_mov_b32 v18, v36
.LBB15_109:                             ;   in Loop: Header=BB15_69 Depth=1
	;; [unrolled: 18-line block ×7, first 2 shown]
	s_or_b32 exec_lo, exec_lo, s1
	s_delay_alu instid0(SALU_CYCLE_1) | instskip(NEXT) | instid1(VALU_DEP_1)
	s_mov_b32 s1, exec_lo
	v_cmpx_o_f64_e32 v[17:18], v[17:18]
	s_cbranch_execz .LBB15_68
; %bb.130:                              ;   in Loop: Header=BB15_69 Depth=1
	s_waitcnt vmcnt(0)
	v_dual_mov_b32 v36, v2 :: v_dual_mov_b32 v35, v1
	s_mov_b32 s11, exec_lo
	v_cmpx_o_f64_e32 v[1:2], v[1:2]
	s_cbranch_execz .LBB15_67
; %bb.131:                              ;   in Loop: Header=BB15_69 Depth=1
	v_cmp_lt_f64_e32 vcc_lo, v[17:18], v[1:2]
	v_dual_cndmask_b32 v36, v18, v2 :: v_dual_cndmask_b32 v35, v17, v1
	s_branch .LBB15_67
.LBB15_132:
                                        ; implicit-def: $vgpr1_vgpr2
	s_cbranch_execnz .LBB15_266
	s_branch .LBB15_364
.LBB15_133:
	s_ashr_i32 s1, s0, 31
	s_sub_i32 s11, s15, s0
	s_lshl_b64 s[0:1], s[0:1], 3
	s_mov_b32 s16, exec_lo
	s_add_u32 s0, s4, s0
	s_addc_u32 s1, s5, s1
	v_cmpx_gt_u32_e64 s11, v0
	s_cbranch_execz .LBB15_135
; %bb.134:
	global_load_b64 v[31:32], v37, s[0:1]
.LBB15_135:
	s_or_b32 exec_lo, exec_lo, s16
	v_or_b32_e32 v49, 0x100, v0
	s_mov_b32 s16, exec_lo
	s_delay_alu instid0(VALU_DEP_1)
	v_cmpx_gt_u32_e64 s11, v49
	s_cbranch_execz .LBB15_137
; %bb.136:
	global_load_b64 v[29:30], v37, s[0:1] offset:2048
.LBB15_137:
	s_or_b32 exec_lo, exec_lo, s16
	v_or_b32_e32 v48, 0x200, v0
	s_mov_b32 s16, exec_lo
	s_delay_alu instid0(VALU_DEP_1)
	v_cmpx_gt_u32_e64 s11, v48
	s_cbranch_execz .LBB15_139
; %bb.138:
	s_waitcnt vmcnt(1)
	v_lshlrev_b32_e32 v33, 3, v48
	global_load_b64 v[33:34], v33, s[0:1]
.LBB15_139:
	s_or_b32 exec_lo, exec_lo, s16
	v_or_b32_e32 v47, 0x300, v0
	s_mov_b32 s16, exec_lo
	s_delay_alu instid0(VALU_DEP_1)
	v_cmpx_gt_u32_e64 s11, v47
	s_cbranch_execz .LBB15_141
; %bb.140:
	s_waitcnt vmcnt(12)
	v_lshlrev_b32_e32 v27, 3, v47
	global_load_b64 v[27:28], v27, s[0:1]
.LBB15_141:
	;; [unrolled: 11-line block ×14, first 2 shown]
	s_or_b32 exec_lo, exec_lo, s16
	v_cmp_o_f64_e32 vcc_lo, v[17:18], v[17:18]
	v_cmp_gt_u32_e64 s0, s11, v0
	s_delay_alu instid0(VALU_DEP_1) | instskip(NEXT) | instid1(SALU_CYCLE_1)
	s_and_b32 s1, s0, vcc_lo
	s_and_saveexec_b32 s0, s1
	s_cbranch_execz .LBB15_169
; %bb.166:
	s_mov_b32 s1, exec_lo
	s_waitcnt vmcnt(0)
	v_cmpx_o_f64_e32 v[31:32], v[31:32]
; %bb.167:
	v_cmp_lt_f64_e32 vcc_lo, v[17:18], v[31:32]
	v_dual_cndmask_b32 v32, v18, v32 :: v_dual_cndmask_b32 v31, v17, v31
; %bb.168:
	s_or_b32 exec_lo, exec_lo, s1
	s_delay_alu instid0(VALU_DEP_1)
	v_dual_mov_b32 v17, v31 :: v_dual_mov_b32 v18, v32
.LBB15_169:
	s_or_b32 exec_lo, exec_lo, s0
	s_delay_alu instid0(VALU_DEP_1) | instskip(SKIP_1) | instid1(VALU_DEP_1)
	v_cmp_o_f64_e32 vcc_lo, v[17:18], v[17:18]
	v_cmp_gt_u32_e64 s0, s11, v49
	s_and_b32 s1, s0, vcc_lo
	s_delay_alu instid0(SALU_CYCLE_1)
	s_and_saveexec_b32 s0, s1
	s_cbranch_execz .LBB15_173
; %bb.170:
	s_mov_b32 s1, exec_lo
	s_waitcnt vmcnt(0)
	v_cmpx_o_f64_e32 v[29:30], v[29:30]
; %bb.171:
	v_cmp_lt_f64_e32 vcc_lo, v[17:18], v[29:30]
	v_dual_cndmask_b32 v30, v18, v30 :: v_dual_cndmask_b32 v29, v17, v29
; %bb.172:
	s_or_b32 exec_lo, exec_lo, s1
	s_delay_alu instid0(VALU_DEP_1)
	v_dual_mov_b32 v17, v29 :: v_dual_mov_b32 v18, v30
.LBB15_173:
	s_or_b32 exec_lo, exec_lo, s0
	s_delay_alu instid0(VALU_DEP_1) | instskip(SKIP_1) | instid1(VALU_DEP_1)
	v_cmp_o_f64_e32 vcc_lo, v[17:18], v[17:18]
	v_cmp_gt_u32_e64 s0, s11, v48
	s_and_b32 s1, s0, vcc_lo
	s_delay_alu instid0(SALU_CYCLE_1)
	;; [unrolled: 20-line block ×15, first 2 shown]
	s_and_saveexec_b32 s0, s1
	s_cbranch_execz .LBB15_229
; %bb.226:
	s_mov_b32 s1, exec_lo
	s_waitcnt vmcnt(0)
	v_cmpx_o_f64_e32 v[1:2], v[1:2]
; %bb.227:
	v_cmp_lt_f64_e32 vcc_lo, v[17:18], v[1:2]
	v_dual_cndmask_b32 v2, v18, v2 :: v_dual_cndmask_b32 v1, v17, v1
; %bb.228:
	s_or_b32 exec_lo, exec_lo, s1
	s_delay_alu instid0(VALU_DEP_1)
	v_dual_mov_b32 v18, v2 :: v_dual_mov_b32 v17, v1
.LBB15_229:
	s_or_b32 exec_lo, exec_lo, s0
	s_waitcnt vmcnt(0)
	s_delay_alu instid0(VALU_DEP_1) | instskip(NEXT) | instid1(VALU_DEP_2)
	v_mov_b32_dpp v1, v17 quad_perm:[1,0,3,2] row_mask:0xf bank_mask:0xf
	v_mov_b32_dpp v2, v18 quad_perm:[1,0,3,2] row_mask:0xf bank_mask:0xf
	s_mov_b32 s0, exec_lo
	s_delay_alu instid0(VALU_DEP_1)
	v_cmpx_o_f64_e32 v[1:2], v[1:2]
	s_xor_b32 s0, exec_lo, s0
	s_cbranch_execz .LBB15_233
; %bb.230:
	s_mov_b32 s1, exec_lo
	v_cmpx_o_f64_e32 v[17:18], v[17:18]
; %bb.231:
	v_cmp_gt_f64_e32 vcc_lo, v[17:18], v[1:2]
	v_dual_cndmask_b32 v18, v2, v18 :: v_dual_cndmask_b32 v17, v1, v17
; %bb.232:
	s_or_b32 exec_lo, exec_lo, s1
	s_delay_alu instid0(VALU_DEP_1)
	v_dual_mov_b32 v1, v17 :: v_dual_mov_b32 v2, v18
.LBB15_233:
	s_or_b32 exec_lo, exec_lo, s0
	s_delay_alu instid0(VALU_DEP_1) | instskip(NEXT) | instid1(VALU_DEP_2)
	v_mov_b32_dpp v3, v1 quad_perm:[2,3,0,1] row_mask:0xf bank_mask:0xf
	v_mov_b32_dpp v4, v2 quad_perm:[2,3,0,1] row_mask:0xf bank_mask:0xf
	s_mov_b32 s0, exec_lo
	s_delay_alu instid0(VALU_DEP_1)
	v_cmpx_o_f64_e32 v[3:4], v[3:4]
	s_cbranch_execz .LBB15_237
; %bb.234:
	s_mov_b32 s1, exec_lo
	v_cmpx_o_f64_e32 v[1:2], v[1:2]
; %bb.235:
	v_cmp_gt_f64_e32 vcc_lo, v[1:2], v[3:4]
	v_dual_cndmask_b32 v2, v4, v2 :: v_dual_cndmask_b32 v1, v3, v1
; %bb.236:
	s_or_b32 exec_lo, exec_lo, s1
	s_delay_alu instid0(VALU_DEP_1)
	v_dual_mov_b32 v4, v2 :: v_dual_mov_b32 v3, v1
.LBB15_237:
	s_or_b32 exec_lo, exec_lo, s0
	s_delay_alu instid0(VALU_DEP_1) | instskip(NEXT) | instid1(VALU_DEP_2)
	v_mov_b32_dpp v1, v3 row_ror:4 row_mask:0xf bank_mask:0xf
	v_mov_b32_dpp v2, v4 row_ror:4 row_mask:0xf bank_mask:0xf
	s_mov_b32 s0, exec_lo
	s_delay_alu instid0(VALU_DEP_1)
	v_cmpx_o_f64_e32 v[1:2], v[1:2]
	s_cbranch_execz .LBB15_241
; %bb.238:
	s_mov_b32 s1, exec_lo
	v_cmpx_o_f64_e32 v[3:4], v[3:4]
; %bb.239:
	v_cmp_gt_f64_e32 vcc_lo, v[3:4], v[1:2]
	v_dual_cndmask_b32 v4, v2, v4 :: v_dual_cndmask_b32 v3, v1, v3
; %bb.240:
	s_or_b32 exec_lo, exec_lo, s1
	s_delay_alu instid0(VALU_DEP_1)
	v_dual_mov_b32 v1, v3 :: v_dual_mov_b32 v2, v4
.LBB15_241:
	s_or_b32 exec_lo, exec_lo, s0
	s_delay_alu instid0(VALU_DEP_1) | instskip(NEXT) | instid1(VALU_DEP_2)
	v_mov_b32_dpp v3, v1 row_ror:8 row_mask:0xf bank_mask:0xf
	v_mov_b32_dpp v4, v2 row_ror:8 row_mask:0xf bank_mask:0xf
	s_mov_b32 s0, exec_lo
	s_delay_alu instid0(VALU_DEP_1)
	v_cmpx_o_f64_e32 v[3:4], v[3:4]
	s_cbranch_execz .LBB15_245
; %bb.242:
	s_mov_b32 s1, exec_lo
	v_cmpx_o_f64_e32 v[1:2], v[1:2]
; %bb.243:
	v_cmp_gt_f64_e32 vcc_lo, v[1:2], v[3:4]
	v_dual_cndmask_b32 v2, v4, v2 :: v_dual_cndmask_b32 v1, v3, v1
; %bb.244:
	s_or_b32 exec_lo, exec_lo, s1
	s_delay_alu instid0(VALU_DEP_1)
	v_dual_mov_b32 v4, v2 :: v_dual_mov_b32 v3, v1
.LBB15_245:
	s_or_b32 exec_lo, exec_lo, s0
	ds_swizzle_b32 v1, v3 offset:swizzle(BROADCAST,32,15)
	ds_swizzle_b32 v2, v4 offset:swizzle(BROADCAST,32,15)
	s_mov_b32 s0, exec_lo
	s_waitcnt lgkmcnt(0)
	v_cmpx_o_f64_e32 v[1:2], v[1:2]
	s_cbranch_execz .LBB15_249
; %bb.246:
	s_mov_b32 s1, exec_lo
	v_cmpx_o_f64_e32 v[3:4], v[3:4]
; %bb.247:
	v_cmp_gt_f64_e32 vcc_lo, v[3:4], v[1:2]
	v_dual_cndmask_b32 v4, v2, v4 :: v_dual_cndmask_b32 v3, v1, v3
; %bb.248:
	s_or_b32 exec_lo, exec_lo, s1
	s_delay_alu instid0(VALU_DEP_1)
	v_dual_mov_b32 v1, v3 :: v_dual_mov_b32 v2, v4
.LBB15_249:
	s_or_b32 exec_lo, exec_lo, s0
	v_mov_b32_e32 v3, 0
	v_mbcnt_lo_u32_b32 v5, -1, 0
	s_mov_b32 s0, exec_lo
	ds_bpermute_b32 v1, v3, v1 offset:124
	ds_bpermute_b32 v2, v3, v2 offset:124
	v_cmpx_eq_u32_e32 0, v5
	s_cbranch_execz .LBB15_251
; %bb.250:
	v_lshrrev_b32_e32 v3, 2, v0
	s_delay_alu instid0(VALU_DEP_1)
	v_and_b32_e32 v3, 56, v3
	s_waitcnt lgkmcnt(0)
	ds_store_b64 v3, v[1:2]
.LBB15_251:
	s_or_b32 exec_lo, exec_lo, s0
	s_delay_alu instid0(SALU_CYCLE_1)
	s_mov_b32 s1, exec_lo
	s_waitcnt lgkmcnt(0)
	s_barrier
	buffer_gl0_inv
	v_cmpx_gt_u32_e32 32, v0
	s_cbranch_execz .LBB15_265
; %bb.252:
	v_and_b32_e32 v6, 7, v5
	s_delay_alu instid0(VALU_DEP_1) | instskip(SKIP_4) | instid1(VALU_DEP_1)
	v_lshlrev_b32_e32 v1, 3, v6
	v_cmp_ne_u32_e64 s0, 7, v6
	ds_load_b64 v[1:2], v1
	v_add_co_ci_u32_e64 v3, s0, 0, v5, s0
	s_mov_b32 s0, exec_lo
	v_lshlrev_b32_e32 v4, 2, v3
	s_waitcnt lgkmcnt(0)
	ds_bpermute_b32 v3, v4, v1
	ds_bpermute_b32 v4, v4, v2
	v_cmpx_o_f64_e32 v[1:2], v[1:2]
	s_cbranch_execz .LBB15_256
; %bb.253:
	s_mov_b32 s11, exec_lo
	s_waitcnt lgkmcnt(0)
	v_cmpx_o_f64_e32 v[3:4], v[3:4]
; %bb.254:
	v_cmp_lt_f64_e32 vcc_lo, v[1:2], v[3:4]
	v_dual_cndmask_b32 v4, v2, v4 :: v_dual_cndmask_b32 v3, v1, v3
; %bb.255:
	s_or_b32 exec_lo, exec_lo, s11
	s_delay_alu instid0(VALU_DEP_1)
	v_dual_mov_b32 v1, v3 :: v_dual_mov_b32 v2, v4
.LBB15_256:
	s_or_b32 exec_lo, exec_lo, s0
	v_cmp_gt_u32_e64 s0, 6, v6
	s_waitcnt lgkmcnt(1)
	s_delay_alu instid0(VALU_DEP_1) | instskip(SKIP_1) | instid1(VALU_DEP_1)
	v_cndmask_b32_e64 v3, 0, 1, s0
	s_mov_b32 s0, exec_lo
	v_lshlrev_b32_e32 v3, 1, v3
	s_waitcnt lgkmcnt(0)
	s_delay_alu instid0(VALU_DEP_1)
	v_add_lshl_u32 v4, v3, v5, 2
	ds_bpermute_b32 v3, v4, v1
	ds_bpermute_b32 v4, v4, v2
	v_cmpx_o_f64_e32 v[1:2], v[1:2]
	s_cbranch_execz .LBB15_260
; %bb.257:
	s_mov_b32 s11, exec_lo
	s_waitcnt lgkmcnt(0)
	v_cmpx_o_f64_e32 v[3:4], v[3:4]
; %bb.258:
	v_cmp_lt_f64_e32 vcc_lo, v[1:2], v[3:4]
	v_dual_cndmask_b32 v4, v2, v4 :: v_dual_cndmask_b32 v3, v1, v3
; %bb.259:
	s_or_b32 exec_lo, exec_lo, s11
	s_delay_alu instid0(VALU_DEP_1)
	v_dual_mov_b32 v1, v3 :: v_dual_mov_b32 v2, v4
.LBB15_260:
	s_or_b32 exec_lo, exec_lo, s0
	v_cmp_gt_u32_e64 s0, 4, v6
	s_waitcnt lgkmcnt(1)
	s_delay_alu instid0(VALU_DEP_1) | instskip(SKIP_1) | instid1(VALU_DEP_1)
	v_cndmask_b32_e64 v3, 0, 1, s0
	s_mov_b32 s0, exec_lo
	v_lshlrev_b32_e32 v3, 2, v3
	s_waitcnt lgkmcnt(0)
	s_delay_alu instid0(VALU_DEP_1)
	v_add_lshl_u32 v4, v3, v5, 2
	ds_bpermute_b32 v3, v4, v1
	ds_bpermute_b32 v4, v4, v2
	v_cmpx_o_f64_e32 v[1:2], v[1:2]
	s_cbranch_execz .LBB15_264
; %bb.261:
	s_mov_b32 s11, exec_lo
	s_waitcnt lgkmcnt(0)
	v_cmpx_o_f64_e32 v[3:4], v[3:4]
; %bb.262:
	v_cmp_lt_f64_e32 vcc_lo, v[1:2], v[3:4]
	v_dual_cndmask_b32 v4, v2, v4 :: v_dual_cndmask_b32 v3, v1, v3
; %bb.263:
	s_or_b32 exec_lo, exec_lo, s11
	s_delay_alu instid0(VALU_DEP_1)
	v_dual_mov_b32 v1, v3 :: v_dual_mov_b32 v2, v4
.LBB15_264:
	s_or_b32 exec_lo, exec_lo, s0
.LBB15_265:
	s_delay_alu instid0(SALU_CYCLE_1)
	s_or_b32 exec_lo, exec_lo, s1
	s_branch .LBB15_364
.LBB15_266:
	s_sub_i32 s1, s15, s10
	s_mov_b32 s0, exec_lo
                                        ; implicit-def: $vgpr3_vgpr4
	v_cmpx_gt_u32_e64 s1, v0
	s_cbranch_execz .LBB15_276
; %bb.267:
	v_add_nc_u32_e32 v1, s10, v0
	s_mov_b32 s10, exec_lo
	s_delay_alu instid0(VALU_DEP_1) | instskip(SKIP_1) | instid1(VALU_DEP_1)
	v_ashrrev_i32_e32 v2, 31, v1
	s_waitcnt lgkmcnt(1)
	v_lshlrev_b64 v[2:3], 3, v[1:2]
	v_add_nc_u32_e32 v1, 0x100, v1
	s_delay_alu instid0(VALU_DEP_2) | instskip(NEXT) | instid1(VALU_DEP_3)
	v_add_co_u32 v2, vcc_lo, s4, v2
	v_add_co_ci_u32_e32 v3, vcc_lo, s5, v3, vcc_lo
	s_waitcnt lgkmcnt(0)
	global_load_b64 v[3:4], v[2:3], off
	v_cmpx_gt_i32_e64 s15, v1
	s_cbranch_execz .LBB15_275
; %bb.268:
	s_mov_b32 s11, 0
	s_set_inst_prefetch_distance 0x1
	s_branch .LBB15_271
	.p2align	6
.LBB15_269:                             ;   in Loop: Header=BB15_271 Depth=1
	s_or_b32 exec_lo, exec_lo, s17
	s_delay_alu instid0(VALU_DEP_1)
	v_dual_mov_b32 v3, v5 :: v_dual_mov_b32 v4, v6
.LBB15_270:                             ;   in Loop: Header=BB15_271 Depth=1
	s_or_b32 exec_lo, exec_lo, s16
	v_add_nc_u32_e32 v1, 0x100, v1
	s_delay_alu instid0(VALU_DEP_1) | instskip(SKIP_1) | instid1(SALU_CYCLE_1)
	v_cmp_le_i32_e32 vcc_lo, s15, v1
	s_or_b32 s11, vcc_lo, s11
	s_and_not1_b32 exec_lo, exec_lo, s11
	s_cbranch_execz .LBB15_274
.LBB15_271:                             ; =>This Inner Loop Header: Depth=1
	s_mov_b32 s16, exec_lo
	s_waitcnt vmcnt(0)
	v_cmpx_o_f64_e32 v[3:4], v[3:4]
	s_cbranch_execz .LBB15_270
; %bb.272:                              ;   in Loop: Header=BB15_271 Depth=1
	v_ashrrev_i32_e32 v2, 31, v1
	s_mov_b32 s17, exec_lo
	s_delay_alu instid0(VALU_DEP_1) | instskip(NEXT) | instid1(VALU_DEP_1)
	v_lshlrev_b64 v[5:6], 3, v[1:2]
	v_add_co_u32 v5, vcc_lo, s4, v5
	s_delay_alu instid0(VALU_DEP_2)
	v_add_co_ci_u32_e32 v6, vcc_lo, s5, v6, vcc_lo
	global_load_b64 v[5:6], v[5:6], off
	s_waitcnt vmcnt(0)
	v_cmpx_o_f64_e32 v[5:6], v[5:6]
	s_cbranch_execz .LBB15_269
; %bb.273:                              ;   in Loop: Header=BB15_271 Depth=1
	v_cmp_lt_f64_e32 vcc_lo, v[3:4], v[5:6]
	v_dual_cndmask_b32 v6, v4, v6 :: v_dual_cndmask_b32 v5, v3, v5
	s_branch .LBB15_269
.LBB15_274:
	s_set_inst_prefetch_distance 0x2
	s_or_b32 exec_lo, exec_lo, s11
.LBB15_275:
	s_delay_alu instid0(SALU_CYCLE_1)
	s_or_b32 exec_lo, exec_lo, s10
.LBB15_276:
	s_delay_alu instid0(SALU_CYCLE_1)
	s_or_b32 exec_lo, exec_lo, s0
	v_lshrrev_b32_e32 v10, 5, v0
	v_mbcnt_lo_u32_b32 v9, -1, 0
	s_cmpk_lt_u32 s1, 0x100
	s_mov_b32 s0, -1
	s_cbranch_scc0 .LBB15_326
; %bb.277:
	s_delay_alu instid0(VALU_DEP_1) | instskip(SKIP_3) | instid1(VALU_DEP_1)
	v_cmp_ne_u32_e32 vcc_lo, 31, v9
	s_waitcnt vmcnt(0) lgkmcnt(0)
	v_dual_mov_b32 v5, v3 :: v_dual_mov_b32 v6, v4
	v_add_co_ci_u32_e32 v1, vcc_lo, 0, v9, vcc_lo
	v_lshlrev_b32_e32 v1, 2, v1
	ds_bpermute_b32 v7, v1, v3
	ds_bpermute_b32 v8, v1, v4
	v_and_b32_e32 v1, 0xe0, v0
	s_delay_alu instid0(VALU_DEP_1) | instskip(SKIP_1) | instid1(VALU_DEP_1)
	v_sub_nc_u32_e64 v11, s1, v1 clamp
	v_add_nc_u32_e32 v1, 1, v9
	v_cmp_lt_u32_e32 vcc_lo, v1, v11
	v_dual_mov_b32 v1, v3 :: v_dual_mov_b32 v2, v4
	s_and_saveexec_b32 s0, vcc_lo
	s_cbranch_execz .LBB15_283
; %bb.278:
	v_dual_mov_b32 v6, v4 :: v_dual_mov_b32 v5, v3
	s_mov_b32 s4, exec_lo
	v_cmpx_o_f64_e32 v[3:4], v[3:4]
	s_cbranch_execz .LBB15_282
; %bb.279:
	s_mov_b32 s5, exec_lo
	s_waitcnt lgkmcnt(0)
	v_cmpx_o_f64_e32 v[7:8], v[7:8]
; %bb.280:
	v_cmp_lt_f64_e32 vcc_lo, v[3:4], v[7:8]
	v_dual_cndmask_b32 v8, v4, v8 :: v_dual_cndmask_b32 v7, v3, v7
; %bb.281:
	s_or_b32 exec_lo, exec_lo, s5
	s_delay_alu instid0(VALU_DEP_1)
	v_dual_mov_b32 v5, v7 :: v_dual_mov_b32 v6, v8
.LBB15_282:
	s_or_b32 exec_lo, exec_lo, s4
	s_delay_alu instid0(VALU_DEP_1)
	v_dual_mov_b32 v1, v5 :: v_dual_mov_b32 v2, v6
.LBB15_283:
	s_or_b32 exec_lo, exec_lo, s0
	v_cmp_gt_u32_e32 vcc_lo, 30, v9
	v_add_nc_u32_e32 v12, 2, v9
	s_mov_b32 s0, exec_lo
	s_waitcnt lgkmcnt(1)
	v_cndmask_b32_e64 v7, 0, 1, vcc_lo
	s_delay_alu instid0(VALU_DEP_1) | instskip(SKIP_1) | instid1(VALU_DEP_1)
	v_lshlrev_b32_e32 v7, 1, v7
	s_waitcnt lgkmcnt(0)
	v_add_lshl_u32 v8, v7, v9, 2
	ds_bpermute_b32 v7, v8, v5
	ds_bpermute_b32 v8, v8, v6
	v_cmpx_lt_u32_e64 v12, v11
	s_cbranch_execz .LBB15_289
; %bb.284:
	s_mov_b32 s4, exec_lo
	v_cmpx_o_f64_e32 v[1:2], v[1:2]
	s_cbranch_execz .LBB15_288
; %bb.285:
	s_mov_b32 s5, exec_lo
	s_waitcnt lgkmcnt(0)
	v_cmpx_o_f64_e32 v[7:8], v[7:8]
; %bb.286:
	v_cmp_lt_f64_e32 vcc_lo, v[1:2], v[7:8]
	v_dual_cndmask_b32 v8, v2, v8 :: v_dual_cndmask_b32 v7, v1, v7
; %bb.287:
	s_or_b32 exec_lo, exec_lo, s5
	s_delay_alu instid0(VALU_DEP_1)
	v_dual_mov_b32 v1, v7 :: v_dual_mov_b32 v2, v8
.LBB15_288:
	s_or_b32 exec_lo, exec_lo, s4
	s_delay_alu instid0(VALU_DEP_1)
	v_dual_mov_b32 v5, v1 :: v_dual_mov_b32 v6, v2
.LBB15_289:
	s_or_b32 exec_lo, exec_lo, s0
	v_cmp_gt_u32_e32 vcc_lo, 28, v9
	v_add_nc_u32_e32 v12, 4, v9
	s_mov_b32 s0, exec_lo
	s_waitcnt lgkmcnt(1)
	v_cndmask_b32_e64 v7, 0, 1, vcc_lo
	s_delay_alu instid0(VALU_DEP_1) | instskip(SKIP_1) | instid1(VALU_DEP_1)
	v_lshlrev_b32_e32 v7, 2, v7
	s_waitcnt lgkmcnt(0)
	v_add_lshl_u32 v8, v7, v9, 2
	ds_bpermute_b32 v7, v8, v5
	ds_bpermute_b32 v8, v8, v6
	v_cmpx_lt_u32_e64 v12, v11
	s_cbranch_execz .LBB15_295
; %bb.290:
	s_mov_b32 s4, exec_lo
	v_cmpx_o_f64_e32 v[1:2], v[1:2]
	s_cbranch_execz .LBB15_294
; %bb.291:
	s_mov_b32 s5, exec_lo
	s_waitcnt lgkmcnt(0)
	v_cmpx_o_f64_e32 v[7:8], v[7:8]
; %bb.292:
	v_cmp_lt_f64_e32 vcc_lo, v[1:2], v[7:8]
	v_dual_cndmask_b32 v8, v2, v8 :: v_dual_cndmask_b32 v7, v1, v7
; %bb.293:
	s_or_b32 exec_lo, exec_lo, s5
	s_delay_alu instid0(VALU_DEP_1)
	v_dual_mov_b32 v1, v7 :: v_dual_mov_b32 v2, v8
.LBB15_294:
	s_or_b32 exec_lo, exec_lo, s4
	s_delay_alu instid0(VALU_DEP_1)
	v_dual_mov_b32 v5, v1 :: v_dual_mov_b32 v6, v2
.LBB15_295:
	;; [unrolled: 34-line block ×3, first 2 shown]
	s_or_b32 exec_lo, exec_lo, s0
	v_cmp_o_f64_e32 vcc_lo, v[1:2], v[1:2]
	v_cmp_gt_u32_e64 s0, 16, v9
	s_waitcnt lgkmcnt(1)
	s_delay_alu instid0(VALU_DEP_1) | instskip(NEXT) | instid1(VALU_DEP_1)
	v_cndmask_b32_e64 v7, 0, 1, s0
	v_lshlrev_b32_e32 v7, 4, v7
	s_delay_alu instid0(VALU_DEP_1) | instskip(SKIP_3) | instid1(VALU_DEP_1)
	v_add_lshl_u32 v7, v7, v9, 2
	ds_bpermute_b32 v5, v7, v5
	ds_bpermute_b32 v6, v7, v6
	v_add_nc_u32_e32 v7, 16, v9
	v_cmp_lt_u32_e64 s0, v7, v11
	s_delay_alu instid0(VALU_DEP_1) | instskip(NEXT) | instid1(SALU_CYCLE_1)
	s_and_b32 s4, s0, vcc_lo
	s_and_saveexec_b32 s0, s4
	s_cbranch_execz .LBB15_305
; %bb.302:
	s_mov_b32 s4, exec_lo
	s_waitcnt lgkmcnt(0)
	v_cmpx_o_f64_e32 v[5:6], v[5:6]
; %bb.303:
	v_cmp_lt_f64_e32 vcc_lo, v[1:2], v[5:6]
	v_dual_cndmask_b32 v6, v2, v6 :: v_dual_cndmask_b32 v5, v1, v5
; %bb.304:
	s_or_b32 exec_lo, exec_lo, s4
	s_delay_alu instid0(VALU_DEP_1)
	v_dual_mov_b32 v1, v5 :: v_dual_mov_b32 v2, v6
.LBB15_305:
	s_or_b32 exec_lo, exec_lo, s0
	s_delay_alu instid0(SALU_CYCLE_1)
	s_mov_b32 s0, exec_lo
	v_cmpx_eq_u32_e32 0, v9
	s_cbranch_execz .LBB15_307
; %bb.306:
	s_waitcnt lgkmcnt(1)
	v_lshlrev_b32_e32 v5, 3, v10
	ds_store_b64 v5, v[1:2]
.LBB15_307:
	s_or_b32 exec_lo, exec_lo, s0
	s_delay_alu instid0(SALU_CYCLE_1)
	s_mov_b32 s4, exec_lo
	s_waitcnt lgkmcnt(0)
	s_barrier
	buffer_gl0_inv
	v_cmpx_gt_u32_e32 8, v0
	s_cbranch_execz .LBB15_325
; %bb.308:
	v_lshlrev_b32_e32 v1, 3, v9
	v_and_b32_e32 v7, 7, v9
	s_add_i32 s1, s1, 31
	s_mov_b32 s0, exec_lo
	s_lshr_b32 s1, s1, 5
	ds_load_b64 v[1:2], v1
	v_cmp_ne_u32_e32 vcc_lo, 7, v7
	v_add_nc_u32_e32 v8, 1, v7
	v_add_co_ci_u32_e32 v5, vcc_lo, 0, v9, vcc_lo
	s_delay_alu instid0(VALU_DEP_1)
	v_lshlrev_b32_e32 v6, 2, v5
	s_waitcnt lgkmcnt(0)
	ds_bpermute_b32 v5, v6, v1
	ds_bpermute_b32 v6, v6, v2
	v_cmpx_gt_u32_e64 s1, v8
	s_cbranch_execz .LBB15_314
; %bb.309:
	s_mov_b32 s5, exec_lo
	v_cmpx_o_f64_e32 v[1:2], v[1:2]
	s_cbranch_execz .LBB15_313
; %bb.310:
	s_mov_b32 s10, exec_lo
	s_waitcnt lgkmcnt(0)
	v_cmpx_o_f64_e32 v[5:6], v[5:6]
; %bb.311:
	v_cmp_lt_f64_e32 vcc_lo, v[1:2], v[5:6]
	v_dual_cndmask_b32 v6, v2, v6 :: v_dual_cndmask_b32 v5, v1, v5
; %bb.312:
	s_or_b32 exec_lo, exec_lo, s10
	s_delay_alu instid0(VALU_DEP_1)
	v_dual_mov_b32 v1, v5 :: v_dual_mov_b32 v2, v6
.LBB15_313:
	s_or_b32 exec_lo, exec_lo, s5
.LBB15_314:
	s_delay_alu instid0(SALU_CYCLE_1)
	s_or_b32 exec_lo, exec_lo, s0
	v_cmp_gt_u32_e32 vcc_lo, 6, v7
	v_add_nc_u32_e32 v8, 2, v7
	s_mov_b32 s0, exec_lo
	s_waitcnt lgkmcnt(1)
	v_cndmask_b32_e64 v5, 0, 1, vcc_lo
	s_delay_alu instid0(VALU_DEP_1) | instskip(SKIP_1) | instid1(VALU_DEP_1)
	v_lshlrev_b32_e32 v5, 1, v5
	s_waitcnt lgkmcnt(0)
	v_add_lshl_u32 v6, v5, v9, 2
	ds_bpermute_b32 v5, v6, v1
	ds_bpermute_b32 v6, v6, v2
	v_cmpx_gt_u32_e64 s1, v8
	s_cbranch_execz .LBB15_320
; %bb.315:
	s_mov_b32 s5, exec_lo
	v_cmpx_o_f64_e32 v[1:2], v[1:2]
	s_cbranch_execz .LBB15_319
; %bb.316:
	s_mov_b32 s10, exec_lo
	s_waitcnt lgkmcnt(0)
	v_cmpx_o_f64_e32 v[5:6], v[5:6]
; %bb.317:
	v_cmp_lt_f64_e32 vcc_lo, v[1:2], v[5:6]
	v_dual_cndmask_b32 v6, v2, v6 :: v_dual_cndmask_b32 v5, v1, v5
; %bb.318:
	s_or_b32 exec_lo, exec_lo, s10
	s_delay_alu instid0(VALU_DEP_1)
	v_dual_mov_b32 v1, v5 :: v_dual_mov_b32 v2, v6
.LBB15_319:
	s_or_b32 exec_lo, exec_lo, s5
.LBB15_320:
	s_delay_alu instid0(SALU_CYCLE_1) | instskip(NEXT) | instid1(VALU_DEP_1)
	s_or_b32 exec_lo, exec_lo, s0
	v_cmp_o_f64_e32 vcc_lo, v[1:2], v[1:2]
	v_cmp_gt_u32_e64 s0, 4, v7
	v_add_nc_u32_e32 v7, 4, v7
	s_waitcnt lgkmcnt(1)
	s_delay_alu instid0(VALU_DEP_2) | instskip(NEXT) | instid1(VALU_DEP_2)
	v_cndmask_b32_e64 v5, 0, 1, s0
	v_cmp_gt_u32_e64 s0, s1, v7
	s_delay_alu instid0(VALU_DEP_2) | instskip(SKIP_1) | instid1(VALU_DEP_1)
	v_lshlrev_b32_e32 v5, 2, v5
	s_waitcnt lgkmcnt(0)
	v_add_lshl_u32 v6, v5, v9, 2
	ds_bpermute_b32 v5, v6, v1
	ds_bpermute_b32 v6, v6, v2
	s_and_b32 s1, s0, vcc_lo
	s_delay_alu instid0(SALU_CYCLE_1)
	s_and_saveexec_b32 s0, s1
	s_cbranch_execz .LBB15_324
; %bb.321:
	s_mov_b32 s1, exec_lo
	s_waitcnt lgkmcnt(0)
	v_cmpx_o_f64_e32 v[5:6], v[5:6]
; %bb.322:
	v_cmp_lt_f64_e32 vcc_lo, v[1:2], v[5:6]
	v_dual_cndmask_b32 v6, v2, v6 :: v_dual_cndmask_b32 v5, v1, v5
; %bb.323:
	s_or_b32 exec_lo, exec_lo, s1
	s_delay_alu instid0(VALU_DEP_1)
	v_dual_mov_b32 v1, v5 :: v_dual_mov_b32 v2, v6
.LBB15_324:
	s_or_b32 exec_lo, exec_lo, s0
.LBB15_325:
	s_delay_alu instid0(SALU_CYCLE_1)
	s_or_b32 exec_lo, exec_lo, s4
	s_branch .LBB15_364
.LBB15_326:
                                        ; implicit-def: $vgpr1_vgpr2
	s_and_b32 vcc_lo, exec_lo, s0
	s_cbranch_vccz .LBB15_364
; %bb.327:
	s_waitcnt vmcnt(0) lgkmcnt(1)
	v_mov_b32_dpp v1, v3 quad_perm:[1,0,3,2] row_mask:0xf bank_mask:0xf
	s_waitcnt lgkmcnt(0)
	v_mov_b32_dpp v2, v4 quad_perm:[1,0,3,2] row_mask:0xf bank_mask:0xf
	s_mov_b32 s0, exec_lo
	s_delay_alu instid0(VALU_DEP_1)
	v_cmpx_o_f64_e32 v[1:2], v[1:2]
	s_cbranch_execz .LBB15_331
; %bb.328:
	s_mov_b32 s1, exec_lo
	v_cmpx_o_f64_e32 v[3:4], v[3:4]
; %bb.329:
	v_cmp_gt_f64_e32 vcc_lo, v[3:4], v[1:2]
	v_dual_cndmask_b32 v4, v2, v4 :: v_dual_cndmask_b32 v3, v1, v3
; %bb.330:
	s_or_b32 exec_lo, exec_lo, s1
	s_delay_alu instid0(VALU_DEP_1)
	v_dual_mov_b32 v1, v3 :: v_dual_mov_b32 v2, v4
.LBB15_331:
	s_or_b32 exec_lo, exec_lo, s0
	s_delay_alu instid0(VALU_DEP_1) | instskip(NEXT) | instid1(VALU_DEP_2)
	v_mov_b32_dpp v3, v1 quad_perm:[2,3,0,1] row_mask:0xf bank_mask:0xf
	v_mov_b32_dpp v4, v2 quad_perm:[2,3,0,1] row_mask:0xf bank_mask:0xf
	s_mov_b32 s0, exec_lo
	s_delay_alu instid0(VALU_DEP_1)
	v_cmpx_o_f64_e32 v[3:4], v[3:4]
	s_cbranch_execz .LBB15_335
; %bb.332:
	s_mov_b32 s1, exec_lo
	v_cmpx_o_f64_e32 v[1:2], v[1:2]
; %bb.333:
	v_cmp_gt_f64_e32 vcc_lo, v[1:2], v[3:4]
	v_dual_cndmask_b32 v2, v4, v2 :: v_dual_cndmask_b32 v1, v3, v1
; %bb.334:
	s_or_b32 exec_lo, exec_lo, s1
	s_delay_alu instid0(VALU_DEP_1)
	v_dual_mov_b32 v4, v2 :: v_dual_mov_b32 v3, v1
.LBB15_335:
	s_or_b32 exec_lo, exec_lo, s0
	s_delay_alu instid0(VALU_DEP_1) | instskip(NEXT) | instid1(VALU_DEP_2)
	v_mov_b32_dpp v1, v3 row_ror:4 row_mask:0xf bank_mask:0xf
	v_mov_b32_dpp v2, v4 row_ror:4 row_mask:0xf bank_mask:0xf
	s_mov_b32 s0, exec_lo
	s_delay_alu instid0(VALU_DEP_1)
	v_cmpx_o_f64_e32 v[1:2], v[1:2]
	s_cbranch_execz .LBB15_339
; %bb.336:
	s_mov_b32 s1, exec_lo
	v_cmpx_o_f64_e32 v[3:4], v[3:4]
; %bb.337:
	v_cmp_gt_f64_e32 vcc_lo, v[3:4], v[1:2]
	v_dual_cndmask_b32 v4, v2, v4 :: v_dual_cndmask_b32 v3, v1, v3
; %bb.338:
	s_or_b32 exec_lo, exec_lo, s1
	s_delay_alu instid0(VALU_DEP_1)
	v_dual_mov_b32 v1, v3 :: v_dual_mov_b32 v2, v4
.LBB15_339:
	s_or_b32 exec_lo, exec_lo, s0
	s_delay_alu instid0(VALU_DEP_1) | instskip(NEXT) | instid1(VALU_DEP_2)
	v_mov_b32_dpp v3, v1 row_ror:8 row_mask:0xf bank_mask:0xf
	v_mov_b32_dpp v4, v2 row_ror:8 row_mask:0xf bank_mask:0xf
	s_mov_b32 s0, exec_lo
	s_delay_alu instid0(VALU_DEP_1)
	v_cmpx_o_f64_e32 v[3:4], v[3:4]
	s_cbranch_execz .LBB15_343
; %bb.340:
	s_mov_b32 s1, exec_lo
	v_cmpx_o_f64_e32 v[1:2], v[1:2]
; %bb.341:
	v_cmp_gt_f64_e32 vcc_lo, v[1:2], v[3:4]
	v_dual_cndmask_b32 v2, v4, v2 :: v_dual_cndmask_b32 v1, v3, v1
; %bb.342:
	s_or_b32 exec_lo, exec_lo, s1
	s_delay_alu instid0(VALU_DEP_1)
	v_dual_mov_b32 v4, v2 :: v_dual_mov_b32 v3, v1
.LBB15_343:
	s_or_b32 exec_lo, exec_lo, s0
	ds_swizzle_b32 v1, v3 offset:swizzle(BROADCAST,32,15)
	ds_swizzle_b32 v2, v4 offset:swizzle(BROADCAST,32,15)
	s_mov_b32 s0, exec_lo
	s_waitcnt lgkmcnt(0)
	v_cmpx_o_f64_e32 v[1:2], v[1:2]
	s_cbranch_execz .LBB15_347
; %bb.344:
	s_mov_b32 s1, exec_lo
	v_cmpx_o_f64_e32 v[3:4], v[3:4]
; %bb.345:
	v_cmp_gt_f64_e32 vcc_lo, v[3:4], v[1:2]
	v_dual_cndmask_b32 v4, v2, v4 :: v_dual_cndmask_b32 v3, v1, v3
; %bb.346:
	s_or_b32 exec_lo, exec_lo, s1
	s_delay_alu instid0(VALU_DEP_1)
	v_dual_mov_b32 v1, v3 :: v_dual_mov_b32 v2, v4
.LBB15_347:
	s_or_b32 exec_lo, exec_lo, s0
	v_mov_b32_e32 v3, 0
	s_mov_b32 s0, exec_lo
	ds_bpermute_b32 v1, v3, v1 offset:124
	ds_bpermute_b32 v2, v3, v2 offset:124
	v_cmpx_eq_u32_e32 0, v9
	s_cbranch_execz .LBB15_349
; %bb.348:
	v_lshlrev_b32_e32 v3, 3, v10
	s_waitcnt lgkmcnt(0)
	ds_store_b64 v3, v[1:2]
.LBB15_349:
	s_or_b32 exec_lo, exec_lo, s0
	s_delay_alu instid0(SALU_CYCLE_1)
	s_mov_b32 s1, exec_lo
	s_waitcnt lgkmcnt(0)
	s_barrier
	buffer_gl0_inv
	v_cmpx_gt_u32_e32 32, v0
	s_cbranch_execz .LBB15_363
; %bb.350:
	v_and_b32_e32 v5, 7, v9
	s_delay_alu instid0(VALU_DEP_1) | instskip(SKIP_4) | instid1(VALU_DEP_1)
	v_lshlrev_b32_e32 v1, 3, v5
	v_cmp_ne_u32_e64 s0, 7, v5
	ds_load_b64 v[1:2], v1
	v_add_co_ci_u32_e64 v3, s0, 0, v9, s0
	s_mov_b32 s0, exec_lo
	v_lshlrev_b32_e32 v4, 2, v3
	s_waitcnt lgkmcnt(0)
	ds_bpermute_b32 v3, v4, v1
	ds_bpermute_b32 v4, v4, v2
	v_cmpx_o_f64_e32 v[1:2], v[1:2]
	s_cbranch_execz .LBB15_354
; %bb.351:
	s_mov_b32 s4, exec_lo
	s_waitcnt lgkmcnt(0)
	v_cmpx_o_f64_e32 v[3:4], v[3:4]
; %bb.352:
	v_cmp_lt_f64_e32 vcc_lo, v[1:2], v[3:4]
	v_dual_cndmask_b32 v4, v2, v4 :: v_dual_cndmask_b32 v3, v1, v3
; %bb.353:
	s_or_b32 exec_lo, exec_lo, s4
	s_delay_alu instid0(VALU_DEP_1)
	v_dual_mov_b32 v1, v3 :: v_dual_mov_b32 v2, v4
.LBB15_354:
	s_or_b32 exec_lo, exec_lo, s0
	v_cmp_gt_u32_e64 s0, 6, v5
	s_waitcnt lgkmcnt(1)
	s_delay_alu instid0(VALU_DEP_1) | instskip(SKIP_1) | instid1(VALU_DEP_1)
	v_cndmask_b32_e64 v3, 0, 1, s0
	s_mov_b32 s0, exec_lo
	v_lshlrev_b32_e32 v3, 1, v3
	s_waitcnt lgkmcnt(0)
	s_delay_alu instid0(VALU_DEP_1)
	v_add_lshl_u32 v4, v3, v9, 2
	ds_bpermute_b32 v3, v4, v1
	ds_bpermute_b32 v4, v4, v2
	v_cmpx_o_f64_e32 v[1:2], v[1:2]
	s_cbranch_execz .LBB15_358
; %bb.355:
	s_mov_b32 s4, exec_lo
	s_waitcnt lgkmcnt(0)
	v_cmpx_o_f64_e32 v[3:4], v[3:4]
; %bb.356:
	v_cmp_lt_f64_e32 vcc_lo, v[1:2], v[3:4]
	v_dual_cndmask_b32 v4, v2, v4 :: v_dual_cndmask_b32 v3, v1, v3
; %bb.357:
	s_or_b32 exec_lo, exec_lo, s4
	s_delay_alu instid0(VALU_DEP_1)
	v_dual_mov_b32 v1, v3 :: v_dual_mov_b32 v2, v4
.LBB15_358:
	s_or_b32 exec_lo, exec_lo, s0
	v_cmp_gt_u32_e64 s0, 4, v5
	s_waitcnt lgkmcnt(1)
	s_delay_alu instid0(VALU_DEP_1) | instskip(SKIP_1) | instid1(VALU_DEP_1)
	v_cndmask_b32_e64 v3, 0, 1, s0
	s_mov_b32 s0, exec_lo
	v_lshlrev_b32_e32 v3, 2, v3
	s_waitcnt lgkmcnt(0)
	s_delay_alu instid0(VALU_DEP_1)
	v_add_lshl_u32 v4, v3, v9, 2
	ds_bpermute_b32 v3, v4, v1
	ds_bpermute_b32 v4, v4, v2
	v_cmpx_o_f64_e32 v[1:2], v[1:2]
	s_cbranch_execz .LBB15_362
; %bb.359:
	s_mov_b32 s4, exec_lo
	s_waitcnt lgkmcnt(0)
	v_cmpx_o_f64_e32 v[3:4], v[3:4]
; %bb.360:
	v_cmp_lt_f64_e32 vcc_lo, v[1:2], v[3:4]
	v_dual_cndmask_b32 v4, v2, v4 :: v_dual_cndmask_b32 v3, v1, v3
; %bb.361:
	s_or_b32 exec_lo, exec_lo, s4
	s_delay_alu instid0(VALU_DEP_1)
	v_dual_mov_b32 v1, v3 :: v_dual_mov_b32 v2, v4
.LBB15_362:
	s_or_b32 exec_lo, exec_lo, s0
.LBB15_363:
	s_delay_alu instid0(SALU_CYCLE_1)
	s_or_b32 exec_lo, exec_lo, s1
.LBB15_364:
	s_delay_alu instid0(SALU_CYCLE_1)
	s_mov_b32 s0, exec_lo
                                        ; implicit-def: $vgpr3_vgpr4
	v_cmpx_eq_u32_e32 0, v0
	s_cbranch_execz .LBB15_370
; %bb.365:
	v_cmp_u_f64_e64 s1, s[12:13], s[12:13]
	s_waitcnt vmcnt(0) lgkmcnt(0)
	v_dual_mov_b32 v3, s12 :: v_dual_mov_b32 v4, s13
	s_delay_alu instid0(VALU_DEP_2)
	s_and_b32 vcc_lo, exec_lo, s1
	s_cbranch_vccnz .LBB15_369
; %bb.366:
	s_mov_b32 s1, exec_lo
	v_cmpx_o_f64_e32 v[1:2], v[1:2]
; %bb.367:
	v_cmp_lt_f64_e32 vcc_lo, s[12:13], v[1:2]
	v_cndmask_b32_e32 v2, s13, v2, vcc_lo
	v_cndmask_b32_e32 v1, s12, v1, vcc_lo
; %bb.368:
	s_or_b32 exec_lo, exec_lo, s1
	s_delay_alu instid0(VALU_DEP_1)
	v_dual_mov_b32 v4, v2 :: v_dual_mov_b32 v3, v1
.LBB15_369:
	s_or_b32 s14, s14, exec_lo
.LBB15_370:
	s_or_b32 exec_lo, exec_lo, s0
	s_and_saveexec_b32 s0, s14
	s_cbranch_execz .LBB15_372
.LBB15_371:
	s_lshl_b64 s[0:1], s[8:9], 3
	v_mov_b32_e32 v0, 0
	s_add_u32 s4, s6, s0
	s_addc_u32 s5, s7, s1
	s_lshl_b64 s[0:1], s[2:3], 3
	s_delay_alu instid0(SALU_CYCLE_1)
	s_add_u32 s0, s4, s0
	s_addc_u32 s1, s5, s1
	s_waitcnt vmcnt(0) lgkmcnt(0)
	global_store_b64 v0, v[3:4], s[0:1]
.LBB15_372:
	s_nop 0
	s_sendmsg sendmsg(MSG_DEALLOC_VGPRS)
	s_endpgm
	.section	.rodata,"a",@progbits
	.p2align	6, 0x0
	.amdhsa_kernel _ZN7rocprim17ROCPRIM_400000_NS6detail17trampoline_kernelINS0_14default_configENS1_32segmented_reduce_config_selectorIdEEZNS1_21segmented_reduce_implIS3_PKdPdPKidN6hipcub16HIPCUB_304000_NS6detail27convert_result_type_wrapperIS8_S9_N2at6native12_GLOBAL__N_19CustomMaxEEEEE10hipError_tPvRmT0_T1_jT2_SQ_T4_T3_P12ihipStream_tbEUlT_E_NS1_11comp_targetILNS1_3genE9ELNS1_11target_archE1100ELNS1_3gpuE3ELNS1_3repE0EEENS1_30default_config_static_selectorELNS0_4arch9wavefront6targetE0EEEvSP_
		.amdhsa_group_segment_fixed_size 64
		.amdhsa_private_segment_fixed_size 0
		.amdhsa_kernarg_size 56
		.amdhsa_user_sgpr_count 15
		.amdhsa_user_sgpr_dispatch_ptr 0
		.amdhsa_user_sgpr_queue_ptr 0
		.amdhsa_user_sgpr_kernarg_segment_ptr 1
		.amdhsa_user_sgpr_dispatch_id 0
		.amdhsa_user_sgpr_private_segment_size 0
		.amdhsa_wavefront_size32 1
		.amdhsa_uses_dynamic_stack 0
		.amdhsa_enable_private_segment 0
		.amdhsa_system_sgpr_workgroup_id_x 1
		.amdhsa_system_sgpr_workgroup_id_y 0
		.amdhsa_system_sgpr_workgroup_id_z 0
		.amdhsa_system_sgpr_workgroup_info 0
		.amdhsa_system_vgpr_workitem_id 0
		.amdhsa_next_free_vgpr 50
		.amdhsa_next_free_sgpr 18
		.amdhsa_reserve_vcc 1
		.amdhsa_float_round_mode_32 0
		.amdhsa_float_round_mode_16_64 0
		.amdhsa_float_denorm_mode_32 3
		.amdhsa_float_denorm_mode_16_64 3
		.amdhsa_dx10_clamp 1
		.amdhsa_ieee_mode 1
		.amdhsa_fp16_overflow 0
		.amdhsa_workgroup_processor_mode 1
		.amdhsa_memory_ordered 1
		.amdhsa_forward_progress 0
		.amdhsa_shared_vgpr_count 0
		.amdhsa_exception_fp_ieee_invalid_op 0
		.amdhsa_exception_fp_denorm_src 0
		.amdhsa_exception_fp_ieee_div_zero 0
		.amdhsa_exception_fp_ieee_overflow 0
		.amdhsa_exception_fp_ieee_underflow 0
		.amdhsa_exception_fp_ieee_inexact 0
		.amdhsa_exception_int_div_zero 0
	.end_amdhsa_kernel
	.section	.text._ZN7rocprim17ROCPRIM_400000_NS6detail17trampoline_kernelINS0_14default_configENS1_32segmented_reduce_config_selectorIdEEZNS1_21segmented_reduce_implIS3_PKdPdPKidN6hipcub16HIPCUB_304000_NS6detail27convert_result_type_wrapperIS8_S9_N2at6native12_GLOBAL__N_19CustomMaxEEEEE10hipError_tPvRmT0_T1_jT2_SQ_T4_T3_P12ihipStream_tbEUlT_E_NS1_11comp_targetILNS1_3genE9ELNS1_11target_archE1100ELNS1_3gpuE3ELNS1_3repE0EEENS1_30default_config_static_selectorELNS0_4arch9wavefront6targetE0EEEvSP_,"axG",@progbits,_ZN7rocprim17ROCPRIM_400000_NS6detail17trampoline_kernelINS0_14default_configENS1_32segmented_reduce_config_selectorIdEEZNS1_21segmented_reduce_implIS3_PKdPdPKidN6hipcub16HIPCUB_304000_NS6detail27convert_result_type_wrapperIS8_S9_N2at6native12_GLOBAL__N_19CustomMaxEEEEE10hipError_tPvRmT0_T1_jT2_SQ_T4_T3_P12ihipStream_tbEUlT_E_NS1_11comp_targetILNS1_3genE9ELNS1_11target_archE1100ELNS1_3gpuE3ELNS1_3repE0EEENS1_30default_config_static_selectorELNS0_4arch9wavefront6targetE0EEEvSP_,comdat
.Lfunc_end15:
	.size	_ZN7rocprim17ROCPRIM_400000_NS6detail17trampoline_kernelINS0_14default_configENS1_32segmented_reduce_config_selectorIdEEZNS1_21segmented_reduce_implIS3_PKdPdPKidN6hipcub16HIPCUB_304000_NS6detail27convert_result_type_wrapperIS8_S9_N2at6native12_GLOBAL__N_19CustomMaxEEEEE10hipError_tPvRmT0_T1_jT2_SQ_T4_T3_P12ihipStream_tbEUlT_E_NS1_11comp_targetILNS1_3genE9ELNS1_11target_archE1100ELNS1_3gpuE3ELNS1_3repE0EEENS1_30default_config_static_selectorELNS0_4arch9wavefront6targetE0EEEvSP_, .Lfunc_end15-_ZN7rocprim17ROCPRIM_400000_NS6detail17trampoline_kernelINS0_14default_configENS1_32segmented_reduce_config_selectorIdEEZNS1_21segmented_reduce_implIS3_PKdPdPKidN6hipcub16HIPCUB_304000_NS6detail27convert_result_type_wrapperIS8_S9_N2at6native12_GLOBAL__N_19CustomMaxEEEEE10hipError_tPvRmT0_T1_jT2_SQ_T4_T3_P12ihipStream_tbEUlT_E_NS1_11comp_targetILNS1_3genE9ELNS1_11target_archE1100ELNS1_3gpuE3ELNS1_3repE0EEENS1_30default_config_static_selectorELNS0_4arch9wavefront6targetE0EEEvSP_
                                        ; -- End function
	.section	.AMDGPU.csdata,"",@progbits
; Kernel info:
; codeLenInByte = 8340
; NumSgprs: 20
; NumVgprs: 50
; ScratchSize: 0
; MemoryBound: 1
; FloatMode: 240
; IeeeMode: 1
; LDSByteSize: 64 bytes/workgroup (compile time only)
; SGPRBlocks: 2
; VGPRBlocks: 6
; NumSGPRsForWavesPerEU: 20
; NumVGPRsForWavesPerEU: 50
; Occupancy: 16
; WaveLimiterHint : 1
; COMPUTE_PGM_RSRC2:SCRATCH_EN: 0
; COMPUTE_PGM_RSRC2:USER_SGPR: 15
; COMPUTE_PGM_RSRC2:TRAP_HANDLER: 0
; COMPUTE_PGM_RSRC2:TGID_X_EN: 1
; COMPUTE_PGM_RSRC2:TGID_Y_EN: 0
; COMPUTE_PGM_RSRC2:TGID_Z_EN: 0
; COMPUTE_PGM_RSRC2:TIDIG_COMP_CNT: 0
	.section	.text._ZN7rocprim17ROCPRIM_400000_NS6detail17trampoline_kernelINS0_14default_configENS1_32segmented_reduce_config_selectorIdEEZNS1_21segmented_reduce_implIS3_PKdPdPKidN6hipcub16HIPCUB_304000_NS6detail27convert_result_type_wrapperIS8_S9_N2at6native12_GLOBAL__N_19CustomMaxEEEEE10hipError_tPvRmT0_T1_jT2_SQ_T4_T3_P12ihipStream_tbEUlT_E_NS1_11comp_targetILNS1_3genE8ELNS1_11target_archE1030ELNS1_3gpuE2ELNS1_3repE0EEENS1_30default_config_static_selectorELNS0_4arch9wavefront6targetE0EEEvSP_,"axG",@progbits,_ZN7rocprim17ROCPRIM_400000_NS6detail17trampoline_kernelINS0_14default_configENS1_32segmented_reduce_config_selectorIdEEZNS1_21segmented_reduce_implIS3_PKdPdPKidN6hipcub16HIPCUB_304000_NS6detail27convert_result_type_wrapperIS8_S9_N2at6native12_GLOBAL__N_19CustomMaxEEEEE10hipError_tPvRmT0_T1_jT2_SQ_T4_T3_P12ihipStream_tbEUlT_E_NS1_11comp_targetILNS1_3genE8ELNS1_11target_archE1030ELNS1_3gpuE2ELNS1_3repE0EEENS1_30default_config_static_selectorELNS0_4arch9wavefront6targetE0EEEvSP_,comdat
	.globl	_ZN7rocprim17ROCPRIM_400000_NS6detail17trampoline_kernelINS0_14default_configENS1_32segmented_reduce_config_selectorIdEEZNS1_21segmented_reduce_implIS3_PKdPdPKidN6hipcub16HIPCUB_304000_NS6detail27convert_result_type_wrapperIS8_S9_N2at6native12_GLOBAL__N_19CustomMaxEEEEE10hipError_tPvRmT0_T1_jT2_SQ_T4_T3_P12ihipStream_tbEUlT_E_NS1_11comp_targetILNS1_3genE8ELNS1_11target_archE1030ELNS1_3gpuE2ELNS1_3repE0EEENS1_30default_config_static_selectorELNS0_4arch9wavefront6targetE0EEEvSP_ ; -- Begin function _ZN7rocprim17ROCPRIM_400000_NS6detail17trampoline_kernelINS0_14default_configENS1_32segmented_reduce_config_selectorIdEEZNS1_21segmented_reduce_implIS3_PKdPdPKidN6hipcub16HIPCUB_304000_NS6detail27convert_result_type_wrapperIS8_S9_N2at6native12_GLOBAL__N_19CustomMaxEEEEE10hipError_tPvRmT0_T1_jT2_SQ_T4_T3_P12ihipStream_tbEUlT_E_NS1_11comp_targetILNS1_3genE8ELNS1_11target_archE1030ELNS1_3gpuE2ELNS1_3repE0EEENS1_30default_config_static_selectorELNS0_4arch9wavefront6targetE0EEEvSP_
	.p2align	8
	.type	_ZN7rocprim17ROCPRIM_400000_NS6detail17trampoline_kernelINS0_14default_configENS1_32segmented_reduce_config_selectorIdEEZNS1_21segmented_reduce_implIS3_PKdPdPKidN6hipcub16HIPCUB_304000_NS6detail27convert_result_type_wrapperIS8_S9_N2at6native12_GLOBAL__N_19CustomMaxEEEEE10hipError_tPvRmT0_T1_jT2_SQ_T4_T3_P12ihipStream_tbEUlT_E_NS1_11comp_targetILNS1_3genE8ELNS1_11target_archE1030ELNS1_3gpuE2ELNS1_3repE0EEENS1_30default_config_static_selectorELNS0_4arch9wavefront6targetE0EEEvSP_,@function
_ZN7rocprim17ROCPRIM_400000_NS6detail17trampoline_kernelINS0_14default_configENS1_32segmented_reduce_config_selectorIdEEZNS1_21segmented_reduce_implIS3_PKdPdPKidN6hipcub16HIPCUB_304000_NS6detail27convert_result_type_wrapperIS8_S9_N2at6native12_GLOBAL__N_19CustomMaxEEEEE10hipError_tPvRmT0_T1_jT2_SQ_T4_T3_P12ihipStream_tbEUlT_E_NS1_11comp_targetILNS1_3genE8ELNS1_11target_archE1030ELNS1_3gpuE2ELNS1_3repE0EEENS1_30default_config_static_selectorELNS0_4arch9wavefront6targetE0EEEvSP_: ; @_ZN7rocprim17ROCPRIM_400000_NS6detail17trampoline_kernelINS0_14default_configENS1_32segmented_reduce_config_selectorIdEEZNS1_21segmented_reduce_implIS3_PKdPdPKidN6hipcub16HIPCUB_304000_NS6detail27convert_result_type_wrapperIS8_S9_N2at6native12_GLOBAL__N_19CustomMaxEEEEE10hipError_tPvRmT0_T1_jT2_SQ_T4_T3_P12ihipStream_tbEUlT_E_NS1_11comp_targetILNS1_3genE8ELNS1_11target_archE1030ELNS1_3gpuE2ELNS1_3repE0EEENS1_30default_config_static_selectorELNS0_4arch9wavefront6targetE0EEEvSP_
; %bb.0:
	.section	.rodata,"a",@progbits
	.p2align	6, 0x0
	.amdhsa_kernel _ZN7rocprim17ROCPRIM_400000_NS6detail17trampoline_kernelINS0_14default_configENS1_32segmented_reduce_config_selectorIdEEZNS1_21segmented_reduce_implIS3_PKdPdPKidN6hipcub16HIPCUB_304000_NS6detail27convert_result_type_wrapperIS8_S9_N2at6native12_GLOBAL__N_19CustomMaxEEEEE10hipError_tPvRmT0_T1_jT2_SQ_T4_T3_P12ihipStream_tbEUlT_E_NS1_11comp_targetILNS1_3genE8ELNS1_11target_archE1030ELNS1_3gpuE2ELNS1_3repE0EEENS1_30default_config_static_selectorELNS0_4arch9wavefront6targetE0EEEvSP_
		.amdhsa_group_segment_fixed_size 0
		.amdhsa_private_segment_fixed_size 0
		.amdhsa_kernarg_size 56
		.amdhsa_user_sgpr_count 15
		.amdhsa_user_sgpr_dispatch_ptr 0
		.amdhsa_user_sgpr_queue_ptr 0
		.amdhsa_user_sgpr_kernarg_segment_ptr 1
		.amdhsa_user_sgpr_dispatch_id 0
		.amdhsa_user_sgpr_private_segment_size 0
		.amdhsa_wavefront_size32 1
		.amdhsa_uses_dynamic_stack 0
		.amdhsa_enable_private_segment 0
		.amdhsa_system_sgpr_workgroup_id_x 1
		.amdhsa_system_sgpr_workgroup_id_y 0
		.amdhsa_system_sgpr_workgroup_id_z 0
		.amdhsa_system_sgpr_workgroup_info 0
		.amdhsa_system_vgpr_workitem_id 0
		.amdhsa_next_free_vgpr 1
		.amdhsa_next_free_sgpr 1
		.amdhsa_reserve_vcc 0
		.amdhsa_float_round_mode_32 0
		.amdhsa_float_round_mode_16_64 0
		.amdhsa_float_denorm_mode_32 3
		.amdhsa_float_denorm_mode_16_64 3
		.amdhsa_dx10_clamp 1
		.amdhsa_ieee_mode 1
		.amdhsa_fp16_overflow 0
		.amdhsa_workgroup_processor_mode 1
		.amdhsa_memory_ordered 1
		.amdhsa_forward_progress 0
		.amdhsa_shared_vgpr_count 0
		.amdhsa_exception_fp_ieee_invalid_op 0
		.amdhsa_exception_fp_denorm_src 0
		.amdhsa_exception_fp_ieee_div_zero 0
		.amdhsa_exception_fp_ieee_overflow 0
		.amdhsa_exception_fp_ieee_underflow 0
		.amdhsa_exception_fp_ieee_inexact 0
		.amdhsa_exception_int_div_zero 0
	.end_amdhsa_kernel
	.section	.text._ZN7rocprim17ROCPRIM_400000_NS6detail17trampoline_kernelINS0_14default_configENS1_32segmented_reduce_config_selectorIdEEZNS1_21segmented_reduce_implIS3_PKdPdPKidN6hipcub16HIPCUB_304000_NS6detail27convert_result_type_wrapperIS8_S9_N2at6native12_GLOBAL__N_19CustomMaxEEEEE10hipError_tPvRmT0_T1_jT2_SQ_T4_T3_P12ihipStream_tbEUlT_E_NS1_11comp_targetILNS1_3genE8ELNS1_11target_archE1030ELNS1_3gpuE2ELNS1_3repE0EEENS1_30default_config_static_selectorELNS0_4arch9wavefront6targetE0EEEvSP_,"axG",@progbits,_ZN7rocprim17ROCPRIM_400000_NS6detail17trampoline_kernelINS0_14default_configENS1_32segmented_reduce_config_selectorIdEEZNS1_21segmented_reduce_implIS3_PKdPdPKidN6hipcub16HIPCUB_304000_NS6detail27convert_result_type_wrapperIS8_S9_N2at6native12_GLOBAL__N_19CustomMaxEEEEE10hipError_tPvRmT0_T1_jT2_SQ_T4_T3_P12ihipStream_tbEUlT_E_NS1_11comp_targetILNS1_3genE8ELNS1_11target_archE1030ELNS1_3gpuE2ELNS1_3repE0EEENS1_30default_config_static_selectorELNS0_4arch9wavefront6targetE0EEEvSP_,comdat
.Lfunc_end16:
	.size	_ZN7rocprim17ROCPRIM_400000_NS6detail17trampoline_kernelINS0_14default_configENS1_32segmented_reduce_config_selectorIdEEZNS1_21segmented_reduce_implIS3_PKdPdPKidN6hipcub16HIPCUB_304000_NS6detail27convert_result_type_wrapperIS8_S9_N2at6native12_GLOBAL__N_19CustomMaxEEEEE10hipError_tPvRmT0_T1_jT2_SQ_T4_T3_P12ihipStream_tbEUlT_E_NS1_11comp_targetILNS1_3genE8ELNS1_11target_archE1030ELNS1_3gpuE2ELNS1_3repE0EEENS1_30default_config_static_selectorELNS0_4arch9wavefront6targetE0EEEvSP_, .Lfunc_end16-_ZN7rocprim17ROCPRIM_400000_NS6detail17trampoline_kernelINS0_14default_configENS1_32segmented_reduce_config_selectorIdEEZNS1_21segmented_reduce_implIS3_PKdPdPKidN6hipcub16HIPCUB_304000_NS6detail27convert_result_type_wrapperIS8_S9_N2at6native12_GLOBAL__N_19CustomMaxEEEEE10hipError_tPvRmT0_T1_jT2_SQ_T4_T3_P12ihipStream_tbEUlT_E_NS1_11comp_targetILNS1_3genE8ELNS1_11target_archE1030ELNS1_3gpuE2ELNS1_3repE0EEENS1_30default_config_static_selectorELNS0_4arch9wavefront6targetE0EEEvSP_
                                        ; -- End function
	.section	.AMDGPU.csdata,"",@progbits
; Kernel info:
; codeLenInByte = 0
; NumSgprs: 0
; NumVgprs: 0
; ScratchSize: 0
; MemoryBound: 0
; FloatMode: 240
; IeeeMode: 1
; LDSByteSize: 0 bytes/workgroup (compile time only)
; SGPRBlocks: 0
; VGPRBlocks: 0
; NumSGPRsForWavesPerEU: 1
; NumVGPRsForWavesPerEU: 1
; Occupancy: 16
; WaveLimiterHint : 0
; COMPUTE_PGM_RSRC2:SCRATCH_EN: 0
; COMPUTE_PGM_RSRC2:USER_SGPR: 15
; COMPUTE_PGM_RSRC2:TRAP_HANDLER: 0
; COMPUTE_PGM_RSRC2:TGID_X_EN: 1
; COMPUTE_PGM_RSRC2:TGID_Y_EN: 0
; COMPUTE_PGM_RSRC2:TGID_Z_EN: 0
; COMPUTE_PGM_RSRC2:TIDIG_COMP_CNT: 0
	.section	.text._ZN7rocprim17ROCPRIM_400000_NS6detail17trampoline_kernelINS0_14default_configENS1_32segmented_reduce_config_selectorIdEEZNS1_21segmented_reduce_implIS3_PKdPdPKidN6hipcub16HIPCUB_304000_NS6detail27convert_result_type_wrapperIS8_S9_N2at6native12_GLOBAL__N_19CustomSumEEEEE10hipError_tPvRmT0_T1_jT2_SQ_T4_T3_P12ihipStream_tbEUlT_E_NS1_11comp_targetILNS1_3genE0ELNS1_11target_archE4294967295ELNS1_3gpuE0ELNS1_3repE0EEENS1_30default_config_static_selectorELNS0_4arch9wavefront6targetE0EEEvSP_,"axG",@progbits,_ZN7rocprim17ROCPRIM_400000_NS6detail17trampoline_kernelINS0_14default_configENS1_32segmented_reduce_config_selectorIdEEZNS1_21segmented_reduce_implIS3_PKdPdPKidN6hipcub16HIPCUB_304000_NS6detail27convert_result_type_wrapperIS8_S9_N2at6native12_GLOBAL__N_19CustomSumEEEEE10hipError_tPvRmT0_T1_jT2_SQ_T4_T3_P12ihipStream_tbEUlT_E_NS1_11comp_targetILNS1_3genE0ELNS1_11target_archE4294967295ELNS1_3gpuE0ELNS1_3repE0EEENS1_30default_config_static_selectorELNS0_4arch9wavefront6targetE0EEEvSP_,comdat
	.globl	_ZN7rocprim17ROCPRIM_400000_NS6detail17trampoline_kernelINS0_14default_configENS1_32segmented_reduce_config_selectorIdEEZNS1_21segmented_reduce_implIS3_PKdPdPKidN6hipcub16HIPCUB_304000_NS6detail27convert_result_type_wrapperIS8_S9_N2at6native12_GLOBAL__N_19CustomSumEEEEE10hipError_tPvRmT0_T1_jT2_SQ_T4_T3_P12ihipStream_tbEUlT_E_NS1_11comp_targetILNS1_3genE0ELNS1_11target_archE4294967295ELNS1_3gpuE0ELNS1_3repE0EEENS1_30default_config_static_selectorELNS0_4arch9wavefront6targetE0EEEvSP_ ; -- Begin function _ZN7rocprim17ROCPRIM_400000_NS6detail17trampoline_kernelINS0_14default_configENS1_32segmented_reduce_config_selectorIdEEZNS1_21segmented_reduce_implIS3_PKdPdPKidN6hipcub16HIPCUB_304000_NS6detail27convert_result_type_wrapperIS8_S9_N2at6native12_GLOBAL__N_19CustomSumEEEEE10hipError_tPvRmT0_T1_jT2_SQ_T4_T3_P12ihipStream_tbEUlT_E_NS1_11comp_targetILNS1_3genE0ELNS1_11target_archE4294967295ELNS1_3gpuE0ELNS1_3repE0EEENS1_30default_config_static_selectorELNS0_4arch9wavefront6targetE0EEEvSP_
	.p2align	8
	.type	_ZN7rocprim17ROCPRIM_400000_NS6detail17trampoline_kernelINS0_14default_configENS1_32segmented_reduce_config_selectorIdEEZNS1_21segmented_reduce_implIS3_PKdPdPKidN6hipcub16HIPCUB_304000_NS6detail27convert_result_type_wrapperIS8_S9_N2at6native12_GLOBAL__N_19CustomSumEEEEE10hipError_tPvRmT0_T1_jT2_SQ_T4_T3_P12ihipStream_tbEUlT_E_NS1_11comp_targetILNS1_3genE0ELNS1_11target_archE4294967295ELNS1_3gpuE0ELNS1_3repE0EEENS1_30default_config_static_selectorELNS0_4arch9wavefront6targetE0EEEvSP_,@function
_ZN7rocprim17ROCPRIM_400000_NS6detail17trampoline_kernelINS0_14default_configENS1_32segmented_reduce_config_selectorIdEEZNS1_21segmented_reduce_implIS3_PKdPdPKidN6hipcub16HIPCUB_304000_NS6detail27convert_result_type_wrapperIS8_S9_N2at6native12_GLOBAL__N_19CustomSumEEEEE10hipError_tPvRmT0_T1_jT2_SQ_T4_T3_P12ihipStream_tbEUlT_E_NS1_11comp_targetILNS1_3genE0ELNS1_11target_archE4294967295ELNS1_3gpuE0ELNS1_3repE0EEENS1_30default_config_static_selectorELNS0_4arch9wavefront6targetE0EEEvSP_: ; @_ZN7rocprim17ROCPRIM_400000_NS6detail17trampoline_kernelINS0_14default_configENS1_32segmented_reduce_config_selectorIdEEZNS1_21segmented_reduce_implIS3_PKdPdPKidN6hipcub16HIPCUB_304000_NS6detail27convert_result_type_wrapperIS8_S9_N2at6native12_GLOBAL__N_19CustomSumEEEEE10hipError_tPvRmT0_T1_jT2_SQ_T4_T3_P12ihipStream_tbEUlT_E_NS1_11comp_targetILNS1_3genE0ELNS1_11target_archE4294967295ELNS1_3gpuE0ELNS1_3repE0EEENS1_30default_config_static_selectorELNS0_4arch9wavefront6targetE0EEEvSP_
; %bb.0:
	.section	.rodata,"a",@progbits
	.p2align	6, 0x0
	.amdhsa_kernel _ZN7rocprim17ROCPRIM_400000_NS6detail17trampoline_kernelINS0_14default_configENS1_32segmented_reduce_config_selectorIdEEZNS1_21segmented_reduce_implIS3_PKdPdPKidN6hipcub16HIPCUB_304000_NS6detail27convert_result_type_wrapperIS8_S9_N2at6native12_GLOBAL__N_19CustomSumEEEEE10hipError_tPvRmT0_T1_jT2_SQ_T4_T3_P12ihipStream_tbEUlT_E_NS1_11comp_targetILNS1_3genE0ELNS1_11target_archE4294967295ELNS1_3gpuE0ELNS1_3repE0EEENS1_30default_config_static_selectorELNS0_4arch9wavefront6targetE0EEEvSP_
		.amdhsa_group_segment_fixed_size 0
		.amdhsa_private_segment_fixed_size 0
		.amdhsa_kernarg_size 56
		.amdhsa_user_sgpr_count 15
		.amdhsa_user_sgpr_dispatch_ptr 0
		.amdhsa_user_sgpr_queue_ptr 0
		.amdhsa_user_sgpr_kernarg_segment_ptr 1
		.amdhsa_user_sgpr_dispatch_id 0
		.amdhsa_user_sgpr_private_segment_size 0
		.amdhsa_wavefront_size32 1
		.amdhsa_uses_dynamic_stack 0
		.amdhsa_enable_private_segment 0
		.amdhsa_system_sgpr_workgroup_id_x 1
		.amdhsa_system_sgpr_workgroup_id_y 0
		.amdhsa_system_sgpr_workgroup_id_z 0
		.amdhsa_system_sgpr_workgroup_info 0
		.amdhsa_system_vgpr_workitem_id 0
		.amdhsa_next_free_vgpr 1
		.amdhsa_next_free_sgpr 1
		.amdhsa_reserve_vcc 0
		.amdhsa_float_round_mode_32 0
		.amdhsa_float_round_mode_16_64 0
		.amdhsa_float_denorm_mode_32 3
		.amdhsa_float_denorm_mode_16_64 3
		.amdhsa_dx10_clamp 1
		.amdhsa_ieee_mode 1
		.amdhsa_fp16_overflow 0
		.amdhsa_workgroup_processor_mode 1
		.amdhsa_memory_ordered 1
		.amdhsa_forward_progress 0
		.amdhsa_shared_vgpr_count 0
		.amdhsa_exception_fp_ieee_invalid_op 0
		.amdhsa_exception_fp_denorm_src 0
		.amdhsa_exception_fp_ieee_div_zero 0
		.amdhsa_exception_fp_ieee_overflow 0
		.amdhsa_exception_fp_ieee_underflow 0
		.amdhsa_exception_fp_ieee_inexact 0
		.amdhsa_exception_int_div_zero 0
	.end_amdhsa_kernel
	.section	.text._ZN7rocprim17ROCPRIM_400000_NS6detail17trampoline_kernelINS0_14default_configENS1_32segmented_reduce_config_selectorIdEEZNS1_21segmented_reduce_implIS3_PKdPdPKidN6hipcub16HIPCUB_304000_NS6detail27convert_result_type_wrapperIS8_S9_N2at6native12_GLOBAL__N_19CustomSumEEEEE10hipError_tPvRmT0_T1_jT2_SQ_T4_T3_P12ihipStream_tbEUlT_E_NS1_11comp_targetILNS1_3genE0ELNS1_11target_archE4294967295ELNS1_3gpuE0ELNS1_3repE0EEENS1_30default_config_static_selectorELNS0_4arch9wavefront6targetE0EEEvSP_,"axG",@progbits,_ZN7rocprim17ROCPRIM_400000_NS6detail17trampoline_kernelINS0_14default_configENS1_32segmented_reduce_config_selectorIdEEZNS1_21segmented_reduce_implIS3_PKdPdPKidN6hipcub16HIPCUB_304000_NS6detail27convert_result_type_wrapperIS8_S9_N2at6native12_GLOBAL__N_19CustomSumEEEEE10hipError_tPvRmT0_T1_jT2_SQ_T4_T3_P12ihipStream_tbEUlT_E_NS1_11comp_targetILNS1_3genE0ELNS1_11target_archE4294967295ELNS1_3gpuE0ELNS1_3repE0EEENS1_30default_config_static_selectorELNS0_4arch9wavefront6targetE0EEEvSP_,comdat
.Lfunc_end17:
	.size	_ZN7rocprim17ROCPRIM_400000_NS6detail17trampoline_kernelINS0_14default_configENS1_32segmented_reduce_config_selectorIdEEZNS1_21segmented_reduce_implIS3_PKdPdPKidN6hipcub16HIPCUB_304000_NS6detail27convert_result_type_wrapperIS8_S9_N2at6native12_GLOBAL__N_19CustomSumEEEEE10hipError_tPvRmT0_T1_jT2_SQ_T4_T3_P12ihipStream_tbEUlT_E_NS1_11comp_targetILNS1_3genE0ELNS1_11target_archE4294967295ELNS1_3gpuE0ELNS1_3repE0EEENS1_30default_config_static_selectorELNS0_4arch9wavefront6targetE0EEEvSP_, .Lfunc_end17-_ZN7rocprim17ROCPRIM_400000_NS6detail17trampoline_kernelINS0_14default_configENS1_32segmented_reduce_config_selectorIdEEZNS1_21segmented_reduce_implIS3_PKdPdPKidN6hipcub16HIPCUB_304000_NS6detail27convert_result_type_wrapperIS8_S9_N2at6native12_GLOBAL__N_19CustomSumEEEEE10hipError_tPvRmT0_T1_jT2_SQ_T4_T3_P12ihipStream_tbEUlT_E_NS1_11comp_targetILNS1_3genE0ELNS1_11target_archE4294967295ELNS1_3gpuE0ELNS1_3repE0EEENS1_30default_config_static_selectorELNS0_4arch9wavefront6targetE0EEEvSP_
                                        ; -- End function
	.section	.AMDGPU.csdata,"",@progbits
; Kernel info:
; codeLenInByte = 0
; NumSgprs: 0
; NumVgprs: 0
; ScratchSize: 0
; MemoryBound: 0
; FloatMode: 240
; IeeeMode: 1
; LDSByteSize: 0 bytes/workgroup (compile time only)
; SGPRBlocks: 0
; VGPRBlocks: 0
; NumSGPRsForWavesPerEU: 1
; NumVGPRsForWavesPerEU: 1
; Occupancy: 16
; WaveLimiterHint : 0
; COMPUTE_PGM_RSRC2:SCRATCH_EN: 0
; COMPUTE_PGM_RSRC2:USER_SGPR: 15
; COMPUTE_PGM_RSRC2:TRAP_HANDLER: 0
; COMPUTE_PGM_RSRC2:TGID_X_EN: 1
; COMPUTE_PGM_RSRC2:TGID_Y_EN: 0
; COMPUTE_PGM_RSRC2:TGID_Z_EN: 0
; COMPUTE_PGM_RSRC2:TIDIG_COMP_CNT: 0
	.section	.text._ZN7rocprim17ROCPRIM_400000_NS6detail17trampoline_kernelINS0_14default_configENS1_32segmented_reduce_config_selectorIdEEZNS1_21segmented_reduce_implIS3_PKdPdPKidN6hipcub16HIPCUB_304000_NS6detail27convert_result_type_wrapperIS8_S9_N2at6native12_GLOBAL__N_19CustomSumEEEEE10hipError_tPvRmT0_T1_jT2_SQ_T4_T3_P12ihipStream_tbEUlT_E_NS1_11comp_targetILNS1_3genE5ELNS1_11target_archE942ELNS1_3gpuE9ELNS1_3repE0EEENS1_30default_config_static_selectorELNS0_4arch9wavefront6targetE0EEEvSP_,"axG",@progbits,_ZN7rocprim17ROCPRIM_400000_NS6detail17trampoline_kernelINS0_14default_configENS1_32segmented_reduce_config_selectorIdEEZNS1_21segmented_reduce_implIS3_PKdPdPKidN6hipcub16HIPCUB_304000_NS6detail27convert_result_type_wrapperIS8_S9_N2at6native12_GLOBAL__N_19CustomSumEEEEE10hipError_tPvRmT0_T1_jT2_SQ_T4_T3_P12ihipStream_tbEUlT_E_NS1_11comp_targetILNS1_3genE5ELNS1_11target_archE942ELNS1_3gpuE9ELNS1_3repE0EEENS1_30default_config_static_selectorELNS0_4arch9wavefront6targetE0EEEvSP_,comdat
	.globl	_ZN7rocprim17ROCPRIM_400000_NS6detail17trampoline_kernelINS0_14default_configENS1_32segmented_reduce_config_selectorIdEEZNS1_21segmented_reduce_implIS3_PKdPdPKidN6hipcub16HIPCUB_304000_NS6detail27convert_result_type_wrapperIS8_S9_N2at6native12_GLOBAL__N_19CustomSumEEEEE10hipError_tPvRmT0_T1_jT2_SQ_T4_T3_P12ihipStream_tbEUlT_E_NS1_11comp_targetILNS1_3genE5ELNS1_11target_archE942ELNS1_3gpuE9ELNS1_3repE0EEENS1_30default_config_static_selectorELNS0_4arch9wavefront6targetE0EEEvSP_ ; -- Begin function _ZN7rocprim17ROCPRIM_400000_NS6detail17trampoline_kernelINS0_14default_configENS1_32segmented_reduce_config_selectorIdEEZNS1_21segmented_reduce_implIS3_PKdPdPKidN6hipcub16HIPCUB_304000_NS6detail27convert_result_type_wrapperIS8_S9_N2at6native12_GLOBAL__N_19CustomSumEEEEE10hipError_tPvRmT0_T1_jT2_SQ_T4_T3_P12ihipStream_tbEUlT_E_NS1_11comp_targetILNS1_3genE5ELNS1_11target_archE942ELNS1_3gpuE9ELNS1_3repE0EEENS1_30default_config_static_selectorELNS0_4arch9wavefront6targetE0EEEvSP_
	.p2align	8
	.type	_ZN7rocprim17ROCPRIM_400000_NS6detail17trampoline_kernelINS0_14default_configENS1_32segmented_reduce_config_selectorIdEEZNS1_21segmented_reduce_implIS3_PKdPdPKidN6hipcub16HIPCUB_304000_NS6detail27convert_result_type_wrapperIS8_S9_N2at6native12_GLOBAL__N_19CustomSumEEEEE10hipError_tPvRmT0_T1_jT2_SQ_T4_T3_P12ihipStream_tbEUlT_E_NS1_11comp_targetILNS1_3genE5ELNS1_11target_archE942ELNS1_3gpuE9ELNS1_3repE0EEENS1_30default_config_static_selectorELNS0_4arch9wavefront6targetE0EEEvSP_,@function
_ZN7rocprim17ROCPRIM_400000_NS6detail17trampoline_kernelINS0_14default_configENS1_32segmented_reduce_config_selectorIdEEZNS1_21segmented_reduce_implIS3_PKdPdPKidN6hipcub16HIPCUB_304000_NS6detail27convert_result_type_wrapperIS8_S9_N2at6native12_GLOBAL__N_19CustomSumEEEEE10hipError_tPvRmT0_T1_jT2_SQ_T4_T3_P12ihipStream_tbEUlT_E_NS1_11comp_targetILNS1_3genE5ELNS1_11target_archE942ELNS1_3gpuE9ELNS1_3repE0EEENS1_30default_config_static_selectorELNS0_4arch9wavefront6targetE0EEEvSP_: ; @_ZN7rocprim17ROCPRIM_400000_NS6detail17trampoline_kernelINS0_14default_configENS1_32segmented_reduce_config_selectorIdEEZNS1_21segmented_reduce_implIS3_PKdPdPKidN6hipcub16HIPCUB_304000_NS6detail27convert_result_type_wrapperIS8_S9_N2at6native12_GLOBAL__N_19CustomSumEEEEE10hipError_tPvRmT0_T1_jT2_SQ_T4_T3_P12ihipStream_tbEUlT_E_NS1_11comp_targetILNS1_3genE5ELNS1_11target_archE942ELNS1_3gpuE9ELNS1_3repE0EEENS1_30default_config_static_selectorELNS0_4arch9wavefront6targetE0EEEvSP_
; %bb.0:
	.section	.rodata,"a",@progbits
	.p2align	6, 0x0
	.amdhsa_kernel _ZN7rocprim17ROCPRIM_400000_NS6detail17trampoline_kernelINS0_14default_configENS1_32segmented_reduce_config_selectorIdEEZNS1_21segmented_reduce_implIS3_PKdPdPKidN6hipcub16HIPCUB_304000_NS6detail27convert_result_type_wrapperIS8_S9_N2at6native12_GLOBAL__N_19CustomSumEEEEE10hipError_tPvRmT0_T1_jT2_SQ_T4_T3_P12ihipStream_tbEUlT_E_NS1_11comp_targetILNS1_3genE5ELNS1_11target_archE942ELNS1_3gpuE9ELNS1_3repE0EEENS1_30default_config_static_selectorELNS0_4arch9wavefront6targetE0EEEvSP_
		.amdhsa_group_segment_fixed_size 0
		.amdhsa_private_segment_fixed_size 0
		.amdhsa_kernarg_size 56
		.amdhsa_user_sgpr_count 15
		.amdhsa_user_sgpr_dispatch_ptr 0
		.amdhsa_user_sgpr_queue_ptr 0
		.amdhsa_user_sgpr_kernarg_segment_ptr 1
		.amdhsa_user_sgpr_dispatch_id 0
		.amdhsa_user_sgpr_private_segment_size 0
		.amdhsa_wavefront_size32 1
		.amdhsa_uses_dynamic_stack 0
		.amdhsa_enable_private_segment 0
		.amdhsa_system_sgpr_workgroup_id_x 1
		.amdhsa_system_sgpr_workgroup_id_y 0
		.amdhsa_system_sgpr_workgroup_id_z 0
		.amdhsa_system_sgpr_workgroup_info 0
		.amdhsa_system_vgpr_workitem_id 0
		.amdhsa_next_free_vgpr 1
		.amdhsa_next_free_sgpr 1
		.amdhsa_reserve_vcc 0
		.amdhsa_float_round_mode_32 0
		.amdhsa_float_round_mode_16_64 0
		.amdhsa_float_denorm_mode_32 3
		.amdhsa_float_denorm_mode_16_64 3
		.amdhsa_dx10_clamp 1
		.amdhsa_ieee_mode 1
		.amdhsa_fp16_overflow 0
		.amdhsa_workgroup_processor_mode 1
		.amdhsa_memory_ordered 1
		.amdhsa_forward_progress 0
		.amdhsa_shared_vgpr_count 0
		.amdhsa_exception_fp_ieee_invalid_op 0
		.amdhsa_exception_fp_denorm_src 0
		.amdhsa_exception_fp_ieee_div_zero 0
		.amdhsa_exception_fp_ieee_overflow 0
		.amdhsa_exception_fp_ieee_underflow 0
		.amdhsa_exception_fp_ieee_inexact 0
		.amdhsa_exception_int_div_zero 0
	.end_amdhsa_kernel
	.section	.text._ZN7rocprim17ROCPRIM_400000_NS6detail17trampoline_kernelINS0_14default_configENS1_32segmented_reduce_config_selectorIdEEZNS1_21segmented_reduce_implIS3_PKdPdPKidN6hipcub16HIPCUB_304000_NS6detail27convert_result_type_wrapperIS8_S9_N2at6native12_GLOBAL__N_19CustomSumEEEEE10hipError_tPvRmT0_T1_jT2_SQ_T4_T3_P12ihipStream_tbEUlT_E_NS1_11comp_targetILNS1_3genE5ELNS1_11target_archE942ELNS1_3gpuE9ELNS1_3repE0EEENS1_30default_config_static_selectorELNS0_4arch9wavefront6targetE0EEEvSP_,"axG",@progbits,_ZN7rocprim17ROCPRIM_400000_NS6detail17trampoline_kernelINS0_14default_configENS1_32segmented_reduce_config_selectorIdEEZNS1_21segmented_reduce_implIS3_PKdPdPKidN6hipcub16HIPCUB_304000_NS6detail27convert_result_type_wrapperIS8_S9_N2at6native12_GLOBAL__N_19CustomSumEEEEE10hipError_tPvRmT0_T1_jT2_SQ_T4_T3_P12ihipStream_tbEUlT_E_NS1_11comp_targetILNS1_3genE5ELNS1_11target_archE942ELNS1_3gpuE9ELNS1_3repE0EEENS1_30default_config_static_selectorELNS0_4arch9wavefront6targetE0EEEvSP_,comdat
.Lfunc_end18:
	.size	_ZN7rocprim17ROCPRIM_400000_NS6detail17trampoline_kernelINS0_14default_configENS1_32segmented_reduce_config_selectorIdEEZNS1_21segmented_reduce_implIS3_PKdPdPKidN6hipcub16HIPCUB_304000_NS6detail27convert_result_type_wrapperIS8_S9_N2at6native12_GLOBAL__N_19CustomSumEEEEE10hipError_tPvRmT0_T1_jT2_SQ_T4_T3_P12ihipStream_tbEUlT_E_NS1_11comp_targetILNS1_3genE5ELNS1_11target_archE942ELNS1_3gpuE9ELNS1_3repE0EEENS1_30default_config_static_selectorELNS0_4arch9wavefront6targetE0EEEvSP_, .Lfunc_end18-_ZN7rocprim17ROCPRIM_400000_NS6detail17trampoline_kernelINS0_14default_configENS1_32segmented_reduce_config_selectorIdEEZNS1_21segmented_reduce_implIS3_PKdPdPKidN6hipcub16HIPCUB_304000_NS6detail27convert_result_type_wrapperIS8_S9_N2at6native12_GLOBAL__N_19CustomSumEEEEE10hipError_tPvRmT0_T1_jT2_SQ_T4_T3_P12ihipStream_tbEUlT_E_NS1_11comp_targetILNS1_3genE5ELNS1_11target_archE942ELNS1_3gpuE9ELNS1_3repE0EEENS1_30default_config_static_selectorELNS0_4arch9wavefront6targetE0EEEvSP_
                                        ; -- End function
	.section	.AMDGPU.csdata,"",@progbits
; Kernel info:
; codeLenInByte = 0
; NumSgprs: 0
; NumVgprs: 0
; ScratchSize: 0
; MemoryBound: 0
; FloatMode: 240
; IeeeMode: 1
; LDSByteSize: 0 bytes/workgroup (compile time only)
; SGPRBlocks: 0
; VGPRBlocks: 0
; NumSGPRsForWavesPerEU: 1
; NumVGPRsForWavesPerEU: 1
; Occupancy: 16
; WaveLimiterHint : 0
; COMPUTE_PGM_RSRC2:SCRATCH_EN: 0
; COMPUTE_PGM_RSRC2:USER_SGPR: 15
; COMPUTE_PGM_RSRC2:TRAP_HANDLER: 0
; COMPUTE_PGM_RSRC2:TGID_X_EN: 1
; COMPUTE_PGM_RSRC2:TGID_Y_EN: 0
; COMPUTE_PGM_RSRC2:TGID_Z_EN: 0
; COMPUTE_PGM_RSRC2:TIDIG_COMP_CNT: 0
	.section	.text._ZN7rocprim17ROCPRIM_400000_NS6detail17trampoline_kernelINS0_14default_configENS1_32segmented_reduce_config_selectorIdEEZNS1_21segmented_reduce_implIS3_PKdPdPKidN6hipcub16HIPCUB_304000_NS6detail27convert_result_type_wrapperIS8_S9_N2at6native12_GLOBAL__N_19CustomSumEEEEE10hipError_tPvRmT0_T1_jT2_SQ_T4_T3_P12ihipStream_tbEUlT_E_NS1_11comp_targetILNS1_3genE10ELNS1_11target_archE1201ELNS1_3gpuE5ELNS1_3repE0EEENS1_30default_config_static_selectorELNS0_4arch9wavefront6targetE0EEEvSP_,"axG",@progbits,_ZN7rocprim17ROCPRIM_400000_NS6detail17trampoline_kernelINS0_14default_configENS1_32segmented_reduce_config_selectorIdEEZNS1_21segmented_reduce_implIS3_PKdPdPKidN6hipcub16HIPCUB_304000_NS6detail27convert_result_type_wrapperIS8_S9_N2at6native12_GLOBAL__N_19CustomSumEEEEE10hipError_tPvRmT0_T1_jT2_SQ_T4_T3_P12ihipStream_tbEUlT_E_NS1_11comp_targetILNS1_3genE10ELNS1_11target_archE1201ELNS1_3gpuE5ELNS1_3repE0EEENS1_30default_config_static_selectorELNS0_4arch9wavefront6targetE0EEEvSP_,comdat
	.globl	_ZN7rocprim17ROCPRIM_400000_NS6detail17trampoline_kernelINS0_14default_configENS1_32segmented_reduce_config_selectorIdEEZNS1_21segmented_reduce_implIS3_PKdPdPKidN6hipcub16HIPCUB_304000_NS6detail27convert_result_type_wrapperIS8_S9_N2at6native12_GLOBAL__N_19CustomSumEEEEE10hipError_tPvRmT0_T1_jT2_SQ_T4_T3_P12ihipStream_tbEUlT_E_NS1_11comp_targetILNS1_3genE10ELNS1_11target_archE1201ELNS1_3gpuE5ELNS1_3repE0EEENS1_30default_config_static_selectorELNS0_4arch9wavefront6targetE0EEEvSP_ ; -- Begin function _ZN7rocprim17ROCPRIM_400000_NS6detail17trampoline_kernelINS0_14default_configENS1_32segmented_reduce_config_selectorIdEEZNS1_21segmented_reduce_implIS3_PKdPdPKidN6hipcub16HIPCUB_304000_NS6detail27convert_result_type_wrapperIS8_S9_N2at6native12_GLOBAL__N_19CustomSumEEEEE10hipError_tPvRmT0_T1_jT2_SQ_T4_T3_P12ihipStream_tbEUlT_E_NS1_11comp_targetILNS1_3genE10ELNS1_11target_archE1201ELNS1_3gpuE5ELNS1_3repE0EEENS1_30default_config_static_selectorELNS0_4arch9wavefront6targetE0EEEvSP_
	.p2align	8
	.type	_ZN7rocprim17ROCPRIM_400000_NS6detail17trampoline_kernelINS0_14default_configENS1_32segmented_reduce_config_selectorIdEEZNS1_21segmented_reduce_implIS3_PKdPdPKidN6hipcub16HIPCUB_304000_NS6detail27convert_result_type_wrapperIS8_S9_N2at6native12_GLOBAL__N_19CustomSumEEEEE10hipError_tPvRmT0_T1_jT2_SQ_T4_T3_P12ihipStream_tbEUlT_E_NS1_11comp_targetILNS1_3genE10ELNS1_11target_archE1201ELNS1_3gpuE5ELNS1_3repE0EEENS1_30default_config_static_selectorELNS0_4arch9wavefront6targetE0EEEvSP_,@function
_ZN7rocprim17ROCPRIM_400000_NS6detail17trampoline_kernelINS0_14default_configENS1_32segmented_reduce_config_selectorIdEEZNS1_21segmented_reduce_implIS3_PKdPdPKidN6hipcub16HIPCUB_304000_NS6detail27convert_result_type_wrapperIS8_S9_N2at6native12_GLOBAL__N_19CustomSumEEEEE10hipError_tPvRmT0_T1_jT2_SQ_T4_T3_P12ihipStream_tbEUlT_E_NS1_11comp_targetILNS1_3genE10ELNS1_11target_archE1201ELNS1_3gpuE5ELNS1_3repE0EEENS1_30default_config_static_selectorELNS0_4arch9wavefront6targetE0EEEvSP_: ; @_ZN7rocprim17ROCPRIM_400000_NS6detail17trampoline_kernelINS0_14default_configENS1_32segmented_reduce_config_selectorIdEEZNS1_21segmented_reduce_implIS3_PKdPdPKidN6hipcub16HIPCUB_304000_NS6detail27convert_result_type_wrapperIS8_S9_N2at6native12_GLOBAL__N_19CustomSumEEEEE10hipError_tPvRmT0_T1_jT2_SQ_T4_T3_P12ihipStream_tbEUlT_E_NS1_11comp_targetILNS1_3genE10ELNS1_11target_archE1201ELNS1_3gpuE5ELNS1_3repE0EEENS1_30default_config_static_selectorELNS0_4arch9wavefront6targetE0EEEvSP_
; %bb.0:
	.section	.rodata,"a",@progbits
	.p2align	6, 0x0
	.amdhsa_kernel _ZN7rocprim17ROCPRIM_400000_NS6detail17trampoline_kernelINS0_14default_configENS1_32segmented_reduce_config_selectorIdEEZNS1_21segmented_reduce_implIS3_PKdPdPKidN6hipcub16HIPCUB_304000_NS6detail27convert_result_type_wrapperIS8_S9_N2at6native12_GLOBAL__N_19CustomSumEEEEE10hipError_tPvRmT0_T1_jT2_SQ_T4_T3_P12ihipStream_tbEUlT_E_NS1_11comp_targetILNS1_3genE10ELNS1_11target_archE1201ELNS1_3gpuE5ELNS1_3repE0EEENS1_30default_config_static_selectorELNS0_4arch9wavefront6targetE0EEEvSP_
		.amdhsa_group_segment_fixed_size 0
		.amdhsa_private_segment_fixed_size 0
		.amdhsa_kernarg_size 56
		.amdhsa_user_sgpr_count 15
		.amdhsa_user_sgpr_dispatch_ptr 0
		.amdhsa_user_sgpr_queue_ptr 0
		.amdhsa_user_sgpr_kernarg_segment_ptr 1
		.amdhsa_user_sgpr_dispatch_id 0
		.amdhsa_user_sgpr_private_segment_size 0
		.amdhsa_wavefront_size32 1
		.amdhsa_uses_dynamic_stack 0
		.amdhsa_enable_private_segment 0
		.amdhsa_system_sgpr_workgroup_id_x 1
		.amdhsa_system_sgpr_workgroup_id_y 0
		.amdhsa_system_sgpr_workgroup_id_z 0
		.amdhsa_system_sgpr_workgroup_info 0
		.amdhsa_system_vgpr_workitem_id 0
		.amdhsa_next_free_vgpr 1
		.amdhsa_next_free_sgpr 1
		.amdhsa_reserve_vcc 0
		.amdhsa_float_round_mode_32 0
		.amdhsa_float_round_mode_16_64 0
		.amdhsa_float_denorm_mode_32 3
		.amdhsa_float_denorm_mode_16_64 3
		.amdhsa_dx10_clamp 1
		.amdhsa_ieee_mode 1
		.amdhsa_fp16_overflow 0
		.amdhsa_workgroup_processor_mode 1
		.amdhsa_memory_ordered 1
		.amdhsa_forward_progress 0
		.amdhsa_shared_vgpr_count 0
		.amdhsa_exception_fp_ieee_invalid_op 0
		.amdhsa_exception_fp_denorm_src 0
		.amdhsa_exception_fp_ieee_div_zero 0
		.amdhsa_exception_fp_ieee_overflow 0
		.amdhsa_exception_fp_ieee_underflow 0
		.amdhsa_exception_fp_ieee_inexact 0
		.amdhsa_exception_int_div_zero 0
	.end_amdhsa_kernel
	.section	.text._ZN7rocprim17ROCPRIM_400000_NS6detail17trampoline_kernelINS0_14default_configENS1_32segmented_reduce_config_selectorIdEEZNS1_21segmented_reduce_implIS3_PKdPdPKidN6hipcub16HIPCUB_304000_NS6detail27convert_result_type_wrapperIS8_S9_N2at6native12_GLOBAL__N_19CustomSumEEEEE10hipError_tPvRmT0_T1_jT2_SQ_T4_T3_P12ihipStream_tbEUlT_E_NS1_11comp_targetILNS1_3genE10ELNS1_11target_archE1201ELNS1_3gpuE5ELNS1_3repE0EEENS1_30default_config_static_selectorELNS0_4arch9wavefront6targetE0EEEvSP_,"axG",@progbits,_ZN7rocprim17ROCPRIM_400000_NS6detail17trampoline_kernelINS0_14default_configENS1_32segmented_reduce_config_selectorIdEEZNS1_21segmented_reduce_implIS3_PKdPdPKidN6hipcub16HIPCUB_304000_NS6detail27convert_result_type_wrapperIS8_S9_N2at6native12_GLOBAL__N_19CustomSumEEEEE10hipError_tPvRmT0_T1_jT2_SQ_T4_T3_P12ihipStream_tbEUlT_E_NS1_11comp_targetILNS1_3genE10ELNS1_11target_archE1201ELNS1_3gpuE5ELNS1_3repE0EEENS1_30default_config_static_selectorELNS0_4arch9wavefront6targetE0EEEvSP_,comdat
.Lfunc_end19:
	.size	_ZN7rocprim17ROCPRIM_400000_NS6detail17trampoline_kernelINS0_14default_configENS1_32segmented_reduce_config_selectorIdEEZNS1_21segmented_reduce_implIS3_PKdPdPKidN6hipcub16HIPCUB_304000_NS6detail27convert_result_type_wrapperIS8_S9_N2at6native12_GLOBAL__N_19CustomSumEEEEE10hipError_tPvRmT0_T1_jT2_SQ_T4_T3_P12ihipStream_tbEUlT_E_NS1_11comp_targetILNS1_3genE10ELNS1_11target_archE1201ELNS1_3gpuE5ELNS1_3repE0EEENS1_30default_config_static_selectorELNS0_4arch9wavefront6targetE0EEEvSP_, .Lfunc_end19-_ZN7rocprim17ROCPRIM_400000_NS6detail17trampoline_kernelINS0_14default_configENS1_32segmented_reduce_config_selectorIdEEZNS1_21segmented_reduce_implIS3_PKdPdPKidN6hipcub16HIPCUB_304000_NS6detail27convert_result_type_wrapperIS8_S9_N2at6native12_GLOBAL__N_19CustomSumEEEEE10hipError_tPvRmT0_T1_jT2_SQ_T4_T3_P12ihipStream_tbEUlT_E_NS1_11comp_targetILNS1_3genE10ELNS1_11target_archE1201ELNS1_3gpuE5ELNS1_3repE0EEENS1_30default_config_static_selectorELNS0_4arch9wavefront6targetE0EEEvSP_
                                        ; -- End function
	.section	.AMDGPU.csdata,"",@progbits
; Kernel info:
; codeLenInByte = 0
; NumSgprs: 0
; NumVgprs: 0
; ScratchSize: 0
; MemoryBound: 0
; FloatMode: 240
; IeeeMode: 1
; LDSByteSize: 0 bytes/workgroup (compile time only)
; SGPRBlocks: 0
; VGPRBlocks: 0
; NumSGPRsForWavesPerEU: 1
; NumVGPRsForWavesPerEU: 1
; Occupancy: 16
; WaveLimiterHint : 0
; COMPUTE_PGM_RSRC2:SCRATCH_EN: 0
; COMPUTE_PGM_RSRC2:USER_SGPR: 15
; COMPUTE_PGM_RSRC2:TRAP_HANDLER: 0
; COMPUTE_PGM_RSRC2:TGID_X_EN: 1
; COMPUTE_PGM_RSRC2:TGID_Y_EN: 0
; COMPUTE_PGM_RSRC2:TGID_Z_EN: 0
; COMPUTE_PGM_RSRC2:TIDIG_COMP_CNT: 0
	.section	.text._ZN7rocprim17ROCPRIM_400000_NS6detail17trampoline_kernelINS0_14default_configENS1_32segmented_reduce_config_selectorIdEEZNS1_21segmented_reduce_implIS3_PKdPdPKidN6hipcub16HIPCUB_304000_NS6detail27convert_result_type_wrapperIS8_S9_N2at6native12_GLOBAL__N_19CustomSumEEEEE10hipError_tPvRmT0_T1_jT2_SQ_T4_T3_P12ihipStream_tbEUlT_E_NS1_11comp_targetILNS1_3genE4ELNS1_11target_archE910ELNS1_3gpuE8ELNS1_3repE0EEENS1_30default_config_static_selectorELNS0_4arch9wavefront6targetE0EEEvSP_,"axG",@progbits,_ZN7rocprim17ROCPRIM_400000_NS6detail17trampoline_kernelINS0_14default_configENS1_32segmented_reduce_config_selectorIdEEZNS1_21segmented_reduce_implIS3_PKdPdPKidN6hipcub16HIPCUB_304000_NS6detail27convert_result_type_wrapperIS8_S9_N2at6native12_GLOBAL__N_19CustomSumEEEEE10hipError_tPvRmT0_T1_jT2_SQ_T4_T3_P12ihipStream_tbEUlT_E_NS1_11comp_targetILNS1_3genE4ELNS1_11target_archE910ELNS1_3gpuE8ELNS1_3repE0EEENS1_30default_config_static_selectorELNS0_4arch9wavefront6targetE0EEEvSP_,comdat
	.globl	_ZN7rocprim17ROCPRIM_400000_NS6detail17trampoline_kernelINS0_14default_configENS1_32segmented_reduce_config_selectorIdEEZNS1_21segmented_reduce_implIS3_PKdPdPKidN6hipcub16HIPCUB_304000_NS6detail27convert_result_type_wrapperIS8_S9_N2at6native12_GLOBAL__N_19CustomSumEEEEE10hipError_tPvRmT0_T1_jT2_SQ_T4_T3_P12ihipStream_tbEUlT_E_NS1_11comp_targetILNS1_3genE4ELNS1_11target_archE910ELNS1_3gpuE8ELNS1_3repE0EEENS1_30default_config_static_selectorELNS0_4arch9wavefront6targetE0EEEvSP_ ; -- Begin function _ZN7rocprim17ROCPRIM_400000_NS6detail17trampoline_kernelINS0_14default_configENS1_32segmented_reduce_config_selectorIdEEZNS1_21segmented_reduce_implIS3_PKdPdPKidN6hipcub16HIPCUB_304000_NS6detail27convert_result_type_wrapperIS8_S9_N2at6native12_GLOBAL__N_19CustomSumEEEEE10hipError_tPvRmT0_T1_jT2_SQ_T4_T3_P12ihipStream_tbEUlT_E_NS1_11comp_targetILNS1_3genE4ELNS1_11target_archE910ELNS1_3gpuE8ELNS1_3repE0EEENS1_30default_config_static_selectorELNS0_4arch9wavefront6targetE0EEEvSP_
	.p2align	8
	.type	_ZN7rocprim17ROCPRIM_400000_NS6detail17trampoline_kernelINS0_14default_configENS1_32segmented_reduce_config_selectorIdEEZNS1_21segmented_reduce_implIS3_PKdPdPKidN6hipcub16HIPCUB_304000_NS6detail27convert_result_type_wrapperIS8_S9_N2at6native12_GLOBAL__N_19CustomSumEEEEE10hipError_tPvRmT0_T1_jT2_SQ_T4_T3_P12ihipStream_tbEUlT_E_NS1_11comp_targetILNS1_3genE4ELNS1_11target_archE910ELNS1_3gpuE8ELNS1_3repE0EEENS1_30default_config_static_selectorELNS0_4arch9wavefront6targetE0EEEvSP_,@function
_ZN7rocprim17ROCPRIM_400000_NS6detail17trampoline_kernelINS0_14default_configENS1_32segmented_reduce_config_selectorIdEEZNS1_21segmented_reduce_implIS3_PKdPdPKidN6hipcub16HIPCUB_304000_NS6detail27convert_result_type_wrapperIS8_S9_N2at6native12_GLOBAL__N_19CustomSumEEEEE10hipError_tPvRmT0_T1_jT2_SQ_T4_T3_P12ihipStream_tbEUlT_E_NS1_11comp_targetILNS1_3genE4ELNS1_11target_archE910ELNS1_3gpuE8ELNS1_3repE0EEENS1_30default_config_static_selectorELNS0_4arch9wavefront6targetE0EEEvSP_: ; @_ZN7rocprim17ROCPRIM_400000_NS6detail17trampoline_kernelINS0_14default_configENS1_32segmented_reduce_config_selectorIdEEZNS1_21segmented_reduce_implIS3_PKdPdPKidN6hipcub16HIPCUB_304000_NS6detail27convert_result_type_wrapperIS8_S9_N2at6native12_GLOBAL__N_19CustomSumEEEEE10hipError_tPvRmT0_T1_jT2_SQ_T4_T3_P12ihipStream_tbEUlT_E_NS1_11comp_targetILNS1_3genE4ELNS1_11target_archE910ELNS1_3gpuE8ELNS1_3repE0EEENS1_30default_config_static_selectorELNS0_4arch9wavefront6targetE0EEEvSP_
; %bb.0:
	.section	.rodata,"a",@progbits
	.p2align	6, 0x0
	.amdhsa_kernel _ZN7rocprim17ROCPRIM_400000_NS6detail17trampoline_kernelINS0_14default_configENS1_32segmented_reduce_config_selectorIdEEZNS1_21segmented_reduce_implIS3_PKdPdPKidN6hipcub16HIPCUB_304000_NS6detail27convert_result_type_wrapperIS8_S9_N2at6native12_GLOBAL__N_19CustomSumEEEEE10hipError_tPvRmT0_T1_jT2_SQ_T4_T3_P12ihipStream_tbEUlT_E_NS1_11comp_targetILNS1_3genE4ELNS1_11target_archE910ELNS1_3gpuE8ELNS1_3repE0EEENS1_30default_config_static_selectorELNS0_4arch9wavefront6targetE0EEEvSP_
		.amdhsa_group_segment_fixed_size 0
		.amdhsa_private_segment_fixed_size 0
		.amdhsa_kernarg_size 56
		.amdhsa_user_sgpr_count 15
		.amdhsa_user_sgpr_dispatch_ptr 0
		.amdhsa_user_sgpr_queue_ptr 0
		.amdhsa_user_sgpr_kernarg_segment_ptr 1
		.amdhsa_user_sgpr_dispatch_id 0
		.amdhsa_user_sgpr_private_segment_size 0
		.amdhsa_wavefront_size32 1
		.amdhsa_uses_dynamic_stack 0
		.amdhsa_enable_private_segment 0
		.amdhsa_system_sgpr_workgroup_id_x 1
		.amdhsa_system_sgpr_workgroup_id_y 0
		.amdhsa_system_sgpr_workgroup_id_z 0
		.amdhsa_system_sgpr_workgroup_info 0
		.amdhsa_system_vgpr_workitem_id 0
		.amdhsa_next_free_vgpr 1
		.amdhsa_next_free_sgpr 1
		.amdhsa_reserve_vcc 0
		.amdhsa_float_round_mode_32 0
		.amdhsa_float_round_mode_16_64 0
		.amdhsa_float_denorm_mode_32 3
		.amdhsa_float_denorm_mode_16_64 3
		.amdhsa_dx10_clamp 1
		.amdhsa_ieee_mode 1
		.amdhsa_fp16_overflow 0
		.amdhsa_workgroup_processor_mode 1
		.amdhsa_memory_ordered 1
		.amdhsa_forward_progress 0
		.amdhsa_shared_vgpr_count 0
		.amdhsa_exception_fp_ieee_invalid_op 0
		.amdhsa_exception_fp_denorm_src 0
		.amdhsa_exception_fp_ieee_div_zero 0
		.amdhsa_exception_fp_ieee_overflow 0
		.amdhsa_exception_fp_ieee_underflow 0
		.amdhsa_exception_fp_ieee_inexact 0
		.amdhsa_exception_int_div_zero 0
	.end_amdhsa_kernel
	.section	.text._ZN7rocprim17ROCPRIM_400000_NS6detail17trampoline_kernelINS0_14default_configENS1_32segmented_reduce_config_selectorIdEEZNS1_21segmented_reduce_implIS3_PKdPdPKidN6hipcub16HIPCUB_304000_NS6detail27convert_result_type_wrapperIS8_S9_N2at6native12_GLOBAL__N_19CustomSumEEEEE10hipError_tPvRmT0_T1_jT2_SQ_T4_T3_P12ihipStream_tbEUlT_E_NS1_11comp_targetILNS1_3genE4ELNS1_11target_archE910ELNS1_3gpuE8ELNS1_3repE0EEENS1_30default_config_static_selectorELNS0_4arch9wavefront6targetE0EEEvSP_,"axG",@progbits,_ZN7rocprim17ROCPRIM_400000_NS6detail17trampoline_kernelINS0_14default_configENS1_32segmented_reduce_config_selectorIdEEZNS1_21segmented_reduce_implIS3_PKdPdPKidN6hipcub16HIPCUB_304000_NS6detail27convert_result_type_wrapperIS8_S9_N2at6native12_GLOBAL__N_19CustomSumEEEEE10hipError_tPvRmT0_T1_jT2_SQ_T4_T3_P12ihipStream_tbEUlT_E_NS1_11comp_targetILNS1_3genE4ELNS1_11target_archE910ELNS1_3gpuE8ELNS1_3repE0EEENS1_30default_config_static_selectorELNS0_4arch9wavefront6targetE0EEEvSP_,comdat
.Lfunc_end20:
	.size	_ZN7rocprim17ROCPRIM_400000_NS6detail17trampoline_kernelINS0_14default_configENS1_32segmented_reduce_config_selectorIdEEZNS1_21segmented_reduce_implIS3_PKdPdPKidN6hipcub16HIPCUB_304000_NS6detail27convert_result_type_wrapperIS8_S9_N2at6native12_GLOBAL__N_19CustomSumEEEEE10hipError_tPvRmT0_T1_jT2_SQ_T4_T3_P12ihipStream_tbEUlT_E_NS1_11comp_targetILNS1_3genE4ELNS1_11target_archE910ELNS1_3gpuE8ELNS1_3repE0EEENS1_30default_config_static_selectorELNS0_4arch9wavefront6targetE0EEEvSP_, .Lfunc_end20-_ZN7rocprim17ROCPRIM_400000_NS6detail17trampoline_kernelINS0_14default_configENS1_32segmented_reduce_config_selectorIdEEZNS1_21segmented_reduce_implIS3_PKdPdPKidN6hipcub16HIPCUB_304000_NS6detail27convert_result_type_wrapperIS8_S9_N2at6native12_GLOBAL__N_19CustomSumEEEEE10hipError_tPvRmT0_T1_jT2_SQ_T4_T3_P12ihipStream_tbEUlT_E_NS1_11comp_targetILNS1_3genE4ELNS1_11target_archE910ELNS1_3gpuE8ELNS1_3repE0EEENS1_30default_config_static_selectorELNS0_4arch9wavefront6targetE0EEEvSP_
                                        ; -- End function
	.section	.AMDGPU.csdata,"",@progbits
; Kernel info:
; codeLenInByte = 0
; NumSgprs: 0
; NumVgprs: 0
; ScratchSize: 0
; MemoryBound: 0
; FloatMode: 240
; IeeeMode: 1
; LDSByteSize: 0 bytes/workgroup (compile time only)
; SGPRBlocks: 0
; VGPRBlocks: 0
; NumSGPRsForWavesPerEU: 1
; NumVGPRsForWavesPerEU: 1
; Occupancy: 16
; WaveLimiterHint : 0
; COMPUTE_PGM_RSRC2:SCRATCH_EN: 0
; COMPUTE_PGM_RSRC2:USER_SGPR: 15
; COMPUTE_PGM_RSRC2:TRAP_HANDLER: 0
; COMPUTE_PGM_RSRC2:TGID_X_EN: 1
; COMPUTE_PGM_RSRC2:TGID_Y_EN: 0
; COMPUTE_PGM_RSRC2:TGID_Z_EN: 0
; COMPUTE_PGM_RSRC2:TIDIG_COMP_CNT: 0
	.section	.text._ZN7rocprim17ROCPRIM_400000_NS6detail17trampoline_kernelINS0_14default_configENS1_32segmented_reduce_config_selectorIdEEZNS1_21segmented_reduce_implIS3_PKdPdPKidN6hipcub16HIPCUB_304000_NS6detail27convert_result_type_wrapperIS8_S9_N2at6native12_GLOBAL__N_19CustomSumEEEEE10hipError_tPvRmT0_T1_jT2_SQ_T4_T3_P12ihipStream_tbEUlT_E_NS1_11comp_targetILNS1_3genE3ELNS1_11target_archE908ELNS1_3gpuE7ELNS1_3repE0EEENS1_30default_config_static_selectorELNS0_4arch9wavefront6targetE0EEEvSP_,"axG",@progbits,_ZN7rocprim17ROCPRIM_400000_NS6detail17trampoline_kernelINS0_14default_configENS1_32segmented_reduce_config_selectorIdEEZNS1_21segmented_reduce_implIS3_PKdPdPKidN6hipcub16HIPCUB_304000_NS6detail27convert_result_type_wrapperIS8_S9_N2at6native12_GLOBAL__N_19CustomSumEEEEE10hipError_tPvRmT0_T1_jT2_SQ_T4_T3_P12ihipStream_tbEUlT_E_NS1_11comp_targetILNS1_3genE3ELNS1_11target_archE908ELNS1_3gpuE7ELNS1_3repE0EEENS1_30default_config_static_selectorELNS0_4arch9wavefront6targetE0EEEvSP_,comdat
	.globl	_ZN7rocprim17ROCPRIM_400000_NS6detail17trampoline_kernelINS0_14default_configENS1_32segmented_reduce_config_selectorIdEEZNS1_21segmented_reduce_implIS3_PKdPdPKidN6hipcub16HIPCUB_304000_NS6detail27convert_result_type_wrapperIS8_S9_N2at6native12_GLOBAL__N_19CustomSumEEEEE10hipError_tPvRmT0_T1_jT2_SQ_T4_T3_P12ihipStream_tbEUlT_E_NS1_11comp_targetILNS1_3genE3ELNS1_11target_archE908ELNS1_3gpuE7ELNS1_3repE0EEENS1_30default_config_static_selectorELNS0_4arch9wavefront6targetE0EEEvSP_ ; -- Begin function _ZN7rocprim17ROCPRIM_400000_NS6detail17trampoline_kernelINS0_14default_configENS1_32segmented_reduce_config_selectorIdEEZNS1_21segmented_reduce_implIS3_PKdPdPKidN6hipcub16HIPCUB_304000_NS6detail27convert_result_type_wrapperIS8_S9_N2at6native12_GLOBAL__N_19CustomSumEEEEE10hipError_tPvRmT0_T1_jT2_SQ_T4_T3_P12ihipStream_tbEUlT_E_NS1_11comp_targetILNS1_3genE3ELNS1_11target_archE908ELNS1_3gpuE7ELNS1_3repE0EEENS1_30default_config_static_selectorELNS0_4arch9wavefront6targetE0EEEvSP_
	.p2align	8
	.type	_ZN7rocprim17ROCPRIM_400000_NS6detail17trampoline_kernelINS0_14default_configENS1_32segmented_reduce_config_selectorIdEEZNS1_21segmented_reduce_implIS3_PKdPdPKidN6hipcub16HIPCUB_304000_NS6detail27convert_result_type_wrapperIS8_S9_N2at6native12_GLOBAL__N_19CustomSumEEEEE10hipError_tPvRmT0_T1_jT2_SQ_T4_T3_P12ihipStream_tbEUlT_E_NS1_11comp_targetILNS1_3genE3ELNS1_11target_archE908ELNS1_3gpuE7ELNS1_3repE0EEENS1_30default_config_static_selectorELNS0_4arch9wavefront6targetE0EEEvSP_,@function
_ZN7rocprim17ROCPRIM_400000_NS6detail17trampoline_kernelINS0_14default_configENS1_32segmented_reduce_config_selectorIdEEZNS1_21segmented_reduce_implIS3_PKdPdPKidN6hipcub16HIPCUB_304000_NS6detail27convert_result_type_wrapperIS8_S9_N2at6native12_GLOBAL__N_19CustomSumEEEEE10hipError_tPvRmT0_T1_jT2_SQ_T4_T3_P12ihipStream_tbEUlT_E_NS1_11comp_targetILNS1_3genE3ELNS1_11target_archE908ELNS1_3gpuE7ELNS1_3repE0EEENS1_30default_config_static_selectorELNS0_4arch9wavefront6targetE0EEEvSP_: ; @_ZN7rocprim17ROCPRIM_400000_NS6detail17trampoline_kernelINS0_14default_configENS1_32segmented_reduce_config_selectorIdEEZNS1_21segmented_reduce_implIS3_PKdPdPKidN6hipcub16HIPCUB_304000_NS6detail27convert_result_type_wrapperIS8_S9_N2at6native12_GLOBAL__N_19CustomSumEEEEE10hipError_tPvRmT0_T1_jT2_SQ_T4_T3_P12ihipStream_tbEUlT_E_NS1_11comp_targetILNS1_3genE3ELNS1_11target_archE908ELNS1_3gpuE7ELNS1_3repE0EEENS1_30default_config_static_selectorELNS0_4arch9wavefront6targetE0EEEvSP_
; %bb.0:
	.section	.rodata,"a",@progbits
	.p2align	6, 0x0
	.amdhsa_kernel _ZN7rocprim17ROCPRIM_400000_NS6detail17trampoline_kernelINS0_14default_configENS1_32segmented_reduce_config_selectorIdEEZNS1_21segmented_reduce_implIS3_PKdPdPKidN6hipcub16HIPCUB_304000_NS6detail27convert_result_type_wrapperIS8_S9_N2at6native12_GLOBAL__N_19CustomSumEEEEE10hipError_tPvRmT0_T1_jT2_SQ_T4_T3_P12ihipStream_tbEUlT_E_NS1_11comp_targetILNS1_3genE3ELNS1_11target_archE908ELNS1_3gpuE7ELNS1_3repE0EEENS1_30default_config_static_selectorELNS0_4arch9wavefront6targetE0EEEvSP_
		.amdhsa_group_segment_fixed_size 0
		.amdhsa_private_segment_fixed_size 0
		.amdhsa_kernarg_size 56
		.amdhsa_user_sgpr_count 15
		.amdhsa_user_sgpr_dispatch_ptr 0
		.amdhsa_user_sgpr_queue_ptr 0
		.amdhsa_user_sgpr_kernarg_segment_ptr 1
		.amdhsa_user_sgpr_dispatch_id 0
		.amdhsa_user_sgpr_private_segment_size 0
		.amdhsa_wavefront_size32 1
		.amdhsa_uses_dynamic_stack 0
		.amdhsa_enable_private_segment 0
		.amdhsa_system_sgpr_workgroup_id_x 1
		.amdhsa_system_sgpr_workgroup_id_y 0
		.amdhsa_system_sgpr_workgroup_id_z 0
		.amdhsa_system_sgpr_workgroup_info 0
		.amdhsa_system_vgpr_workitem_id 0
		.amdhsa_next_free_vgpr 1
		.amdhsa_next_free_sgpr 1
		.amdhsa_reserve_vcc 0
		.amdhsa_float_round_mode_32 0
		.amdhsa_float_round_mode_16_64 0
		.amdhsa_float_denorm_mode_32 3
		.amdhsa_float_denorm_mode_16_64 3
		.amdhsa_dx10_clamp 1
		.amdhsa_ieee_mode 1
		.amdhsa_fp16_overflow 0
		.amdhsa_workgroup_processor_mode 1
		.amdhsa_memory_ordered 1
		.amdhsa_forward_progress 0
		.amdhsa_shared_vgpr_count 0
		.amdhsa_exception_fp_ieee_invalid_op 0
		.amdhsa_exception_fp_denorm_src 0
		.amdhsa_exception_fp_ieee_div_zero 0
		.amdhsa_exception_fp_ieee_overflow 0
		.amdhsa_exception_fp_ieee_underflow 0
		.amdhsa_exception_fp_ieee_inexact 0
		.amdhsa_exception_int_div_zero 0
	.end_amdhsa_kernel
	.section	.text._ZN7rocprim17ROCPRIM_400000_NS6detail17trampoline_kernelINS0_14default_configENS1_32segmented_reduce_config_selectorIdEEZNS1_21segmented_reduce_implIS3_PKdPdPKidN6hipcub16HIPCUB_304000_NS6detail27convert_result_type_wrapperIS8_S9_N2at6native12_GLOBAL__N_19CustomSumEEEEE10hipError_tPvRmT0_T1_jT2_SQ_T4_T3_P12ihipStream_tbEUlT_E_NS1_11comp_targetILNS1_3genE3ELNS1_11target_archE908ELNS1_3gpuE7ELNS1_3repE0EEENS1_30default_config_static_selectorELNS0_4arch9wavefront6targetE0EEEvSP_,"axG",@progbits,_ZN7rocprim17ROCPRIM_400000_NS6detail17trampoline_kernelINS0_14default_configENS1_32segmented_reduce_config_selectorIdEEZNS1_21segmented_reduce_implIS3_PKdPdPKidN6hipcub16HIPCUB_304000_NS6detail27convert_result_type_wrapperIS8_S9_N2at6native12_GLOBAL__N_19CustomSumEEEEE10hipError_tPvRmT0_T1_jT2_SQ_T4_T3_P12ihipStream_tbEUlT_E_NS1_11comp_targetILNS1_3genE3ELNS1_11target_archE908ELNS1_3gpuE7ELNS1_3repE0EEENS1_30default_config_static_selectorELNS0_4arch9wavefront6targetE0EEEvSP_,comdat
.Lfunc_end21:
	.size	_ZN7rocprim17ROCPRIM_400000_NS6detail17trampoline_kernelINS0_14default_configENS1_32segmented_reduce_config_selectorIdEEZNS1_21segmented_reduce_implIS3_PKdPdPKidN6hipcub16HIPCUB_304000_NS6detail27convert_result_type_wrapperIS8_S9_N2at6native12_GLOBAL__N_19CustomSumEEEEE10hipError_tPvRmT0_T1_jT2_SQ_T4_T3_P12ihipStream_tbEUlT_E_NS1_11comp_targetILNS1_3genE3ELNS1_11target_archE908ELNS1_3gpuE7ELNS1_3repE0EEENS1_30default_config_static_selectorELNS0_4arch9wavefront6targetE0EEEvSP_, .Lfunc_end21-_ZN7rocprim17ROCPRIM_400000_NS6detail17trampoline_kernelINS0_14default_configENS1_32segmented_reduce_config_selectorIdEEZNS1_21segmented_reduce_implIS3_PKdPdPKidN6hipcub16HIPCUB_304000_NS6detail27convert_result_type_wrapperIS8_S9_N2at6native12_GLOBAL__N_19CustomSumEEEEE10hipError_tPvRmT0_T1_jT2_SQ_T4_T3_P12ihipStream_tbEUlT_E_NS1_11comp_targetILNS1_3genE3ELNS1_11target_archE908ELNS1_3gpuE7ELNS1_3repE0EEENS1_30default_config_static_selectorELNS0_4arch9wavefront6targetE0EEEvSP_
                                        ; -- End function
	.section	.AMDGPU.csdata,"",@progbits
; Kernel info:
; codeLenInByte = 0
; NumSgprs: 0
; NumVgprs: 0
; ScratchSize: 0
; MemoryBound: 0
; FloatMode: 240
; IeeeMode: 1
; LDSByteSize: 0 bytes/workgroup (compile time only)
; SGPRBlocks: 0
; VGPRBlocks: 0
; NumSGPRsForWavesPerEU: 1
; NumVGPRsForWavesPerEU: 1
; Occupancy: 16
; WaveLimiterHint : 0
; COMPUTE_PGM_RSRC2:SCRATCH_EN: 0
; COMPUTE_PGM_RSRC2:USER_SGPR: 15
; COMPUTE_PGM_RSRC2:TRAP_HANDLER: 0
; COMPUTE_PGM_RSRC2:TGID_X_EN: 1
; COMPUTE_PGM_RSRC2:TGID_Y_EN: 0
; COMPUTE_PGM_RSRC2:TGID_Z_EN: 0
; COMPUTE_PGM_RSRC2:TIDIG_COMP_CNT: 0
	.section	.text._ZN7rocprim17ROCPRIM_400000_NS6detail17trampoline_kernelINS0_14default_configENS1_32segmented_reduce_config_selectorIdEEZNS1_21segmented_reduce_implIS3_PKdPdPKidN6hipcub16HIPCUB_304000_NS6detail27convert_result_type_wrapperIS8_S9_N2at6native12_GLOBAL__N_19CustomSumEEEEE10hipError_tPvRmT0_T1_jT2_SQ_T4_T3_P12ihipStream_tbEUlT_E_NS1_11comp_targetILNS1_3genE2ELNS1_11target_archE906ELNS1_3gpuE6ELNS1_3repE0EEENS1_30default_config_static_selectorELNS0_4arch9wavefront6targetE0EEEvSP_,"axG",@progbits,_ZN7rocprim17ROCPRIM_400000_NS6detail17trampoline_kernelINS0_14default_configENS1_32segmented_reduce_config_selectorIdEEZNS1_21segmented_reduce_implIS3_PKdPdPKidN6hipcub16HIPCUB_304000_NS6detail27convert_result_type_wrapperIS8_S9_N2at6native12_GLOBAL__N_19CustomSumEEEEE10hipError_tPvRmT0_T1_jT2_SQ_T4_T3_P12ihipStream_tbEUlT_E_NS1_11comp_targetILNS1_3genE2ELNS1_11target_archE906ELNS1_3gpuE6ELNS1_3repE0EEENS1_30default_config_static_selectorELNS0_4arch9wavefront6targetE0EEEvSP_,comdat
	.globl	_ZN7rocprim17ROCPRIM_400000_NS6detail17trampoline_kernelINS0_14default_configENS1_32segmented_reduce_config_selectorIdEEZNS1_21segmented_reduce_implIS3_PKdPdPKidN6hipcub16HIPCUB_304000_NS6detail27convert_result_type_wrapperIS8_S9_N2at6native12_GLOBAL__N_19CustomSumEEEEE10hipError_tPvRmT0_T1_jT2_SQ_T4_T3_P12ihipStream_tbEUlT_E_NS1_11comp_targetILNS1_3genE2ELNS1_11target_archE906ELNS1_3gpuE6ELNS1_3repE0EEENS1_30default_config_static_selectorELNS0_4arch9wavefront6targetE0EEEvSP_ ; -- Begin function _ZN7rocprim17ROCPRIM_400000_NS6detail17trampoline_kernelINS0_14default_configENS1_32segmented_reduce_config_selectorIdEEZNS1_21segmented_reduce_implIS3_PKdPdPKidN6hipcub16HIPCUB_304000_NS6detail27convert_result_type_wrapperIS8_S9_N2at6native12_GLOBAL__N_19CustomSumEEEEE10hipError_tPvRmT0_T1_jT2_SQ_T4_T3_P12ihipStream_tbEUlT_E_NS1_11comp_targetILNS1_3genE2ELNS1_11target_archE906ELNS1_3gpuE6ELNS1_3repE0EEENS1_30default_config_static_selectorELNS0_4arch9wavefront6targetE0EEEvSP_
	.p2align	8
	.type	_ZN7rocprim17ROCPRIM_400000_NS6detail17trampoline_kernelINS0_14default_configENS1_32segmented_reduce_config_selectorIdEEZNS1_21segmented_reduce_implIS3_PKdPdPKidN6hipcub16HIPCUB_304000_NS6detail27convert_result_type_wrapperIS8_S9_N2at6native12_GLOBAL__N_19CustomSumEEEEE10hipError_tPvRmT0_T1_jT2_SQ_T4_T3_P12ihipStream_tbEUlT_E_NS1_11comp_targetILNS1_3genE2ELNS1_11target_archE906ELNS1_3gpuE6ELNS1_3repE0EEENS1_30default_config_static_selectorELNS0_4arch9wavefront6targetE0EEEvSP_,@function
_ZN7rocprim17ROCPRIM_400000_NS6detail17trampoline_kernelINS0_14default_configENS1_32segmented_reduce_config_selectorIdEEZNS1_21segmented_reduce_implIS3_PKdPdPKidN6hipcub16HIPCUB_304000_NS6detail27convert_result_type_wrapperIS8_S9_N2at6native12_GLOBAL__N_19CustomSumEEEEE10hipError_tPvRmT0_T1_jT2_SQ_T4_T3_P12ihipStream_tbEUlT_E_NS1_11comp_targetILNS1_3genE2ELNS1_11target_archE906ELNS1_3gpuE6ELNS1_3repE0EEENS1_30default_config_static_selectorELNS0_4arch9wavefront6targetE0EEEvSP_: ; @_ZN7rocprim17ROCPRIM_400000_NS6detail17trampoline_kernelINS0_14default_configENS1_32segmented_reduce_config_selectorIdEEZNS1_21segmented_reduce_implIS3_PKdPdPKidN6hipcub16HIPCUB_304000_NS6detail27convert_result_type_wrapperIS8_S9_N2at6native12_GLOBAL__N_19CustomSumEEEEE10hipError_tPvRmT0_T1_jT2_SQ_T4_T3_P12ihipStream_tbEUlT_E_NS1_11comp_targetILNS1_3genE2ELNS1_11target_archE906ELNS1_3gpuE6ELNS1_3repE0EEENS1_30default_config_static_selectorELNS0_4arch9wavefront6targetE0EEEvSP_
; %bb.0:
	.section	.rodata,"a",@progbits
	.p2align	6, 0x0
	.amdhsa_kernel _ZN7rocprim17ROCPRIM_400000_NS6detail17trampoline_kernelINS0_14default_configENS1_32segmented_reduce_config_selectorIdEEZNS1_21segmented_reduce_implIS3_PKdPdPKidN6hipcub16HIPCUB_304000_NS6detail27convert_result_type_wrapperIS8_S9_N2at6native12_GLOBAL__N_19CustomSumEEEEE10hipError_tPvRmT0_T1_jT2_SQ_T4_T3_P12ihipStream_tbEUlT_E_NS1_11comp_targetILNS1_3genE2ELNS1_11target_archE906ELNS1_3gpuE6ELNS1_3repE0EEENS1_30default_config_static_selectorELNS0_4arch9wavefront6targetE0EEEvSP_
		.amdhsa_group_segment_fixed_size 0
		.amdhsa_private_segment_fixed_size 0
		.amdhsa_kernarg_size 56
		.amdhsa_user_sgpr_count 15
		.amdhsa_user_sgpr_dispatch_ptr 0
		.amdhsa_user_sgpr_queue_ptr 0
		.amdhsa_user_sgpr_kernarg_segment_ptr 1
		.amdhsa_user_sgpr_dispatch_id 0
		.amdhsa_user_sgpr_private_segment_size 0
		.amdhsa_wavefront_size32 1
		.amdhsa_uses_dynamic_stack 0
		.amdhsa_enable_private_segment 0
		.amdhsa_system_sgpr_workgroup_id_x 1
		.amdhsa_system_sgpr_workgroup_id_y 0
		.amdhsa_system_sgpr_workgroup_id_z 0
		.amdhsa_system_sgpr_workgroup_info 0
		.amdhsa_system_vgpr_workitem_id 0
		.amdhsa_next_free_vgpr 1
		.amdhsa_next_free_sgpr 1
		.amdhsa_reserve_vcc 0
		.amdhsa_float_round_mode_32 0
		.amdhsa_float_round_mode_16_64 0
		.amdhsa_float_denorm_mode_32 3
		.amdhsa_float_denorm_mode_16_64 3
		.amdhsa_dx10_clamp 1
		.amdhsa_ieee_mode 1
		.amdhsa_fp16_overflow 0
		.amdhsa_workgroup_processor_mode 1
		.amdhsa_memory_ordered 1
		.amdhsa_forward_progress 0
		.amdhsa_shared_vgpr_count 0
		.amdhsa_exception_fp_ieee_invalid_op 0
		.amdhsa_exception_fp_denorm_src 0
		.amdhsa_exception_fp_ieee_div_zero 0
		.amdhsa_exception_fp_ieee_overflow 0
		.amdhsa_exception_fp_ieee_underflow 0
		.amdhsa_exception_fp_ieee_inexact 0
		.amdhsa_exception_int_div_zero 0
	.end_amdhsa_kernel
	.section	.text._ZN7rocprim17ROCPRIM_400000_NS6detail17trampoline_kernelINS0_14default_configENS1_32segmented_reduce_config_selectorIdEEZNS1_21segmented_reduce_implIS3_PKdPdPKidN6hipcub16HIPCUB_304000_NS6detail27convert_result_type_wrapperIS8_S9_N2at6native12_GLOBAL__N_19CustomSumEEEEE10hipError_tPvRmT0_T1_jT2_SQ_T4_T3_P12ihipStream_tbEUlT_E_NS1_11comp_targetILNS1_3genE2ELNS1_11target_archE906ELNS1_3gpuE6ELNS1_3repE0EEENS1_30default_config_static_selectorELNS0_4arch9wavefront6targetE0EEEvSP_,"axG",@progbits,_ZN7rocprim17ROCPRIM_400000_NS6detail17trampoline_kernelINS0_14default_configENS1_32segmented_reduce_config_selectorIdEEZNS1_21segmented_reduce_implIS3_PKdPdPKidN6hipcub16HIPCUB_304000_NS6detail27convert_result_type_wrapperIS8_S9_N2at6native12_GLOBAL__N_19CustomSumEEEEE10hipError_tPvRmT0_T1_jT2_SQ_T4_T3_P12ihipStream_tbEUlT_E_NS1_11comp_targetILNS1_3genE2ELNS1_11target_archE906ELNS1_3gpuE6ELNS1_3repE0EEENS1_30default_config_static_selectorELNS0_4arch9wavefront6targetE0EEEvSP_,comdat
.Lfunc_end22:
	.size	_ZN7rocprim17ROCPRIM_400000_NS6detail17trampoline_kernelINS0_14default_configENS1_32segmented_reduce_config_selectorIdEEZNS1_21segmented_reduce_implIS3_PKdPdPKidN6hipcub16HIPCUB_304000_NS6detail27convert_result_type_wrapperIS8_S9_N2at6native12_GLOBAL__N_19CustomSumEEEEE10hipError_tPvRmT0_T1_jT2_SQ_T4_T3_P12ihipStream_tbEUlT_E_NS1_11comp_targetILNS1_3genE2ELNS1_11target_archE906ELNS1_3gpuE6ELNS1_3repE0EEENS1_30default_config_static_selectorELNS0_4arch9wavefront6targetE0EEEvSP_, .Lfunc_end22-_ZN7rocprim17ROCPRIM_400000_NS6detail17trampoline_kernelINS0_14default_configENS1_32segmented_reduce_config_selectorIdEEZNS1_21segmented_reduce_implIS3_PKdPdPKidN6hipcub16HIPCUB_304000_NS6detail27convert_result_type_wrapperIS8_S9_N2at6native12_GLOBAL__N_19CustomSumEEEEE10hipError_tPvRmT0_T1_jT2_SQ_T4_T3_P12ihipStream_tbEUlT_E_NS1_11comp_targetILNS1_3genE2ELNS1_11target_archE906ELNS1_3gpuE6ELNS1_3repE0EEENS1_30default_config_static_selectorELNS0_4arch9wavefront6targetE0EEEvSP_
                                        ; -- End function
	.section	.AMDGPU.csdata,"",@progbits
; Kernel info:
; codeLenInByte = 0
; NumSgprs: 0
; NumVgprs: 0
; ScratchSize: 0
; MemoryBound: 0
; FloatMode: 240
; IeeeMode: 1
; LDSByteSize: 0 bytes/workgroup (compile time only)
; SGPRBlocks: 0
; VGPRBlocks: 0
; NumSGPRsForWavesPerEU: 1
; NumVGPRsForWavesPerEU: 1
; Occupancy: 16
; WaveLimiterHint : 0
; COMPUTE_PGM_RSRC2:SCRATCH_EN: 0
; COMPUTE_PGM_RSRC2:USER_SGPR: 15
; COMPUTE_PGM_RSRC2:TRAP_HANDLER: 0
; COMPUTE_PGM_RSRC2:TGID_X_EN: 1
; COMPUTE_PGM_RSRC2:TGID_Y_EN: 0
; COMPUTE_PGM_RSRC2:TGID_Z_EN: 0
; COMPUTE_PGM_RSRC2:TIDIG_COMP_CNT: 0
	.section	.text._ZN7rocprim17ROCPRIM_400000_NS6detail17trampoline_kernelINS0_14default_configENS1_32segmented_reduce_config_selectorIdEEZNS1_21segmented_reduce_implIS3_PKdPdPKidN6hipcub16HIPCUB_304000_NS6detail27convert_result_type_wrapperIS8_S9_N2at6native12_GLOBAL__N_19CustomSumEEEEE10hipError_tPvRmT0_T1_jT2_SQ_T4_T3_P12ihipStream_tbEUlT_E_NS1_11comp_targetILNS1_3genE9ELNS1_11target_archE1100ELNS1_3gpuE3ELNS1_3repE0EEENS1_30default_config_static_selectorELNS0_4arch9wavefront6targetE0EEEvSP_,"axG",@progbits,_ZN7rocprim17ROCPRIM_400000_NS6detail17trampoline_kernelINS0_14default_configENS1_32segmented_reduce_config_selectorIdEEZNS1_21segmented_reduce_implIS3_PKdPdPKidN6hipcub16HIPCUB_304000_NS6detail27convert_result_type_wrapperIS8_S9_N2at6native12_GLOBAL__N_19CustomSumEEEEE10hipError_tPvRmT0_T1_jT2_SQ_T4_T3_P12ihipStream_tbEUlT_E_NS1_11comp_targetILNS1_3genE9ELNS1_11target_archE1100ELNS1_3gpuE3ELNS1_3repE0EEENS1_30default_config_static_selectorELNS0_4arch9wavefront6targetE0EEEvSP_,comdat
	.globl	_ZN7rocprim17ROCPRIM_400000_NS6detail17trampoline_kernelINS0_14default_configENS1_32segmented_reduce_config_selectorIdEEZNS1_21segmented_reduce_implIS3_PKdPdPKidN6hipcub16HIPCUB_304000_NS6detail27convert_result_type_wrapperIS8_S9_N2at6native12_GLOBAL__N_19CustomSumEEEEE10hipError_tPvRmT0_T1_jT2_SQ_T4_T3_P12ihipStream_tbEUlT_E_NS1_11comp_targetILNS1_3genE9ELNS1_11target_archE1100ELNS1_3gpuE3ELNS1_3repE0EEENS1_30default_config_static_selectorELNS0_4arch9wavefront6targetE0EEEvSP_ ; -- Begin function _ZN7rocprim17ROCPRIM_400000_NS6detail17trampoline_kernelINS0_14default_configENS1_32segmented_reduce_config_selectorIdEEZNS1_21segmented_reduce_implIS3_PKdPdPKidN6hipcub16HIPCUB_304000_NS6detail27convert_result_type_wrapperIS8_S9_N2at6native12_GLOBAL__N_19CustomSumEEEEE10hipError_tPvRmT0_T1_jT2_SQ_T4_T3_P12ihipStream_tbEUlT_E_NS1_11comp_targetILNS1_3genE9ELNS1_11target_archE1100ELNS1_3gpuE3ELNS1_3repE0EEENS1_30default_config_static_selectorELNS0_4arch9wavefront6targetE0EEEvSP_
	.p2align	8
	.type	_ZN7rocprim17ROCPRIM_400000_NS6detail17trampoline_kernelINS0_14default_configENS1_32segmented_reduce_config_selectorIdEEZNS1_21segmented_reduce_implIS3_PKdPdPKidN6hipcub16HIPCUB_304000_NS6detail27convert_result_type_wrapperIS8_S9_N2at6native12_GLOBAL__N_19CustomSumEEEEE10hipError_tPvRmT0_T1_jT2_SQ_T4_T3_P12ihipStream_tbEUlT_E_NS1_11comp_targetILNS1_3genE9ELNS1_11target_archE1100ELNS1_3gpuE3ELNS1_3repE0EEENS1_30default_config_static_selectorELNS0_4arch9wavefront6targetE0EEEvSP_,@function
_ZN7rocprim17ROCPRIM_400000_NS6detail17trampoline_kernelINS0_14default_configENS1_32segmented_reduce_config_selectorIdEEZNS1_21segmented_reduce_implIS3_PKdPdPKidN6hipcub16HIPCUB_304000_NS6detail27convert_result_type_wrapperIS8_S9_N2at6native12_GLOBAL__N_19CustomSumEEEEE10hipError_tPvRmT0_T1_jT2_SQ_T4_T3_P12ihipStream_tbEUlT_E_NS1_11comp_targetILNS1_3genE9ELNS1_11target_archE1100ELNS1_3gpuE3ELNS1_3repE0EEENS1_30default_config_static_selectorELNS0_4arch9wavefront6targetE0EEEvSP_: ; @_ZN7rocprim17ROCPRIM_400000_NS6detail17trampoline_kernelINS0_14default_configENS1_32segmented_reduce_config_selectorIdEEZNS1_21segmented_reduce_implIS3_PKdPdPKidN6hipcub16HIPCUB_304000_NS6detail27convert_result_type_wrapperIS8_S9_N2at6native12_GLOBAL__N_19CustomSumEEEEE10hipError_tPvRmT0_T1_jT2_SQ_T4_T3_P12ihipStream_tbEUlT_E_NS1_11comp_targetILNS1_3genE9ELNS1_11target_archE1100ELNS1_3gpuE3ELNS1_3repE0EEENS1_30default_config_static_selectorELNS0_4arch9wavefront6targetE0EEEvSP_
; %bb.0:
	s_clause 0x1
	s_load_b256 s[16:23], s[0:1], 0x0
	s_load_b64 s[2:3], s[0:1], 0x20
	s_mov_b32 s24, s15
	s_mov_b32 s25, 0
	s_load_b64 s[26:27], s[0:1], 0x30
	v_cmp_eq_u32_e32 vcc_lo, 0, v0
	s_waitcnt lgkmcnt(0)
	s_lshl_b64 s[4:5], s[20:21], 2
	s_delay_alu instid0(SALU_CYCLE_1) | instskip(SKIP_4) | instid1(SALU_CYCLE_1)
	s_add_u32 s6, s22, s4
	s_addc_u32 s7, s23, s5
	s_add_u32 s4, s2, s4
	s_addc_u32 s5, s3, s5
	s_lshl_b64 s[0:1], s[24:25], 2
	s_add_u32 s2, s6, s0
	s_addc_u32 s3, s7, s1
	s_add_u32 s0, s4, s0
	s_addc_u32 s1, s5, s1
	s_load_b32 s22, s[2:3], 0x0
	s_load_b32 s30, s[0:1], 0x0
	s_waitcnt lgkmcnt(0)
	s_cmp_gt_i32 s30, s22
	s_cbranch_scc1 .LBB23_3
; %bb.1:
	s_and_b32 s15, vcc_lo, exec_lo
	s_cbranch_execz .LBB23_4
; %bb.2:
	v_dual_mov_b32 v3, s26 :: v_dual_mov_b32 v4, s27
	s_and_saveexec_b32 s0, s15
	s_cbranch_execnz .LBB23_83
	s_branch .LBB23_84
.LBB23_3:
	s_mov_b32 s15, s25
.LBB23_4:
	s_add_i32 s0, s22, 0x1000
	s_delay_alu instid0(SALU_CYCLE_1)
	s_cmp_le_i32 s0, s30
	s_cbranch_scc0 .LBB23_45
; %bb.5:
	s_ashr_i32 s23, s22, 31
	v_lshlrev_b32_e32 v35, 3, v0
	s_lshl_b64 s[2:3], s[22:23], 3
	s_delay_alu instid0(SALU_CYCLE_1) | instskip(SKIP_1) | instid1(VALU_DEP_1)
	s_add_u32 s2, s16, s2
	s_addc_u32 s3, s17, s3
	v_add_co_u32 v36, s1, s2, v35
	s_clause 0x1
	global_load_b64 v[3:4], v35, s[2:3]
	global_load_b64 v[1:2], v35, s[2:3] offset:2048
	v_add_co_ci_u32_e64 v37, null, s3, 0, s1
	v_add_co_u32 v5, vcc_lo, v36, 0x2000
	s_add_i32 s1, s22, 0x2000
	s_delay_alu instid0(VALU_DEP_2)
	v_add_co_ci_u32_e32 v6, vcc_lo, 0, v37, vcc_lo
	v_add_co_u32 v7, vcc_lo, 0x1000, v36
	v_add_co_ci_u32_e32 v8, vcc_lo, 0, v37, vcc_lo
	s_clause 0x2
	global_load_b64 v[11:12], v[5:6], off offset:-4096
	global_load_b64 v[7:8], v[7:8], off offset:2048
	global_load_b64 v[9:10], v[5:6], off
	v_add_co_u32 v5, vcc_lo, 0x2000, v36
	v_add_co_ci_u32_e32 v6, vcc_lo, 0, v37, vcc_lo
	v_add_co_u32 v15, vcc_lo, v36, 0x4000
	v_add_co_ci_u32_e32 v16, vcc_lo, 0, v37, vcc_lo
	global_load_b64 v[5:6], v[5:6], off offset:2048
	v_add_co_u32 v13, vcc_lo, 0x3000, v36
	global_load_b64 v[17:18], v[15:16], off offset:-4096
	v_add_co_ci_u32_e32 v14, vcc_lo, 0, v37, vcc_lo
	s_clause 0x1
	global_load_b64 v[13:14], v[13:14], off offset:2048
	global_load_b64 v[15:16], v[15:16], off
	v_add_co_u32 v19, vcc_lo, 0x4000, v36
	v_add_co_ci_u32_e32 v20, vcc_lo, 0, v37, vcc_lo
	v_add_co_u32 v27, vcc_lo, v36, 0x6000
	v_add_co_ci_u32_e32 v28, vcc_lo, 0, v37, vcc_lo
	global_load_b64 v[21:22], v[19:20], off offset:2048
	v_add_co_u32 v33, vcc_lo, 0x7000, v36
	global_load_b64 v[25:26], v[27:28], off offset:-4096
	v_add_co_ci_u32_e32 v34, vcc_lo, 0, v37, vcc_lo
	v_add_co_u32 v29, vcc_lo, 0x5000, v36
	v_add_co_ci_u32_e32 v30, vcc_lo, 0, v37, vcc_lo
	s_cmp_ge_i32 s1, s30
	s_clause 0x1
	global_load_b64 v[31:32], v[29:30], off offset:2048
	global_load_b64 v[29:30], v[27:28], off
	v_add_co_u32 v27, vcc_lo, 0x6000, v36
	v_add_co_ci_u32_e32 v28, vcc_lo, 0, v37, vcc_lo
	s_clause 0x1
	global_load_b64 v[19:20], v[33:34], off offset:2048
	global_load_b64 v[27:28], v[27:28], off offset:2048
	s_waitcnt vmcnt(13)
	v_add_f64 v[23:24], v[3:4], v[1:2]
	s_waitcnt vmcnt(12)
	s_delay_alu instid0(VALU_DEP_1) | instskip(SKIP_1) | instid1(VALU_DEP_1)
	v_add_f64 v[23:24], v[23:24], v[11:12]
	s_waitcnt vmcnt(11)
	v_add_f64 v[23:24], v[23:24], v[7:8]
	s_waitcnt vmcnt(10)
	s_delay_alu instid0(VALU_DEP_1) | instskip(SKIP_1) | instid1(VALU_DEP_1)
	v_add_f64 v[23:24], v[23:24], v[9:10]
	s_waitcnt vmcnt(9)
	v_add_f64 v[36:37], v[23:24], v[5:6]
	global_load_b64 v[23:24], v[33:34], off
	s_waitcnt vmcnt(9)
	v_add_f64 v[33:34], v[36:37], v[17:18]
	s_waitcnt vmcnt(8)
	s_delay_alu instid0(VALU_DEP_1) | instskip(SKIP_1) | instid1(VALU_DEP_1)
	v_add_f64 v[33:34], v[33:34], v[13:14]
	s_waitcnt vmcnt(7)
	v_add_f64 v[33:34], v[33:34], v[15:16]
	s_waitcnt vmcnt(6)
	s_delay_alu instid0(VALU_DEP_1) | instskip(SKIP_1) | instid1(VALU_DEP_1)
	v_add_f64 v[33:34], v[33:34], v[21:22]
	;; [unrolled: 5-line block ×4, first 2 shown]
	s_waitcnt vmcnt(0)
	v_add_f64 v[33:34], v[33:34], v[23:24]
	s_delay_alu instid0(VALU_DEP_1)
	v_add_f64 v[33:34], v[33:34], v[19:20]
	s_cbranch_scc1 .LBB23_8
; %bb.6:
	v_add_co_u32 v36, s1, s16, v35
	s_delay_alu instid0(VALU_DEP_1)
	v_add_co_ci_u32_e64 v37, null, s17, 0, s1
.LBB23_7:                               ; =>This Inner Loop Header: Depth=1
	s_ashr_i32 s1, s0, 31
	s_delay_alu instid0(SALU_CYCLE_1) | instskip(SKIP_4) | instid1(VALU_DEP_2)
	s_lshl_b64 s[2:3], s[0:1], 3
	s_add_i32 s1, s0, 0x2000
	v_add_co_u32 v27, vcc_lo, v36, s2
	v_add_co_ci_u32_e32 v28, vcc_lo, s3, v37, vcc_lo
	s_addk_i32 s0, 0x1000
	v_add_co_u32 v5, vcc_lo, v27, 0x2000
	s_clause 0x1
	global_load_b64 v[3:4], v[27:28], off
	global_load_b64 v[1:2], v[27:28], off offset:2048
	v_add_co_ci_u32_e32 v6, vcc_lo, 0, v28, vcc_lo
	v_add_co_u32 v7, vcc_lo, 0x1000, v27
	v_add_co_ci_u32_e32 v8, vcc_lo, 0, v28, vcc_lo
	s_clause 0x2
	global_load_b64 v[11:12], v[5:6], off offset:-4096
	global_load_b64 v[7:8], v[7:8], off offset:2048
	global_load_b64 v[9:10], v[5:6], off
	v_add_co_u32 v5, vcc_lo, 0x2000, v27
	v_add_co_ci_u32_e32 v6, vcc_lo, 0, v28, vcc_lo
	v_add_co_u32 v15, vcc_lo, v27, 0x4000
	v_add_co_ci_u32_e32 v16, vcc_lo, 0, v28, vcc_lo
	global_load_b64 v[5:6], v[5:6], off offset:2048
	v_add_co_u32 v13, vcc_lo, 0x3000, v27
	global_load_b64 v[17:18], v[15:16], off offset:-4096
	v_add_co_ci_u32_e32 v14, vcc_lo, 0, v28, vcc_lo
	s_clause 0x1
	global_load_b64 v[13:14], v[13:14], off offset:2048
	global_load_b64 v[15:16], v[15:16], off
	v_add_co_u32 v21, vcc_lo, 0x4000, v27
	v_add_co_ci_u32_e32 v22, vcc_lo, 0, v28, vcc_lo
	s_cmp_lt_i32 s1, s30
	global_load_b64 v[21:22], v[21:22], off offset:2048
	s_waitcnt vmcnt(9)
	v_add_f64 v[19:20], v[33:34], v[3:4]
	v_add_co_u32 v33, vcc_lo, v27, 0x6000
	v_add_co_ci_u32_e32 v34, vcc_lo, 0, v28, vcc_lo
	global_load_b64 v[25:26], v[33:34], off offset:-4096
	s_waitcnt vmcnt(9)
	v_add_f64 v[29:30], v[19:20], v[1:2]
	v_add_co_u32 v19, vcc_lo, 0x7000, v27
	v_add_co_ci_u32_e32 v20, vcc_lo, 0, v28, vcc_lo
	v_add_co_u32 v31, vcc_lo, 0x5000, v27
	v_add_co_ci_u32_e32 v32, vcc_lo, 0, v28, vcc_lo
	s_clause 0x1
	global_load_b64 v[23:24], v[19:20], off
	global_load_b64 v[19:20], v[19:20], off offset:2048
	v_add_co_u32 v27, vcc_lo, 0x6000, v27
	global_load_b64 v[31:32], v[31:32], off offset:2048
	v_add_co_ci_u32_e32 v28, vcc_lo, 0, v28, vcc_lo
	s_waitcnt vmcnt(11)
	v_add_f64 v[29:30], v[29:30], v[11:12]
	s_waitcnt vmcnt(10)
	s_delay_alu instid0(VALU_DEP_1)
	v_add_f64 v[38:39], v[29:30], v[7:8]
	s_clause 0x1
	global_load_b64 v[29:30], v[33:34], off
	global_load_b64 v[27:28], v[27:28], off offset:2048
	s_waitcnt vmcnt(11)
	v_add_f64 v[33:34], v[38:39], v[9:10]
	s_waitcnt vmcnt(10)
	s_delay_alu instid0(VALU_DEP_1) | instskip(SKIP_1) | instid1(VALU_DEP_1)
	v_add_f64 v[33:34], v[33:34], v[5:6]
	s_waitcnt vmcnt(9)
	v_add_f64 v[33:34], v[33:34], v[17:18]
	s_waitcnt vmcnt(8)
	s_delay_alu instid0(VALU_DEP_1) | instskip(SKIP_1) | instid1(VALU_DEP_1)
	v_add_f64 v[33:34], v[33:34], v[13:14]
	;; [unrolled: 5-line block ×4, first 2 shown]
	s_waitcnt vmcnt(1)
	v_add_f64 v[33:34], v[33:34], v[29:30]
	s_waitcnt vmcnt(0)
	s_delay_alu instid0(VALU_DEP_1) | instskip(NEXT) | instid1(VALU_DEP_1)
	v_add_f64 v[33:34], v[33:34], v[27:28]
	v_add_f64 v[33:34], v[33:34], v[23:24]
	s_delay_alu instid0(VALU_DEP_1)
	v_add_f64 v[33:34], v[33:34], v[19:20]
	s_cbranch_scc1 .LBB23_7
.LBB23_8:
	s_ashr_i32 s1, s0, 31
	s_sub_i32 s14, s30, s0
	s_lshl_b64 s[0:1], s[0:1], 3
	v_cmp_gt_u32_e32 vcc_lo, s14, v0
	s_add_u32 s28, s16, s0
	s_addc_u32 s29, s17, s1
	s_and_saveexec_b32 s0, vcc_lo
	s_cbranch_execz .LBB23_10
; %bb.9:
	global_load_b64 v[3:4], v35, s[28:29]
.LBB23_10:
	s_or_b32 exec_lo, exec_lo, s0
	v_or_b32_e32 v36, 0x100, v0
	s_delay_alu instid0(VALU_DEP_1) | instskip(NEXT) | instid1(VALU_DEP_1)
	v_cmp_gt_u32_e64 s0, s14, v36
	s_and_saveexec_b32 s1, s0
	s_cbranch_execz .LBB23_12
; %bb.11:
	global_load_b64 v[1:2], v35, s[28:29] offset:2048
.LBB23_12:
	s_or_b32 exec_lo, exec_lo, s1
	v_or_b32_e32 v35, 0x200, v0
	s_delay_alu instid0(VALU_DEP_1) | instskip(NEXT) | instid1(VALU_DEP_1)
	v_cmp_gt_u32_e64 s1, s14, v35
	s_and_saveexec_b32 s2, s1
	s_cbranch_execz .LBB23_14
; %bb.13:
	v_lshlrev_b32_e32 v11, 3, v35
	global_load_b64 v[11:12], v11, s[28:29]
.LBB23_14:
	s_or_b32 exec_lo, exec_lo, s2
	v_or_b32_e32 v35, 0x300, v0
	s_delay_alu instid0(VALU_DEP_1) | instskip(NEXT) | instid1(VALU_DEP_1)
	v_cmp_gt_u32_e64 s2, s14, v35
	s_and_saveexec_b32 s3, s2
	s_cbranch_execz .LBB23_16
; %bb.15:
	v_lshlrev_b32_e32 v7, 3, v35
	global_load_b64 v[7:8], v7, s[28:29]
.LBB23_16:
	;; [unrolled: 10-line block ×14, first 2 shown]
	s_or_b32 exec_lo, exec_lo, s23
	s_waitcnt vmcnt(0)
	v_add_f64 v[3:4], v[33:34], v[3:4]
	s_delay_alu instid0(VALU_DEP_1) | instskip(NEXT) | instid1(VALU_DEP_1)
	v_dual_cndmask_b32 v4, v34, v4 :: v_dual_cndmask_b32 v3, v33, v3
	v_add_f64 v[1:2], v[1:2], v[3:4]
	s_delay_alu instid0(VALU_DEP_1) | instskip(NEXT) | instid1(VALU_DEP_2)
	v_cndmask_b32_e64 v2, v4, v2, s0
	v_cndmask_b32_e64 v1, v3, v1, s0
	s_mov_b32 s0, exec_lo
	s_delay_alu instid0(VALU_DEP_1) | instskip(NEXT) | instid1(VALU_DEP_1)
	v_add_f64 v[3:4], v[11:12], v[1:2]
	v_cndmask_b32_e64 v2, v2, v4, s1
	s_delay_alu instid0(VALU_DEP_2) | instskip(NEXT) | instid1(VALU_DEP_1)
	v_cndmask_b32_e64 v1, v1, v3, s1
	v_add_f64 v[3:4], v[7:8], v[1:2]
	s_delay_alu instid0(VALU_DEP_1) | instskip(NEXT) | instid1(VALU_DEP_2)
	v_cndmask_b32_e64 v2, v2, v4, s2
	v_cndmask_b32_e64 v1, v1, v3, s2
	s_delay_alu instid0(VALU_DEP_1) | instskip(NEXT) | instid1(VALU_DEP_1)
	v_add_f64 v[3:4], v[9:10], v[1:2]
	v_cndmask_b32_e64 v2, v2, v4, s3
	s_delay_alu instid0(VALU_DEP_2) | instskip(NEXT) | instid1(VALU_DEP_1)
	v_cndmask_b32_e64 v1, v1, v3, s3
	v_add_f64 v[3:4], v[5:6], v[1:2]
	s_delay_alu instid0(VALU_DEP_1) | instskip(NEXT) | instid1(VALU_DEP_2)
	v_cndmask_b32_e64 v2, v2, v4, s4
	v_cndmask_b32_e64 v1, v1, v3, s4
	;; [unrolled: 9-line block ×7, first 2 shown]
	s_delay_alu instid0(VALU_DEP_2) | instskip(NEXT) | instid1(VALU_DEP_2)
	v_mov_b32_dpp v3, v1 quad_perm:[1,0,3,2] row_mask:0xf bank_mask:0xf
	v_mov_b32_dpp v4, v2 quad_perm:[1,0,3,2] row_mask:0xf bank_mask:0xf
	s_delay_alu instid0(VALU_DEP_1) | instskip(NEXT) | instid1(VALU_DEP_1)
	v_add_f64 v[1:2], v[1:2], v[3:4]
	v_mov_b32_dpp v3, v1 quad_perm:[2,3,0,1] row_mask:0xf bank_mask:0xf
	s_delay_alu instid0(VALU_DEP_2) | instskip(NEXT) | instid1(VALU_DEP_1)
	v_mov_b32_dpp v4, v2 quad_perm:[2,3,0,1] row_mask:0xf bank_mask:0xf
	v_add_f64 v[1:2], v[1:2], v[3:4]
	s_delay_alu instid0(VALU_DEP_1) | instskip(NEXT) | instid1(VALU_DEP_2)
	v_mov_b32_dpp v3, v1 row_ror:4 row_mask:0xf bank_mask:0xf
	v_mov_b32_dpp v4, v2 row_ror:4 row_mask:0xf bank_mask:0xf
	s_delay_alu instid0(VALU_DEP_1) | instskip(NEXT) | instid1(VALU_DEP_1)
	v_add_f64 v[1:2], v[1:2], v[3:4]
	v_mov_b32_dpp v3, v1 row_ror:8 row_mask:0xf bank_mask:0xf
	s_delay_alu instid0(VALU_DEP_2) | instskip(NEXT) | instid1(VALU_DEP_1)
	v_mov_b32_dpp v4, v2 row_ror:8 row_mask:0xf bank_mask:0xf
	v_add_f64 v[1:2], v[1:2], v[3:4]
	ds_swizzle_b32 v3, v1 offset:swizzle(BROADCAST,32,15)
	ds_swizzle_b32 v4, v2 offset:swizzle(BROADCAST,32,15)
	s_waitcnt lgkmcnt(0)
	v_add_f64 v[1:2], v[1:2], v[3:4]
	v_mov_b32_e32 v3, 0
	ds_bpermute_b32 v1, v3, v1 offset:124
	ds_bpermute_b32 v2, v3, v2 offset:124
	v_mbcnt_lo_u32_b32 v3, -1, 0
	s_delay_alu instid0(VALU_DEP_1)
	v_cmpx_eq_u32_e32 0, v3
	s_cbranch_execz .LBB23_42
; %bb.41:
	v_lshrrev_b32_e32 v4, 2, v0
	s_delay_alu instid0(VALU_DEP_1)
	v_and_b32_e32 v4, 56, v4
	s_waitcnt lgkmcnt(0)
	ds_store_b64 v4, v[1:2]
.LBB23_42:
	s_or_b32 exec_lo, exec_lo, s0
	s_delay_alu instid0(SALU_CYCLE_1)
	s_mov_b32 s0, exec_lo
	s_waitcnt lgkmcnt(0)
	s_barrier
	buffer_gl0_inv
	v_cmpx_gt_u32_e32 32, v0
	s_cbranch_execz .LBB23_44
; %bb.43:
	v_and_b32_e32 v6, 7, v3
	s_delay_alu instid0(VALU_DEP_1) | instskip(SKIP_4) | instid1(VALU_DEP_2)
	v_lshlrev_b32_e32 v1, 3, v6
	v_cmp_ne_u32_e32 vcc_lo, 7, v6
	ds_load_b64 v[1:2], v1
	v_add_co_ci_u32_e32 v4, vcc_lo, 0, v3, vcc_lo
	v_cmp_gt_u32_e32 vcc_lo, 6, v6
	v_lshlrev_b32_e32 v5, 2, v4
	s_waitcnt lgkmcnt(0)
	ds_bpermute_b32 v4, v5, v1
	ds_bpermute_b32 v5, v5, v2
	s_waitcnt lgkmcnt(0)
	v_add_f64 v[1:2], v[1:2], v[4:5]
	v_cndmask_b32_e64 v4, 0, 1, vcc_lo
	v_cmp_gt_u32_e32 vcc_lo, 4, v6
	s_delay_alu instid0(VALU_DEP_2) | instskip(NEXT) | instid1(VALU_DEP_1)
	v_lshlrev_b32_e32 v4, 1, v4
	v_add_lshl_u32 v5, v4, v3, 2
	ds_bpermute_b32 v4, v5, v1
	ds_bpermute_b32 v5, v5, v2
	s_waitcnt lgkmcnt(0)
	v_add_f64 v[1:2], v[1:2], v[4:5]
	v_cndmask_b32_e64 v4, 0, 1, vcc_lo
	s_delay_alu instid0(VALU_DEP_1) | instskip(NEXT) | instid1(VALU_DEP_1)
	v_lshlrev_b32_e32 v4, 2, v4
	v_add_lshl_u32 v4, v4, v3, 2
	ds_bpermute_b32 v3, v4, v1
	ds_bpermute_b32 v4, v4, v2
	s_waitcnt lgkmcnt(0)
	v_add_f64 v[1:2], v[1:2], v[3:4]
.LBB23_44:
	s_or_b32 exec_lo, exec_lo, s0
	s_branch .LBB23_80
.LBB23_45:
                                        ; implicit-def: $vgpr1_vgpr2
	s_cbranch_execz .LBB23_80
; %bb.46:
	s_sub_i32 s0, s30, s22
	s_mov_b32 s1, exec_lo
                                        ; implicit-def: $vgpr3_vgpr4
	v_cmpx_gt_u32_e64 s0, v0
	s_cbranch_execz .LBB23_52
; %bb.47:
	v_add_nc_u32_e32 v1, s22, v0
	s_mov_b32 s2, exec_lo
	s_delay_alu instid0(VALU_DEP_1) | instskip(NEXT) | instid1(VALU_DEP_1)
	v_ashrrev_i32_e32 v2, 31, v1
	v_lshlrev_b64 v[2:3], 3, v[1:2]
	v_add_nc_u32_e32 v1, 0x100, v1
	s_delay_alu instid0(VALU_DEP_2) | instskip(NEXT) | instid1(VALU_DEP_3)
	v_add_co_u32 v2, vcc_lo, s16, v2
	v_add_co_ci_u32_e32 v3, vcc_lo, s17, v3, vcc_lo
	global_load_b64 v[3:4], v[2:3], off
	v_cmpx_gt_i32_e64 s30, v1
	s_cbranch_execz .LBB23_51
; %bb.48:
	s_mov_b32 s3, 0
.LBB23_49:                              ; =>This Inner Loop Header: Depth=1
	v_ashrrev_i32_e32 v2, 31, v1
	s_delay_alu instid0(VALU_DEP_1) | instskip(SKIP_1) | instid1(VALU_DEP_2)
	v_lshlrev_b64 v[5:6], 3, v[1:2]
	v_add_nc_u32_e32 v1, 0x100, v1
	v_add_co_u32 v5, vcc_lo, s16, v5
	s_delay_alu instid0(VALU_DEP_3) | instskip(NEXT) | instid1(VALU_DEP_3)
	v_add_co_ci_u32_e32 v6, vcc_lo, s17, v6, vcc_lo
	v_cmp_le_i32_e32 vcc_lo, s30, v1
	global_load_b64 v[5:6], v[5:6], off
	s_or_b32 s3, vcc_lo, s3
	s_waitcnt vmcnt(0)
	v_add_f64 v[3:4], v[3:4], v[5:6]
	s_and_not1_b32 exec_lo, exec_lo, s3
	s_cbranch_execnz .LBB23_49
; %bb.50:
	s_or_b32 exec_lo, exec_lo, s3
.LBB23_51:
	s_delay_alu instid0(SALU_CYCLE_1)
	s_or_b32 exec_lo, exec_lo, s2
.LBB23_52:
	s_delay_alu instid0(SALU_CYCLE_1)
	s_or_b32 exec_lo, exec_lo, s1
	v_mbcnt_lo_u32_b32 v7, -1, 0
	s_cmpk_lt_u32 s0, 0x100
	s_cbranch_scc0 .LBB23_74
; %bb.53:
	s_delay_alu instid0(VALU_DEP_1) | instskip(SKIP_1) | instid1(VALU_DEP_3)
	v_cmp_ne_u32_e32 vcc_lo, 31, v7
	s_waitcnt vmcnt(0)
	v_dual_mov_b32 v9, v4 :: v_dual_mov_b32 v10, v3
	v_add_co_ci_u32_e32 v1, vcc_lo, 0, v7, vcc_lo
	s_delay_alu instid0(VALU_DEP_1) | instskip(SKIP_3) | instid1(VALU_DEP_1)
	v_lshlrev_b32_e32 v1, 2, v1
	ds_bpermute_b32 v5, v1, v3
	ds_bpermute_b32 v6, v1, v4
	v_and_b32_e32 v1, 0xe0, v0
	v_sub_nc_u32_e64 v8, s0, v1 clamp
	v_add_nc_u32_e32 v1, 1, v7
	s_delay_alu instid0(VALU_DEP_1)
	v_cmp_lt_u32_e32 vcc_lo, v1, v8
	v_dual_mov_b32 v1, v3 :: v_dual_mov_b32 v2, v4
	s_and_saveexec_b32 s1, vcc_lo
	s_cbranch_execz .LBB23_55
; %bb.54:
	s_waitcnt lgkmcnt(0)
	v_add_f64 v[1:2], v[3:4], v[5:6]
	s_delay_alu instid0(VALU_DEP_1)
	v_dual_mov_b32 v9, v2 :: v_dual_mov_b32 v10, v1
.LBB23_55:
	s_or_b32 exec_lo, exec_lo, s1
	v_cmp_gt_u32_e32 vcc_lo, 30, v7
	v_add_nc_u32_e32 v11, 2, v7
	s_mov_b32 s1, exec_lo
	s_waitcnt lgkmcnt(1)
	v_cndmask_b32_e64 v5, 0, 1, vcc_lo
	s_delay_alu instid0(VALU_DEP_1) | instskip(SKIP_1) | instid1(VALU_DEP_1)
	v_lshlrev_b32_e32 v5, 1, v5
	s_waitcnt lgkmcnt(0)
	v_add_lshl_u32 v6, v5, v7, 2
	ds_bpermute_b32 v5, v6, v10
	ds_bpermute_b32 v6, v6, v9
	v_cmpx_lt_u32_e64 v11, v8
	s_cbranch_execz .LBB23_57
; %bb.56:
	s_waitcnt lgkmcnt(0)
	v_add_f64 v[1:2], v[1:2], v[5:6]
	s_delay_alu instid0(VALU_DEP_1)
	v_dual_mov_b32 v9, v2 :: v_dual_mov_b32 v10, v1
.LBB23_57:
	s_or_b32 exec_lo, exec_lo, s1
	v_cmp_gt_u32_e32 vcc_lo, 28, v7
	v_add_nc_u32_e32 v11, 4, v7
	s_mov_b32 s1, exec_lo
	s_waitcnt lgkmcnt(1)
	v_cndmask_b32_e64 v5, 0, 1, vcc_lo
	s_delay_alu instid0(VALU_DEP_1) | instskip(SKIP_1) | instid1(VALU_DEP_1)
	v_lshlrev_b32_e32 v5, 2, v5
	s_waitcnt lgkmcnt(0)
	v_add_lshl_u32 v6, v5, v7, 2
	ds_bpermute_b32 v5, v6, v10
	ds_bpermute_b32 v6, v6, v9
	v_cmpx_lt_u32_e64 v11, v8
	;; [unrolled: 20-line block ×3, first 2 shown]
	s_cbranch_execz .LBB23_61
; %bb.60:
	s_waitcnt lgkmcnt(0)
	v_add_f64 v[1:2], v[1:2], v[5:6]
	s_delay_alu instid0(VALU_DEP_1)
	v_dual_mov_b32 v9, v2 :: v_dual_mov_b32 v10, v1
.LBB23_61:
	s_or_b32 exec_lo, exec_lo, s1
	v_cmp_gt_u32_e32 vcc_lo, 16, v7
	s_mov_b32 s1, exec_lo
	s_waitcnt lgkmcnt(1)
	v_cndmask_b32_e64 v5, 0, 1, vcc_lo
	s_delay_alu instid0(VALU_DEP_1) | instskip(SKIP_1) | instid1(VALU_DEP_1)
	v_lshlrev_b32_e32 v5, 4, v5
	s_waitcnt lgkmcnt(0)
	v_add_lshl_u32 v6, v5, v7, 2
	ds_bpermute_b32 v5, v6, v10
	ds_bpermute_b32 v6, v6, v9
	v_add_nc_u32_e32 v9, 16, v7
	s_delay_alu instid0(VALU_DEP_1)
	v_cmpx_lt_u32_e64 v9, v8
	s_cbranch_execz .LBB23_63
; %bb.62:
	s_waitcnt lgkmcnt(0)
	v_add_f64 v[1:2], v[1:2], v[5:6]
.LBB23_63:
	s_or_b32 exec_lo, exec_lo, s1
	s_delay_alu instid0(SALU_CYCLE_1)
	s_mov_b32 s1, exec_lo
	v_cmpx_eq_u32_e32 0, v7
	s_cbranch_execz .LBB23_65
; %bb.64:
	s_waitcnt lgkmcnt(1)
	v_lshrrev_b32_e32 v5, 2, v0
	s_delay_alu instid0(VALU_DEP_1)
	v_and_b32_e32 v5, 56, v5
	ds_store_b64 v5, v[1:2]
.LBB23_65:
	s_or_b32 exec_lo, exec_lo, s1
	s_delay_alu instid0(SALU_CYCLE_1)
	s_mov_b32 s1, exec_lo
	s_waitcnt lgkmcnt(0)
	s_barrier
	buffer_gl0_inv
	v_cmpx_gt_u32_e32 8, v0
	s_cbranch_execz .LBB23_73
; %bb.66:
	v_lshlrev_b32_e32 v1, 3, v7
	v_and_b32_e32 v8, 7, v7
	s_add_i32 s0, s0, 31
	s_mov_b32 s2, exec_lo
	s_lshr_b32 s0, s0, 5
	ds_load_b64 v[1:2], v1
	v_cmp_ne_u32_e32 vcc_lo, 7, v8
	v_add_nc_u32_e32 v9, 1, v8
	v_add_co_ci_u32_e32 v5, vcc_lo, 0, v7, vcc_lo
	s_delay_alu instid0(VALU_DEP_1)
	v_lshlrev_b32_e32 v6, 2, v5
	s_waitcnt lgkmcnt(0)
	ds_bpermute_b32 v5, v6, v1
	ds_bpermute_b32 v6, v6, v2
	v_cmpx_gt_u32_e64 s0, v9
	s_cbranch_execz .LBB23_68
; %bb.67:
	s_waitcnt lgkmcnt(0)
	v_add_f64 v[1:2], v[1:2], v[5:6]
.LBB23_68:
	s_or_b32 exec_lo, exec_lo, s2
	v_cmp_gt_u32_e32 vcc_lo, 6, v8
	v_add_nc_u32_e32 v9, 2, v8
	s_mov_b32 s2, exec_lo
	s_waitcnt lgkmcnt(1)
	v_cndmask_b32_e64 v5, 0, 1, vcc_lo
	s_delay_alu instid0(VALU_DEP_1) | instskip(SKIP_1) | instid1(VALU_DEP_1)
	v_lshlrev_b32_e32 v5, 1, v5
	s_waitcnt lgkmcnt(0)
	v_add_lshl_u32 v6, v5, v7, 2
	ds_bpermute_b32 v5, v6, v1
	ds_bpermute_b32 v6, v6, v2
	v_cmpx_gt_u32_e64 s0, v9
	s_cbranch_execz .LBB23_70
; %bb.69:
	s_waitcnt lgkmcnt(0)
	v_add_f64 v[1:2], v[1:2], v[5:6]
.LBB23_70:
	s_or_b32 exec_lo, exec_lo, s2
	v_cmp_gt_u32_e32 vcc_lo, 4, v8
	v_add_nc_u32_e32 v8, 4, v8
	s_waitcnt lgkmcnt(1)
	v_cndmask_b32_e64 v5, 0, 1, vcc_lo
	s_delay_alu instid0(VALU_DEP_2) | instskip(NEXT) | instid1(VALU_DEP_2)
	v_cmp_gt_u32_e32 vcc_lo, s0, v8
	v_lshlrev_b32_e32 v5, 2, v5
	s_waitcnt lgkmcnt(0)
	s_delay_alu instid0(VALU_DEP_1)
	v_add_lshl_u32 v6, v5, v7, 2
	ds_bpermute_b32 v5, v6, v1
	ds_bpermute_b32 v6, v6, v2
	s_and_saveexec_b32 s0, vcc_lo
	s_cbranch_execz .LBB23_72
; %bb.71:
	s_waitcnt lgkmcnt(0)
	v_add_f64 v[1:2], v[1:2], v[5:6]
.LBB23_72:
	s_or_b32 exec_lo, exec_lo, s0
.LBB23_73:
	s_delay_alu instid0(SALU_CYCLE_1)
	s_or_b32 exec_lo, exec_lo, s1
	s_branch .LBB23_80
.LBB23_74:
                                        ; implicit-def: $vgpr1_vgpr2
	s_cbranch_execz .LBB23_80
; %bb.75:
	s_waitcnt vmcnt(0)
	s_delay_alu instid0(VALU_DEP_2) | instskip(NEXT) | instid1(VALU_DEP_3)
	v_mov_b32_dpp v1, v3 quad_perm:[1,0,3,2] row_mask:0xf bank_mask:0xf
	v_mov_b32_dpp v2, v4 quad_perm:[1,0,3,2] row_mask:0xf bank_mask:0xf
	s_mov_b32 s0, exec_lo
	s_delay_alu instid0(VALU_DEP_1) | instskip(NEXT) | instid1(VALU_DEP_1)
	v_add_f64 v[1:2], v[3:4], v[1:2]
	v_mov_b32_dpp v3, v1 quad_perm:[2,3,0,1] row_mask:0xf bank_mask:0xf
	s_delay_alu instid0(VALU_DEP_2) | instskip(NEXT) | instid1(VALU_DEP_1)
	v_mov_b32_dpp v4, v2 quad_perm:[2,3,0,1] row_mask:0xf bank_mask:0xf
	v_add_f64 v[1:2], v[1:2], v[3:4]
	s_delay_alu instid0(VALU_DEP_1) | instskip(NEXT) | instid1(VALU_DEP_2)
	v_mov_b32_dpp v3, v1 row_ror:4 row_mask:0xf bank_mask:0xf
	v_mov_b32_dpp v4, v2 row_ror:4 row_mask:0xf bank_mask:0xf
	s_delay_alu instid0(VALU_DEP_1) | instskip(NEXT) | instid1(VALU_DEP_1)
	v_add_f64 v[1:2], v[1:2], v[3:4]
	v_mov_b32_dpp v3, v1 row_ror:8 row_mask:0xf bank_mask:0xf
	s_delay_alu instid0(VALU_DEP_2) | instskip(NEXT) | instid1(VALU_DEP_1)
	v_mov_b32_dpp v4, v2 row_ror:8 row_mask:0xf bank_mask:0xf
	v_add_f64 v[1:2], v[1:2], v[3:4]
	ds_swizzle_b32 v3, v1 offset:swizzle(BROADCAST,32,15)
	ds_swizzle_b32 v4, v2 offset:swizzle(BROADCAST,32,15)
	s_waitcnt lgkmcnt(0)
	v_add_f64 v[1:2], v[1:2], v[3:4]
	v_mov_b32_e32 v3, 0
	ds_bpermute_b32 v1, v3, v1 offset:124
	ds_bpermute_b32 v2, v3, v2 offset:124
	v_cmpx_eq_u32_e32 0, v7
	s_cbranch_execz .LBB23_77
; %bb.76:
	v_lshrrev_b32_e32 v3, 2, v0
	s_delay_alu instid0(VALU_DEP_1)
	v_and_b32_e32 v3, 56, v3
	s_waitcnt lgkmcnt(0)
	ds_store_b64 v3, v[1:2]
.LBB23_77:
	s_or_b32 exec_lo, exec_lo, s0
	s_delay_alu instid0(SALU_CYCLE_1)
	s_mov_b32 s0, exec_lo
	s_waitcnt lgkmcnt(0)
	s_barrier
	buffer_gl0_inv
	v_cmpx_gt_u32_e32 32, v0
	s_cbranch_execz .LBB23_79
; %bb.78:
	v_and_b32_e32 v5, 7, v7
	s_delay_alu instid0(VALU_DEP_1) | instskip(SKIP_4) | instid1(VALU_DEP_2)
	v_lshlrev_b32_e32 v1, 3, v5
	v_cmp_ne_u32_e32 vcc_lo, 7, v5
	ds_load_b64 v[1:2], v1
	v_add_co_ci_u32_e32 v3, vcc_lo, 0, v7, vcc_lo
	v_cmp_gt_u32_e32 vcc_lo, 6, v5
	v_lshlrev_b32_e32 v4, 2, v3
	s_waitcnt lgkmcnt(0)
	ds_bpermute_b32 v3, v4, v1
	ds_bpermute_b32 v4, v4, v2
	s_waitcnt lgkmcnt(0)
	v_add_f64 v[1:2], v[1:2], v[3:4]
	v_cndmask_b32_e64 v3, 0, 1, vcc_lo
	v_cmp_gt_u32_e32 vcc_lo, 4, v5
	s_delay_alu instid0(VALU_DEP_2) | instskip(NEXT) | instid1(VALU_DEP_1)
	v_lshlrev_b32_e32 v3, 1, v3
	v_add_lshl_u32 v4, v3, v7, 2
	ds_bpermute_b32 v3, v4, v1
	ds_bpermute_b32 v4, v4, v2
	s_waitcnt lgkmcnt(0)
	v_add_f64 v[1:2], v[1:2], v[3:4]
	v_cndmask_b32_e64 v3, 0, 1, vcc_lo
	s_delay_alu instid0(VALU_DEP_1) | instskip(NEXT) | instid1(VALU_DEP_1)
	v_lshlrev_b32_e32 v3, 2, v3
	v_add_lshl_u32 v4, v3, v7, 2
	ds_bpermute_b32 v3, v4, v1
	ds_bpermute_b32 v4, v4, v2
	s_waitcnt lgkmcnt(0)
	v_add_f64 v[1:2], v[1:2], v[3:4]
.LBB23_79:
	s_or_b32 exec_lo, exec_lo, s0
.LBB23_80:
	s_delay_alu instid0(SALU_CYCLE_1)
	s_mov_b32 s0, exec_lo
                                        ; implicit-def: $vgpr3_vgpr4
	v_cmpx_eq_u32_e32 0, v0
	s_cbranch_execz .LBB23_82
; %bb.81:
	s_waitcnt vmcnt(0)
	s_delay_alu instid0(VALU_DEP_2)
	v_add_f64 v[3:4], s[26:27], v[1:2]
	s_or_b32 s15, s15, exec_lo
.LBB23_82:
	s_or_b32 exec_lo, exec_lo, s0
	s_and_saveexec_b32 s0, s15
	s_cbranch_execz .LBB23_84
.LBB23_83:
	s_lshl_b64 s[0:1], s[20:21], 3
	v_mov_b32_e32 v0, 0
	s_add_u32 s2, s18, s0
	s_addc_u32 s3, s19, s1
	s_lshl_b64 s[0:1], s[24:25], 3
	s_delay_alu instid0(SALU_CYCLE_1)
	s_add_u32 s0, s2, s0
	s_addc_u32 s1, s3, s1
	s_waitcnt vmcnt(0)
	global_store_b64 v0, v[3:4], s[0:1]
.LBB23_84:
	s_nop 0
	s_sendmsg sendmsg(MSG_DEALLOC_VGPRS)
	s_endpgm
	.section	.rodata,"a",@progbits
	.p2align	6, 0x0
	.amdhsa_kernel _ZN7rocprim17ROCPRIM_400000_NS6detail17trampoline_kernelINS0_14default_configENS1_32segmented_reduce_config_selectorIdEEZNS1_21segmented_reduce_implIS3_PKdPdPKidN6hipcub16HIPCUB_304000_NS6detail27convert_result_type_wrapperIS8_S9_N2at6native12_GLOBAL__N_19CustomSumEEEEE10hipError_tPvRmT0_T1_jT2_SQ_T4_T3_P12ihipStream_tbEUlT_E_NS1_11comp_targetILNS1_3genE9ELNS1_11target_archE1100ELNS1_3gpuE3ELNS1_3repE0EEENS1_30default_config_static_selectorELNS0_4arch9wavefront6targetE0EEEvSP_
		.amdhsa_group_segment_fixed_size 64
		.amdhsa_private_segment_fixed_size 0
		.amdhsa_kernarg_size 56
		.amdhsa_user_sgpr_count 15
		.amdhsa_user_sgpr_dispatch_ptr 0
		.amdhsa_user_sgpr_queue_ptr 0
		.amdhsa_user_sgpr_kernarg_segment_ptr 1
		.amdhsa_user_sgpr_dispatch_id 0
		.amdhsa_user_sgpr_private_segment_size 0
		.amdhsa_wavefront_size32 1
		.amdhsa_uses_dynamic_stack 0
		.amdhsa_enable_private_segment 0
		.amdhsa_system_sgpr_workgroup_id_x 1
		.amdhsa_system_sgpr_workgroup_id_y 0
		.amdhsa_system_sgpr_workgroup_id_z 0
		.amdhsa_system_sgpr_workgroup_info 0
		.amdhsa_system_vgpr_workitem_id 0
		.amdhsa_next_free_vgpr 40
		.amdhsa_next_free_sgpr 31
		.amdhsa_reserve_vcc 1
		.amdhsa_float_round_mode_32 0
		.amdhsa_float_round_mode_16_64 0
		.amdhsa_float_denorm_mode_32 3
		.amdhsa_float_denorm_mode_16_64 3
		.amdhsa_dx10_clamp 1
		.amdhsa_ieee_mode 1
		.amdhsa_fp16_overflow 0
		.amdhsa_workgroup_processor_mode 1
		.amdhsa_memory_ordered 1
		.amdhsa_forward_progress 0
		.amdhsa_shared_vgpr_count 0
		.amdhsa_exception_fp_ieee_invalid_op 0
		.amdhsa_exception_fp_denorm_src 0
		.amdhsa_exception_fp_ieee_div_zero 0
		.amdhsa_exception_fp_ieee_overflow 0
		.amdhsa_exception_fp_ieee_underflow 0
		.amdhsa_exception_fp_ieee_inexact 0
		.amdhsa_exception_int_div_zero 0
	.end_amdhsa_kernel
	.section	.text._ZN7rocprim17ROCPRIM_400000_NS6detail17trampoline_kernelINS0_14default_configENS1_32segmented_reduce_config_selectorIdEEZNS1_21segmented_reduce_implIS3_PKdPdPKidN6hipcub16HIPCUB_304000_NS6detail27convert_result_type_wrapperIS8_S9_N2at6native12_GLOBAL__N_19CustomSumEEEEE10hipError_tPvRmT0_T1_jT2_SQ_T4_T3_P12ihipStream_tbEUlT_E_NS1_11comp_targetILNS1_3genE9ELNS1_11target_archE1100ELNS1_3gpuE3ELNS1_3repE0EEENS1_30default_config_static_selectorELNS0_4arch9wavefront6targetE0EEEvSP_,"axG",@progbits,_ZN7rocprim17ROCPRIM_400000_NS6detail17trampoline_kernelINS0_14default_configENS1_32segmented_reduce_config_selectorIdEEZNS1_21segmented_reduce_implIS3_PKdPdPKidN6hipcub16HIPCUB_304000_NS6detail27convert_result_type_wrapperIS8_S9_N2at6native12_GLOBAL__N_19CustomSumEEEEE10hipError_tPvRmT0_T1_jT2_SQ_T4_T3_P12ihipStream_tbEUlT_E_NS1_11comp_targetILNS1_3genE9ELNS1_11target_archE1100ELNS1_3gpuE3ELNS1_3repE0EEENS1_30default_config_static_selectorELNS0_4arch9wavefront6targetE0EEEvSP_,comdat
.Lfunc_end23:
	.size	_ZN7rocprim17ROCPRIM_400000_NS6detail17trampoline_kernelINS0_14default_configENS1_32segmented_reduce_config_selectorIdEEZNS1_21segmented_reduce_implIS3_PKdPdPKidN6hipcub16HIPCUB_304000_NS6detail27convert_result_type_wrapperIS8_S9_N2at6native12_GLOBAL__N_19CustomSumEEEEE10hipError_tPvRmT0_T1_jT2_SQ_T4_T3_P12ihipStream_tbEUlT_E_NS1_11comp_targetILNS1_3genE9ELNS1_11target_archE1100ELNS1_3gpuE3ELNS1_3repE0EEENS1_30default_config_static_selectorELNS0_4arch9wavefront6targetE0EEEvSP_, .Lfunc_end23-_ZN7rocprim17ROCPRIM_400000_NS6detail17trampoline_kernelINS0_14default_configENS1_32segmented_reduce_config_selectorIdEEZNS1_21segmented_reduce_implIS3_PKdPdPKidN6hipcub16HIPCUB_304000_NS6detail27convert_result_type_wrapperIS8_S9_N2at6native12_GLOBAL__N_19CustomSumEEEEE10hipError_tPvRmT0_T1_jT2_SQ_T4_T3_P12ihipStream_tbEUlT_E_NS1_11comp_targetILNS1_3genE9ELNS1_11target_archE1100ELNS1_3gpuE3ELNS1_3repE0EEENS1_30default_config_static_selectorELNS0_4arch9wavefront6targetE0EEEvSP_
                                        ; -- End function
	.section	.AMDGPU.csdata,"",@progbits
; Kernel info:
; codeLenInByte = 4544
; NumSgprs: 33
; NumVgprs: 40
; ScratchSize: 0
; MemoryBound: 0
; FloatMode: 240
; IeeeMode: 1
; LDSByteSize: 64 bytes/workgroup (compile time only)
; SGPRBlocks: 4
; VGPRBlocks: 4
; NumSGPRsForWavesPerEU: 33
; NumVGPRsForWavesPerEU: 40
; Occupancy: 16
; WaveLimiterHint : 1
; COMPUTE_PGM_RSRC2:SCRATCH_EN: 0
; COMPUTE_PGM_RSRC2:USER_SGPR: 15
; COMPUTE_PGM_RSRC2:TRAP_HANDLER: 0
; COMPUTE_PGM_RSRC2:TGID_X_EN: 1
; COMPUTE_PGM_RSRC2:TGID_Y_EN: 0
; COMPUTE_PGM_RSRC2:TGID_Z_EN: 0
; COMPUTE_PGM_RSRC2:TIDIG_COMP_CNT: 0
	.section	.text._ZN7rocprim17ROCPRIM_400000_NS6detail17trampoline_kernelINS0_14default_configENS1_32segmented_reduce_config_selectorIdEEZNS1_21segmented_reduce_implIS3_PKdPdPKidN6hipcub16HIPCUB_304000_NS6detail27convert_result_type_wrapperIS8_S9_N2at6native12_GLOBAL__N_19CustomSumEEEEE10hipError_tPvRmT0_T1_jT2_SQ_T4_T3_P12ihipStream_tbEUlT_E_NS1_11comp_targetILNS1_3genE8ELNS1_11target_archE1030ELNS1_3gpuE2ELNS1_3repE0EEENS1_30default_config_static_selectorELNS0_4arch9wavefront6targetE0EEEvSP_,"axG",@progbits,_ZN7rocprim17ROCPRIM_400000_NS6detail17trampoline_kernelINS0_14default_configENS1_32segmented_reduce_config_selectorIdEEZNS1_21segmented_reduce_implIS3_PKdPdPKidN6hipcub16HIPCUB_304000_NS6detail27convert_result_type_wrapperIS8_S9_N2at6native12_GLOBAL__N_19CustomSumEEEEE10hipError_tPvRmT0_T1_jT2_SQ_T4_T3_P12ihipStream_tbEUlT_E_NS1_11comp_targetILNS1_3genE8ELNS1_11target_archE1030ELNS1_3gpuE2ELNS1_3repE0EEENS1_30default_config_static_selectorELNS0_4arch9wavefront6targetE0EEEvSP_,comdat
	.globl	_ZN7rocprim17ROCPRIM_400000_NS6detail17trampoline_kernelINS0_14default_configENS1_32segmented_reduce_config_selectorIdEEZNS1_21segmented_reduce_implIS3_PKdPdPKidN6hipcub16HIPCUB_304000_NS6detail27convert_result_type_wrapperIS8_S9_N2at6native12_GLOBAL__N_19CustomSumEEEEE10hipError_tPvRmT0_T1_jT2_SQ_T4_T3_P12ihipStream_tbEUlT_E_NS1_11comp_targetILNS1_3genE8ELNS1_11target_archE1030ELNS1_3gpuE2ELNS1_3repE0EEENS1_30default_config_static_selectorELNS0_4arch9wavefront6targetE0EEEvSP_ ; -- Begin function _ZN7rocprim17ROCPRIM_400000_NS6detail17trampoline_kernelINS0_14default_configENS1_32segmented_reduce_config_selectorIdEEZNS1_21segmented_reduce_implIS3_PKdPdPKidN6hipcub16HIPCUB_304000_NS6detail27convert_result_type_wrapperIS8_S9_N2at6native12_GLOBAL__N_19CustomSumEEEEE10hipError_tPvRmT0_T1_jT2_SQ_T4_T3_P12ihipStream_tbEUlT_E_NS1_11comp_targetILNS1_3genE8ELNS1_11target_archE1030ELNS1_3gpuE2ELNS1_3repE0EEENS1_30default_config_static_selectorELNS0_4arch9wavefront6targetE0EEEvSP_
	.p2align	8
	.type	_ZN7rocprim17ROCPRIM_400000_NS6detail17trampoline_kernelINS0_14default_configENS1_32segmented_reduce_config_selectorIdEEZNS1_21segmented_reduce_implIS3_PKdPdPKidN6hipcub16HIPCUB_304000_NS6detail27convert_result_type_wrapperIS8_S9_N2at6native12_GLOBAL__N_19CustomSumEEEEE10hipError_tPvRmT0_T1_jT2_SQ_T4_T3_P12ihipStream_tbEUlT_E_NS1_11comp_targetILNS1_3genE8ELNS1_11target_archE1030ELNS1_3gpuE2ELNS1_3repE0EEENS1_30default_config_static_selectorELNS0_4arch9wavefront6targetE0EEEvSP_,@function
_ZN7rocprim17ROCPRIM_400000_NS6detail17trampoline_kernelINS0_14default_configENS1_32segmented_reduce_config_selectorIdEEZNS1_21segmented_reduce_implIS3_PKdPdPKidN6hipcub16HIPCUB_304000_NS6detail27convert_result_type_wrapperIS8_S9_N2at6native12_GLOBAL__N_19CustomSumEEEEE10hipError_tPvRmT0_T1_jT2_SQ_T4_T3_P12ihipStream_tbEUlT_E_NS1_11comp_targetILNS1_3genE8ELNS1_11target_archE1030ELNS1_3gpuE2ELNS1_3repE0EEENS1_30default_config_static_selectorELNS0_4arch9wavefront6targetE0EEEvSP_: ; @_ZN7rocprim17ROCPRIM_400000_NS6detail17trampoline_kernelINS0_14default_configENS1_32segmented_reduce_config_selectorIdEEZNS1_21segmented_reduce_implIS3_PKdPdPKidN6hipcub16HIPCUB_304000_NS6detail27convert_result_type_wrapperIS8_S9_N2at6native12_GLOBAL__N_19CustomSumEEEEE10hipError_tPvRmT0_T1_jT2_SQ_T4_T3_P12ihipStream_tbEUlT_E_NS1_11comp_targetILNS1_3genE8ELNS1_11target_archE1030ELNS1_3gpuE2ELNS1_3repE0EEENS1_30default_config_static_selectorELNS0_4arch9wavefront6targetE0EEEvSP_
; %bb.0:
	.section	.rodata,"a",@progbits
	.p2align	6, 0x0
	.amdhsa_kernel _ZN7rocprim17ROCPRIM_400000_NS6detail17trampoline_kernelINS0_14default_configENS1_32segmented_reduce_config_selectorIdEEZNS1_21segmented_reduce_implIS3_PKdPdPKidN6hipcub16HIPCUB_304000_NS6detail27convert_result_type_wrapperIS8_S9_N2at6native12_GLOBAL__N_19CustomSumEEEEE10hipError_tPvRmT0_T1_jT2_SQ_T4_T3_P12ihipStream_tbEUlT_E_NS1_11comp_targetILNS1_3genE8ELNS1_11target_archE1030ELNS1_3gpuE2ELNS1_3repE0EEENS1_30default_config_static_selectorELNS0_4arch9wavefront6targetE0EEEvSP_
		.amdhsa_group_segment_fixed_size 0
		.amdhsa_private_segment_fixed_size 0
		.amdhsa_kernarg_size 56
		.amdhsa_user_sgpr_count 15
		.amdhsa_user_sgpr_dispatch_ptr 0
		.amdhsa_user_sgpr_queue_ptr 0
		.amdhsa_user_sgpr_kernarg_segment_ptr 1
		.amdhsa_user_sgpr_dispatch_id 0
		.amdhsa_user_sgpr_private_segment_size 0
		.amdhsa_wavefront_size32 1
		.amdhsa_uses_dynamic_stack 0
		.amdhsa_enable_private_segment 0
		.amdhsa_system_sgpr_workgroup_id_x 1
		.amdhsa_system_sgpr_workgroup_id_y 0
		.amdhsa_system_sgpr_workgroup_id_z 0
		.amdhsa_system_sgpr_workgroup_info 0
		.amdhsa_system_vgpr_workitem_id 0
		.amdhsa_next_free_vgpr 1
		.amdhsa_next_free_sgpr 1
		.amdhsa_reserve_vcc 0
		.amdhsa_float_round_mode_32 0
		.amdhsa_float_round_mode_16_64 0
		.amdhsa_float_denorm_mode_32 3
		.amdhsa_float_denorm_mode_16_64 3
		.amdhsa_dx10_clamp 1
		.amdhsa_ieee_mode 1
		.amdhsa_fp16_overflow 0
		.amdhsa_workgroup_processor_mode 1
		.amdhsa_memory_ordered 1
		.amdhsa_forward_progress 0
		.amdhsa_shared_vgpr_count 0
		.amdhsa_exception_fp_ieee_invalid_op 0
		.amdhsa_exception_fp_denorm_src 0
		.amdhsa_exception_fp_ieee_div_zero 0
		.amdhsa_exception_fp_ieee_overflow 0
		.amdhsa_exception_fp_ieee_underflow 0
		.amdhsa_exception_fp_ieee_inexact 0
		.amdhsa_exception_int_div_zero 0
	.end_amdhsa_kernel
	.section	.text._ZN7rocprim17ROCPRIM_400000_NS6detail17trampoline_kernelINS0_14default_configENS1_32segmented_reduce_config_selectorIdEEZNS1_21segmented_reduce_implIS3_PKdPdPKidN6hipcub16HIPCUB_304000_NS6detail27convert_result_type_wrapperIS8_S9_N2at6native12_GLOBAL__N_19CustomSumEEEEE10hipError_tPvRmT0_T1_jT2_SQ_T4_T3_P12ihipStream_tbEUlT_E_NS1_11comp_targetILNS1_3genE8ELNS1_11target_archE1030ELNS1_3gpuE2ELNS1_3repE0EEENS1_30default_config_static_selectorELNS0_4arch9wavefront6targetE0EEEvSP_,"axG",@progbits,_ZN7rocprim17ROCPRIM_400000_NS6detail17trampoline_kernelINS0_14default_configENS1_32segmented_reduce_config_selectorIdEEZNS1_21segmented_reduce_implIS3_PKdPdPKidN6hipcub16HIPCUB_304000_NS6detail27convert_result_type_wrapperIS8_S9_N2at6native12_GLOBAL__N_19CustomSumEEEEE10hipError_tPvRmT0_T1_jT2_SQ_T4_T3_P12ihipStream_tbEUlT_E_NS1_11comp_targetILNS1_3genE8ELNS1_11target_archE1030ELNS1_3gpuE2ELNS1_3repE0EEENS1_30default_config_static_selectorELNS0_4arch9wavefront6targetE0EEEvSP_,comdat
.Lfunc_end24:
	.size	_ZN7rocprim17ROCPRIM_400000_NS6detail17trampoline_kernelINS0_14default_configENS1_32segmented_reduce_config_selectorIdEEZNS1_21segmented_reduce_implIS3_PKdPdPKidN6hipcub16HIPCUB_304000_NS6detail27convert_result_type_wrapperIS8_S9_N2at6native12_GLOBAL__N_19CustomSumEEEEE10hipError_tPvRmT0_T1_jT2_SQ_T4_T3_P12ihipStream_tbEUlT_E_NS1_11comp_targetILNS1_3genE8ELNS1_11target_archE1030ELNS1_3gpuE2ELNS1_3repE0EEENS1_30default_config_static_selectorELNS0_4arch9wavefront6targetE0EEEvSP_, .Lfunc_end24-_ZN7rocprim17ROCPRIM_400000_NS6detail17trampoline_kernelINS0_14default_configENS1_32segmented_reduce_config_selectorIdEEZNS1_21segmented_reduce_implIS3_PKdPdPKidN6hipcub16HIPCUB_304000_NS6detail27convert_result_type_wrapperIS8_S9_N2at6native12_GLOBAL__N_19CustomSumEEEEE10hipError_tPvRmT0_T1_jT2_SQ_T4_T3_P12ihipStream_tbEUlT_E_NS1_11comp_targetILNS1_3genE8ELNS1_11target_archE1030ELNS1_3gpuE2ELNS1_3repE0EEENS1_30default_config_static_selectorELNS0_4arch9wavefront6targetE0EEEvSP_
                                        ; -- End function
	.section	.AMDGPU.csdata,"",@progbits
; Kernel info:
; codeLenInByte = 0
; NumSgprs: 0
; NumVgprs: 0
; ScratchSize: 0
; MemoryBound: 0
; FloatMode: 240
; IeeeMode: 1
; LDSByteSize: 0 bytes/workgroup (compile time only)
; SGPRBlocks: 0
; VGPRBlocks: 0
; NumSGPRsForWavesPerEU: 1
; NumVGPRsForWavesPerEU: 1
; Occupancy: 16
; WaveLimiterHint : 0
; COMPUTE_PGM_RSRC2:SCRATCH_EN: 0
; COMPUTE_PGM_RSRC2:USER_SGPR: 15
; COMPUTE_PGM_RSRC2:TRAP_HANDLER: 0
; COMPUTE_PGM_RSRC2:TGID_X_EN: 1
; COMPUTE_PGM_RSRC2:TGID_Y_EN: 0
; COMPUTE_PGM_RSRC2:TGID_Z_EN: 0
; COMPUTE_PGM_RSRC2:TIDIG_COMP_CNT: 0
	.section	.text._ZN2at6native12_GLOBAL__N_119post_sum_div_kernelIdiEEvPT_PKT0_lbS3_,"axG",@progbits,_ZN2at6native12_GLOBAL__N_119post_sum_div_kernelIdiEEvPT_PKT0_lbS3_,comdat
	.globl	_ZN2at6native12_GLOBAL__N_119post_sum_div_kernelIdiEEvPT_PKT0_lbS3_ ; -- Begin function _ZN2at6native12_GLOBAL__N_119post_sum_div_kernelIdiEEvPT_PKT0_lbS3_
	.p2align	8
	.type	_ZN2at6native12_GLOBAL__N_119post_sum_div_kernelIdiEEvPT_PKT0_lbS3_,@function
_ZN2at6native12_GLOBAL__N_119post_sum_div_kernelIdiEEvPT_PKT0_lbS3_: ; @_ZN2at6native12_GLOBAL__N_119post_sum_div_kernelIdiEEvPT_PKT0_lbS3_
; %bb.0:
	s_clause 0x1
	s_load_b32 s6, s[0:1], 0x34
	s_load_b64 s[2:3], s[0:1], 0x10
	v_mov_b32_e32 v1, 0
	s_add_u32 s4, s0, 40
	s_addc_u32 s5, s1, 0
	s_waitcnt lgkmcnt(0)
	s_and_b32 s8, s6, 0xffff
	s_mov_b32 s6, exec_lo
	v_mad_u64_u32 v[2:3], null, s8, s15, v[0:1]
	s_delay_alu instid0(VALU_DEP_1)
	v_cmpx_gt_i64_e64 s[2:3], v[2:3]
	s_cbranch_execz .LBB25_12
; %bb.1:
	s_load_b32 s9, s[0:1], 0x18
	s_load_b32 s10, s[4:5], 0x0
	s_clause 0x1
	s_load_b64 s[12:13], s[0:1], 0x20
	s_load_b128 s[4:7], s[0:1], 0x0
	v_dual_mov_b32 v0, v1 :: v_dual_mov_b32 v1, v2
	s_mov_b32 s1, 0
                                        ; implicit-def: $sgpr11
                                        ; implicit-def: $sgpr14
	s_waitcnt lgkmcnt(0)
	s_bitcmp1_b32 s9, 0
	s_mul_i32 s10, s10, s8
	s_cselect_b32 s9, s13, 0x7ff80000
	s_cselect_b32 s8, s12, 0
	s_mov_b32 s12, s10
                                        ; implicit-def: $sgpr13
	s_branch .LBB25_4
.LBB25_2:                               ;   in Loop: Header=BB25_4 Depth=1
	s_or_b32 exec_lo, exec_lo, s0
	v_add_co_u32 v2, vcc_lo, v2, s10
	v_add_co_ci_u32_e32 v3, vcc_lo, 0, v3, vcc_lo
	v_add_co_u32 v0, s0, v0, 0
	s_delay_alu instid0(VALU_DEP_1) | instskip(NEXT) | instid1(VALU_DEP_3)
	v_add_co_ci_u32_e64 v1, s0, s12, v1, s0
	v_cmp_le_i64_e32 vcc_lo, s[2:3], v[2:3]
	s_and_not1_b32 s0, s14, exec_lo
	s_and_not1_b32 s13, s13, exec_lo
	s_and_b32 s14, vcc_lo, exec_lo
	s_delay_alu instid0(SALU_CYCLE_1)
	s_or_b32 s14, s0, s14
.LBB25_3:                               ;   in Loop: Header=BB25_4 Depth=1
	s_or_b32 exec_lo, exec_lo, s15
	s_delay_alu instid0(SALU_CYCLE_1) | instskip(NEXT) | instid1(SALU_CYCLE_1)
	s_and_b32 s0, exec_lo, s14
	s_or_b32 s1, s0, s1
	s_and_not1_b32 s0, s11, exec_lo
	s_and_b32 s11, s13, exec_lo
	s_delay_alu instid0(SALU_CYCLE_1)
	s_or_b32 s11, s0, s11
	s_and_not1_b32 exec_lo, exec_lo, s1
	s_cbranch_execz .LBB25_11
.LBB25_4:                               ; =>This Inner Loop Header: Depth=1
	v_ashrrev_i64 v[4:5], 30, v[0:1]
	s_or_b32 s13, s13, exec_lo
	s_or_b32 s14, s14, exec_lo
	s_mov_b32 s15, exec_lo
	s_delay_alu instid0(VALU_DEP_1) | instskip(NEXT) | instid1(VALU_DEP_2)
	v_add_co_u32 v4, vcc_lo, s6, v4
	v_add_co_ci_u32_e32 v5, vcc_lo, s7, v5, vcc_lo
	global_load_b32 v10, v[4:5], off
	s_waitcnt vmcnt(0)
	v_cmpx_lt_i32_e32 -1, v10
	s_cbranch_execz .LBB25_3
; %bb.5:                                ;   in Loop: Header=BB25_4 Depth=1
	v_ashrrev_i32_e32 v5, 31, v1
	v_mov_b32_e32 v4, v1
	v_dual_mov_b32 v6, s8 :: v_dual_mov_b32 v7, s9
	s_mov_b32 s16, -1
	s_delay_alu instid0(VALU_DEP_2) | instskip(NEXT) | instid1(VALU_DEP_1)
	v_lshlrev_b64 v[4:5], 3, v[4:5]
	v_add_co_u32 v4, s0, s4, v4
	s_delay_alu instid0(VALU_DEP_1)
	v_add_co_ci_u32_e64 v5, s0, s5, v5, s0
	s_mov_b32 s0, exec_lo
	v_cmpx_ne_u32_e32 0, v10
	s_cbranch_execz .LBB25_9
; %bb.6:                                ;   in Loop: Header=BB25_4 Depth=1
	global_load_b64 v[8:9], v[4:5], off
	s_mov_b32 s16, 0
	s_mov_b32 s17, exec_lo
                                        ; implicit-def: $vgpr6_vgpr7
	s_waitcnt vmcnt(0)
	v_cmpx_o_f64_e32 v[8:9], v[8:9]
	s_cbranch_execz .LBB25_8
; %bb.7:                                ;   in Loop: Header=BB25_4 Depth=1
	v_cvt_f64_u32_e32 v[6:7], v10
	s_mov_b32 s16, exec_lo
	s_delay_alu instid0(VALU_DEP_1) | instskip(NEXT) | instid1(VALU_DEP_1)
	v_div_scale_f64 v[10:11], null, v[6:7], v[6:7], v[8:9]
	v_rcp_f64_e32 v[12:13], v[10:11]
	s_waitcnt_depctr 0xfff
	v_fma_f64 v[14:15], -v[10:11], v[12:13], 1.0
	s_delay_alu instid0(VALU_DEP_1) | instskip(NEXT) | instid1(VALU_DEP_1)
	v_fma_f64 v[12:13], v[12:13], v[14:15], v[12:13]
	v_fma_f64 v[14:15], -v[10:11], v[12:13], 1.0
	s_delay_alu instid0(VALU_DEP_1) | instskip(SKIP_1) | instid1(VALU_DEP_1)
	v_fma_f64 v[12:13], v[12:13], v[14:15], v[12:13]
	v_div_scale_f64 v[14:15], vcc_lo, v[8:9], v[6:7], v[8:9]
	v_mul_f64 v[16:17], v[14:15], v[12:13]
	s_delay_alu instid0(VALU_DEP_1) | instskip(NEXT) | instid1(VALU_DEP_1)
	v_fma_f64 v[10:11], -v[10:11], v[16:17], v[14:15]
	v_div_fmas_f64 v[10:11], v[10:11], v[12:13], v[16:17]
	s_delay_alu instid0(VALU_DEP_1)
	v_div_fixup_f64 v[6:7], v[10:11], v[6:7], v[8:9]
.LBB25_8:                               ;   in Loop: Header=BB25_4 Depth=1
	s_or_b32 exec_lo, exec_lo, s17
	s_delay_alu instid0(SALU_CYCLE_1)
	s_or_not1_b32 s16, s16, exec_lo
.LBB25_9:                               ;   in Loop: Header=BB25_4 Depth=1
	s_or_b32 exec_lo, exec_lo, s0
	s_and_saveexec_b32 s0, s16
	s_cbranch_execz .LBB25_2
; %bb.10:                               ;   in Loop: Header=BB25_4 Depth=1
	global_store_b64 v[4:5], v[6:7], off
	s_branch .LBB25_2
.LBB25_11:
	s_or_b32 exec_lo, exec_lo, s1
	s_and_saveexec_b32 s0, s11
	s_delay_alu instid0(SALU_CYCLE_1)
	s_xor_b32 s0, exec_lo, s0
	s_cbranch_execnz .LBB25_13
.LBB25_12:
	s_nop 0
	s_sendmsg sendmsg(MSG_DEALLOC_VGPRS)
	s_endpgm
.LBB25_13:
	s_cbranch_execnz .LBB25_15
; %bb.14:
	; divergent unreachable
	s_nop 0
	s_sendmsg sendmsg(MSG_DEALLOC_VGPRS)
	s_endpgm
.LBB25_15:
	s_trap 2
	s_sendmsg_rtn_b32 s0, sendmsg(MSG_RTN_GET_DOORBELL)
	s_mov_b32 ttmp2, m0
	s_waitcnt lgkmcnt(0)
	s_and_b32 s0, s0, 0x3ff
	s_delay_alu instid0(SALU_CYCLE_1) | instskip(NEXT) | instid1(SALU_CYCLE_1)
	s_bitset1_b32 s0, 10
	s_mov_b32 m0, s0
	s_sendmsg sendmsg(MSG_INTERRUPT)
	s_mov_b32 m0, ttmp2
.LBB25_16:                              ; =>This Inner Loop Header: Depth=1
	s_sethalt 5
	s_branch .LBB25_16
	.section	.rodata,"a",@progbits
	.p2align	6, 0x0
	.amdhsa_kernel _ZN2at6native12_GLOBAL__N_119post_sum_div_kernelIdiEEvPT_PKT0_lbS3_
		.amdhsa_group_segment_fixed_size 0
		.amdhsa_private_segment_fixed_size 0
		.amdhsa_kernarg_size 296
		.amdhsa_user_sgpr_count 15
		.amdhsa_user_sgpr_dispatch_ptr 0
		.amdhsa_user_sgpr_queue_ptr 0
		.amdhsa_user_sgpr_kernarg_segment_ptr 1
		.amdhsa_user_sgpr_dispatch_id 0
		.amdhsa_user_sgpr_private_segment_size 0
		.amdhsa_wavefront_size32 1
		.amdhsa_uses_dynamic_stack 0
		.amdhsa_enable_private_segment 0
		.amdhsa_system_sgpr_workgroup_id_x 1
		.amdhsa_system_sgpr_workgroup_id_y 0
		.amdhsa_system_sgpr_workgroup_id_z 0
		.amdhsa_system_sgpr_workgroup_info 0
		.amdhsa_system_vgpr_workitem_id 0
		.amdhsa_next_free_vgpr 18
		.amdhsa_next_free_sgpr 18
		.amdhsa_reserve_vcc 1
		.amdhsa_float_round_mode_32 0
		.amdhsa_float_round_mode_16_64 0
		.amdhsa_float_denorm_mode_32 3
		.amdhsa_float_denorm_mode_16_64 3
		.amdhsa_dx10_clamp 1
		.amdhsa_ieee_mode 1
		.amdhsa_fp16_overflow 0
		.amdhsa_workgroup_processor_mode 1
		.amdhsa_memory_ordered 1
		.amdhsa_forward_progress 0
		.amdhsa_shared_vgpr_count 0
		.amdhsa_exception_fp_ieee_invalid_op 0
		.amdhsa_exception_fp_denorm_src 0
		.amdhsa_exception_fp_ieee_div_zero 0
		.amdhsa_exception_fp_ieee_overflow 0
		.amdhsa_exception_fp_ieee_underflow 0
		.amdhsa_exception_fp_ieee_inexact 0
		.amdhsa_exception_int_div_zero 0
	.end_amdhsa_kernel
	.section	.text._ZN2at6native12_GLOBAL__N_119post_sum_div_kernelIdiEEvPT_PKT0_lbS3_,"axG",@progbits,_ZN2at6native12_GLOBAL__N_119post_sum_div_kernelIdiEEvPT_PKT0_lbS3_,comdat
.Lfunc_end25:
	.size	_ZN2at6native12_GLOBAL__N_119post_sum_div_kernelIdiEEvPT_PKT0_lbS3_, .Lfunc_end25-_ZN2at6native12_GLOBAL__N_119post_sum_div_kernelIdiEEvPT_PKT0_lbS3_
                                        ; -- End function
	.section	.AMDGPU.csdata,"",@progbits
; Kernel info:
; codeLenInByte = 652
; NumSgprs: 20
; NumVgprs: 18
; ScratchSize: 0
; MemoryBound: 0
; FloatMode: 240
; IeeeMode: 1
; LDSByteSize: 0 bytes/workgroup (compile time only)
; SGPRBlocks: 2
; VGPRBlocks: 2
; NumSGPRsForWavesPerEU: 20
; NumVGPRsForWavesPerEU: 18
; Occupancy: 16
; WaveLimiterHint : 0
; COMPUTE_PGM_RSRC2:SCRATCH_EN: 0
; COMPUTE_PGM_RSRC2:USER_SGPR: 15
; COMPUTE_PGM_RSRC2:TRAP_HANDLER: 0
; COMPUTE_PGM_RSRC2:TGID_X_EN: 1
; COMPUTE_PGM_RSRC2:TGID_Y_EN: 0
; COMPUTE_PGM_RSRC2:TGID_Z_EN: 0
; COMPUTE_PGM_RSRC2:TIDIG_COMP_CNT: 0
	.section	.text._ZN7rocprim17ROCPRIM_400000_NS6detail17trampoline_kernelINS0_14default_configENS1_32segmented_reduce_config_selectorIdEEZNS1_21segmented_reduce_implIS3_PKdPdPKidN6hipcub16HIPCUB_304000_NS6detail27convert_result_type_wrapperIS8_S9_N2at6native12_GLOBAL__N_19CustomMinEEEEE10hipError_tPvRmT0_T1_jT2_SQ_T4_T3_P12ihipStream_tbEUlT_E_NS1_11comp_targetILNS1_3genE0ELNS1_11target_archE4294967295ELNS1_3gpuE0ELNS1_3repE0EEENS1_30default_config_static_selectorELNS0_4arch9wavefront6targetE0EEEvSP_,"axG",@progbits,_ZN7rocprim17ROCPRIM_400000_NS6detail17trampoline_kernelINS0_14default_configENS1_32segmented_reduce_config_selectorIdEEZNS1_21segmented_reduce_implIS3_PKdPdPKidN6hipcub16HIPCUB_304000_NS6detail27convert_result_type_wrapperIS8_S9_N2at6native12_GLOBAL__N_19CustomMinEEEEE10hipError_tPvRmT0_T1_jT2_SQ_T4_T3_P12ihipStream_tbEUlT_E_NS1_11comp_targetILNS1_3genE0ELNS1_11target_archE4294967295ELNS1_3gpuE0ELNS1_3repE0EEENS1_30default_config_static_selectorELNS0_4arch9wavefront6targetE0EEEvSP_,comdat
	.globl	_ZN7rocprim17ROCPRIM_400000_NS6detail17trampoline_kernelINS0_14default_configENS1_32segmented_reduce_config_selectorIdEEZNS1_21segmented_reduce_implIS3_PKdPdPKidN6hipcub16HIPCUB_304000_NS6detail27convert_result_type_wrapperIS8_S9_N2at6native12_GLOBAL__N_19CustomMinEEEEE10hipError_tPvRmT0_T1_jT2_SQ_T4_T3_P12ihipStream_tbEUlT_E_NS1_11comp_targetILNS1_3genE0ELNS1_11target_archE4294967295ELNS1_3gpuE0ELNS1_3repE0EEENS1_30default_config_static_selectorELNS0_4arch9wavefront6targetE0EEEvSP_ ; -- Begin function _ZN7rocprim17ROCPRIM_400000_NS6detail17trampoline_kernelINS0_14default_configENS1_32segmented_reduce_config_selectorIdEEZNS1_21segmented_reduce_implIS3_PKdPdPKidN6hipcub16HIPCUB_304000_NS6detail27convert_result_type_wrapperIS8_S9_N2at6native12_GLOBAL__N_19CustomMinEEEEE10hipError_tPvRmT0_T1_jT2_SQ_T4_T3_P12ihipStream_tbEUlT_E_NS1_11comp_targetILNS1_3genE0ELNS1_11target_archE4294967295ELNS1_3gpuE0ELNS1_3repE0EEENS1_30default_config_static_selectorELNS0_4arch9wavefront6targetE0EEEvSP_
	.p2align	8
	.type	_ZN7rocprim17ROCPRIM_400000_NS6detail17trampoline_kernelINS0_14default_configENS1_32segmented_reduce_config_selectorIdEEZNS1_21segmented_reduce_implIS3_PKdPdPKidN6hipcub16HIPCUB_304000_NS6detail27convert_result_type_wrapperIS8_S9_N2at6native12_GLOBAL__N_19CustomMinEEEEE10hipError_tPvRmT0_T1_jT2_SQ_T4_T3_P12ihipStream_tbEUlT_E_NS1_11comp_targetILNS1_3genE0ELNS1_11target_archE4294967295ELNS1_3gpuE0ELNS1_3repE0EEENS1_30default_config_static_selectorELNS0_4arch9wavefront6targetE0EEEvSP_,@function
_ZN7rocprim17ROCPRIM_400000_NS6detail17trampoline_kernelINS0_14default_configENS1_32segmented_reduce_config_selectorIdEEZNS1_21segmented_reduce_implIS3_PKdPdPKidN6hipcub16HIPCUB_304000_NS6detail27convert_result_type_wrapperIS8_S9_N2at6native12_GLOBAL__N_19CustomMinEEEEE10hipError_tPvRmT0_T1_jT2_SQ_T4_T3_P12ihipStream_tbEUlT_E_NS1_11comp_targetILNS1_3genE0ELNS1_11target_archE4294967295ELNS1_3gpuE0ELNS1_3repE0EEENS1_30default_config_static_selectorELNS0_4arch9wavefront6targetE0EEEvSP_: ; @_ZN7rocprim17ROCPRIM_400000_NS6detail17trampoline_kernelINS0_14default_configENS1_32segmented_reduce_config_selectorIdEEZNS1_21segmented_reduce_implIS3_PKdPdPKidN6hipcub16HIPCUB_304000_NS6detail27convert_result_type_wrapperIS8_S9_N2at6native12_GLOBAL__N_19CustomMinEEEEE10hipError_tPvRmT0_T1_jT2_SQ_T4_T3_P12ihipStream_tbEUlT_E_NS1_11comp_targetILNS1_3genE0ELNS1_11target_archE4294967295ELNS1_3gpuE0ELNS1_3repE0EEENS1_30default_config_static_selectorELNS0_4arch9wavefront6targetE0EEEvSP_
; %bb.0:
	.section	.rodata,"a",@progbits
	.p2align	6, 0x0
	.amdhsa_kernel _ZN7rocprim17ROCPRIM_400000_NS6detail17trampoline_kernelINS0_14default_configENS1_32segmented_reduce_config_selectorIdEEZNS1_21segmented_reduce_implIS3_PKdPdPKidN6hipcub16HIPCUB_304000_NS6detail27convert_result_type_wrapperIS8_S9_N2at6native12_GLOBAL__N_19CustomMinEEEEE10hipError_tPvRmT0_T1_jT2_SQ_T4_T3_P12ihipStream_tbEUlT_E_NS1_11comp_targetILNS1_3genE0ELNS1_11target_archE4294967295ELNS1_3gpuE0ELNS1_3repE0EEENS1_30default_config_static_selectorELNS0_4arch9wavefront6targetE0EEEvSP_
		.amdhsa_group_segment_fixed_size 0
		.amdhsa_private_segment_fixed_size 0
		.amdhsa_kernarg_size 56
		.amdhsa_user_sgpr_count 15
		.amdhsa_user_sgpr_dispatch_ptr 0
		.amdhsa_user_sgpr_queue_ptr 0
		.amdhsa_user_sgpr_kernarg_segment_ptr 1
		.amdhsa_user_sgpr_dispatch_id 0
		.amdhsa_user_sgpr_private_segment_size 0
		.amdhsa_wavefront_size32 1
		.amdhsa_uses_dynamic_stack 0
		.amdhsa_enable_private_segment 0
		.amdhsa_system_sgpr_workgroup_id_x 1
		.amdhsa_system_sgpr_workgroup_id_y 0
		.amdhsa_system_sgpr_workgroup_id_z 0
		.amdhsa_system_sgpr_workgroup_info 0
		.amdhsa_system_vgpr_workitem_id 0
		.amdhsa_next_free_vgpr 1
		.amdhsa_next_free_sgpr 1
		.amdhsa_reserve_vcc 0
		.amdhsa_float_round_mode_32 0
		.amdhsa_float_round_mode_16_64 0
		.amdhsa_float_denorm_mode_32 3
		.amdhsa_float_denorm_mode_16_64 3
		.amdhsa_dx10_clamp 1
		.amdhsa_ieee_mode 1
		.amdhsa_fp16_overflow 0
		.amdhsa_workgroup_processor_mode 1
		.amdhsa_memory_ordered 1
		.amdhsa_forward_progress 0
		.amdhsa_shared_vgpr_count 0
		.amdhsa_exception_fp_ieee_invalid_op 0
		.amdhsa_exception_fp_denorm_src 0
		.amdhsa_exception_fp_ieee_div_zero 0
		.amdhsa_exception_fp_ieee_overflow 0
		.amdhsa_exception_fp_ieee_underflow 0
		.amdhsa_exception_fp_ieee_inexact 0
		.amdhsa_exception_int_div_zero 0
	.end_amdhsa_kernel
	.section	.text._ZN7rocprim17ROCPRIM_400000_NS6detail17trampoline_kernelINS0_14default_configENS1_32segmented_reduce_config_selectorIdEEZNS1_21segmented_reduce_implIS3_PKdPdPKidN6hipcub16HIPCUB_304000_NS6detail27convert_result_type_wrapperIS8_S9_N2at6native12_GLOBAL__N_19CustomMinEEEEE10hipError_tPvRmT0_T1_jT2_SQ_T4_T3_P12ihipStream_tbEUlT_E_NS1_11comp_targetILNS1_3genE0ELNS1_11target_archE4294967295ELNS1_3gpuE0ELNS1_3repE0EEENS1_30default_config_static_selectorELNS0_4arch9wavefront6targetE0EEEvSP_,"axG",@progbits,_ZN7rocprim17ROCPRIM_400000_NS6detail17trampoline_kernelINS0_14default_configENS1_32segmented_reduce_config_selectorIdEEZNS1_21segmented_reduce_implIS3_PKdPdPKidN6hipcub16HIPCUB_304000_NS6detail27convert_result_type_wrapperIS8_S9_N2at6native12_GLOBAL__N_19CustomMinEEEEE10hipError_tPvRmT0_T1_jT2_SQ_T4_T3_P12ihipStream_tbEUlT_E_NS1_11comp_targetILNS1_3genE0ELNS1_11target_archE4294967295ELNS1_3gpuE0ELNS1_3repE0EEENS1_30default_config_static_selectorELNS0_4arch9wavefront6targetE0EEEvSP_,comdat
.Lfunc_end26:
	.size	_ZN7rocprim17ROCPRIM_400000_NS6detail17trampoline_kernelINS0_14default_configENS1_32segmented_reduce_config_selectorIdEEZNS1_21segmented_reduce_implIS3_PKdPdPKidN6hipcub16HIPCUB_304000_NS6detail27convert_result_type_wrapperIS8_S9_N2at6native12_GLOBAL__N_19CustomMinEEEEE10hipError_tPvRmT0_T1_jT2_SQ_T4_T3_P12ihipStream_tbEUlT_E_NS1_11comp_targetILNS1_3genE0ELNS1_11target_archE4294967295ELNS1_3gpuE0ELNS1_3repE0EEENS1_30default_config_static_selectorELNS0_4arch9wavefront6targetE0EEEvSP_, .Lfunc_end26-_ZN7rocprim17ROCPRIM_400000_NS6detail17trampoline_kernelINS0_14default_configENS1_32segmented_reduce_config_selectorIdEEZNS1_21segmented_reduce_implIS3_PKdPdPKidN6hipcub16HIPCUB_304000_NS6detail27convert_result_type_wrapperIS8_S9_N2at6native12_GLOBAL__N_19CustomMinEEEEE10hipError_tPvRmT0_T1_jT2_SQ_T4_T3_P12ihipStream_tbEUlT_E_NS1_11comp_targetILNS1_3genE0ELNS1_11target_archE4294967295ELNS1_3gpuE0ELNS1_3repE0EEENS1_30default_config_static_selectorELNS0_4arch9wavefront6targetE0EEEvSP_
                                        ; -- End function
	.section	.AMDGPU.csdata,"",@progbits
; Kernel info:
; codeLenInByte = 0
; NumSgprs: 0
; NumVgprs: 0
; ScratchSize: 0
; MemoryBound: 0
; FloatMode: 240
; IeeeMode: 1
; LDSByteSize: 0 bytes/workgroup (compile time only)
; SGPRBlocks: 0
; VGPRBlocks: 0
; NumSGPRsForWavesPerEU: 1
; NumVGPRsForWavesPerEU: 1
; Occupancy: 16
; WaveLimiterHint : 0
; COMPUTE_PGM_RSRC2:SCRATCH_EN: 0
; COMPUTE_PGM_RSRC2:USER_SGPR: 15
; COMPUTE_PGM_RSRC2:TRAP_HANDLER: 0
; COMPUTE_PGM_RSRC2:TGID_X_EN: 1
; COMPUTE_PGM_RSRC2:TGID_Y_EN: 0
; COMPUTE_PGM_RSRC2:TGID_Z_EN: 0
; COMPUTE_PGM_RSRC2:TIDIG_COMP_CNT: 0
	.section	.text._ZN7rocprim17ROCPRIM_400000_NS6detail17trampoline_kernelINS0_14default_configENS1_32segmented_reduce_config_selectorIdEEZNS1_21segmented_reduce_implIS3_PKdPdPKidN6hipcub16HIPCUB_304000_NS6detail27convert_result_type_wrapperIS8_S9_N2at6native12_GLOBAL__N_19CustomMinEEEEE10hipError_tPvRmT0_T1_jT2_SQ_T4_T3_P12ihipStream_tbEUlT_E_NS1_11comp_targetILNS1_3genE5ELNS1_11target_archE942ELNS1_3gpuE9ELNS1_3repE0EEENS1_30default_config_static_selectorELNS0_4arch9wavefront6targetE0EEEvSP_,"axG",@progbits,_ZN7rocprim17ROCPRIM_400000_NS6detail17trampoline_kernelINS0_14default_configENS1_32segmented_reduce_config_selectorIdEEZNS1_21segmented_reduce_implIS3_PKdPdPKidN6hipcub16HIPCUB_304000_NS6detail27convert_result_type_wrapperIS8_S9_N2at6native12_GLOBAL__N_19CustomMinEEEEE10hipError_tPvRmT0_T1_jT2_SQ_T4_T3_P12ihipStream_tbEUlT_E_NS1_11comp_targetILNS1_3genE5ELNS1_11target_archE942ELNS1_3gpuE9ELNS1_3repE0EEENS1_30default_config_static_selectorELNS0_4arch9wavefront6targetE0EEEvSP_,comdat
	.globl	_ZN7rocprim17ROCPRIM_400000_NS6detail17trampoline_kernelINS0_14default_configENS1_32segmented_reduce_config_selectorIdEEZNS1_21segmented_reduce_implIS3_PKdPdPKidN6hipcub16HIPCUB_304000_NS6detail27convert_result_type_wrapperIS8_S9_N2at6native12_GLOBAL__N_19CustomMinEEEEE10hipError_tPvRmT0_T1_jT2_SQ_T4_T3_P12ihipStream_tbEUlT_E_NS1_11comp_targetILNS1_3genE5ELNS1_11target_archE942ELNS1_3gpuE9ELNS1_3repE0EEENS1_30default_config_static_selectorELNS0_4arch9wavefront6targetE0EEEvSP_ ; -- Begin function _ZN7rocprim17ROCPRIM_400000_NS6detail17trampoline_kernelINS0_14default_configENS1_32segmented_reduce_config_selectorIdEEZNS1_21segmented_reduce_implIS3_PKdPdPKidN6hipcub16HIPCUB_304000_NS6detail27convert_result_type_wrapperIS8_S9_N2at6native12_GLOBAL__N_19CustomMinEEEEE10hipError_tPvRmT0_T1_jT2_SQ_T4_T3_P12ihipStream_tbEUlT_E_NS1_11comp_targetILNS1_3genE5ELNS1_11target_archE942ELNS1_3gpuE9ELNS1_3repE0EEENS1_30default_config_static_selectorELNS0_4arch9wavefront6targetE0EEEvSP_
	.p2align	8
	.type	_ZN7rocprim17ROCPRIM_400000_NS6detail17trampoline_kernelINS0_14default_configENS1_32segmented_reduce_config_selectorIdEEZNS1_21segmented_reduce_implIS3_PKdPdPKidN6hipcub16HIPCUB_304000_NS6detail27convert_result_type_wrapperIS8_S9_N2at6native12_GLOBAL__N_19CustomMinEEEEE10hipError_tPvRmT0_T1_jT2_SQ_T4_T3_P12ihipStream_tbEUlT_E_NS1_11comp_targetILNS1_3genE5ELNS1_11target_archE942ELNS1_3gpuE9ELNS1_3repE0EEENS1_30default_config_static_selectorELNS0_4arch9wavefront6targetE0EEEvSP_,@function
_ZN7rocprim17ROCPRIM_400000_NS6detail17trampoline_kernelINS0_14default_configENS1_32segmented_reduce_config_selectorIdEEZNS1_21segmented_reduce_implIS3_PKdPdPKidN6hipcub16HIPCUB_304000_NS6detail27convert_result_type_wrapperIS8_S9_N2at6native12_GLOBAL__N_19CustomMinEEEEE10hipError_tPvRmT0_T1_jT2_SQ_T4_T3_P12ihipStream_tbEUlT_E_NS1_11comp_targetILNS1_3genE5ELNS1_11target_archE942ELNS1_3gpuE9ELNS1_3repE0EEENS1_30default_config_static_selectorELNS0_4arch9wavefront6targetE0EEEvSP_: ; @_ZN7rocprim17ROCPRIM_400000_NS6detail17trampoline_kernelINS0_14default_configENS1_32segmented_reduce_config_selectorIdEEZNS1_21segmented_reduce_implIS3_PKdPdPKidN6hipcub16HIPCUB_304000_NS6detail27convert_result_type_wrapperIS8_S9_N2at6native12_GLOBAL__N_19CustomMinEEEEE10hipError_tPvRmT0_T1_jT2_SQ_T4_T3_P12ihipStream_tbEUlT_E_NS1_11comp_targetILNS1_3genE5ELNS1_11target_archE942ELNS1_3gpuE9ELNS1_3repE0EEENS1_30default_config_static_selectorELNS0_4arch9wavefront6targetE0EEEvSP_
; %bb.0:
	.section	.rodata,"a",@progbits
	.p2align	6, 0x0
	.amdhsa_kernel _ZN7rocprim17ROCPRIM_400000_NS6detail17trampoline_kernelINS0_14default_configENS1_32segmented_reduce_config_selectorIdEEZNS1_21segmented_reduce_implIS3_PKdPdPKidN6hipcub16HIPCUB_304000_NS6detail27convert_result_type_wrapperIS8_S9_N2at6native12_GLOBAL__N_19CustomMinEEEEE10hipError_tPvRmT0_T1_jT2_SQ_T4_T3_P12ihipStream_tbEUlT_E_NS1_11comp_targetILNS1_3genE5ELNS1_11target_archE942ELNS1_3gpuE9ELNS1_3repE0EEENS1_30default_config_static_selectorELNS0_4arch9wavefront6targetE0EEEvSP_
		.amdhsa_group_segment_fixed_size 0
		.amdhsa_private_segment_fixed_size 0
		.amdhsa_kernarg_size 56
		.amdhsa_user_sgpr_count 15
		.amdhsa_user_sgpr_dispatch_ptr 0
		.amdhsa_user_sgpr_queue_ptr 0
		.amdhsa_user_sgpr_kernarg_segment_ptr 1
		.amdhsa_user_sgpr_dispatch_id 0
		.amdhsa_user_sgpr_private_segment_size 0
		.amdhsa_wavefront_size32 1
		.amdhsa_uses_dynamic_stack 0
		.amdhsa_enable_private_segment 0
		.amdhsa_system_sgpr_workgroup_id_x 1
		.amdhsa_system_sgpr_workgroup_id_y 0
		.amdhsa_system_sgpr_workgroup_id_z 0
		.amdhsa_system_sgpr_workgroup_info 0
		.amdhsa_system_vgpr_workitem_id 0
		.amdhsa_next_free_vgpr 1
		.amdhsa_next_free_sgpr 1
		.amdhsa_reserve_vcc 0
		.amdhsa_float_round_mode_32 0
		.amdhsa_float_round_mode_16_64 0
		.amdhsa_float_denorm_mode_32 3
		.amdhsa_float_denorm_mode_16_64 3
		.amdhsa_dx10_clamp 1
		.amdhsa_ieee_mode 1
		.amdhsa_fp16_overflow 0
		.amdhsa_workgroup_processor_mode 1
		.amdhsa_memory_ordered 1
		.amdhsa_forward_progress 0
		.amdhsa_shared_vgpr_count 0
		.amdhsa_exception_fp_ieee_invalid_op 0
		.amdhsa_exception_fp_denorm_src 0
		.amdhsa_exception_fp_ieee_div_zero 0
		.amdhsa_exception_fp_ieee_overflow 0
		.amdhsa_exception_fp_ieee_underflow 0
		.amdhsa_exception_fp_ieee_inexact 0
		.amdhsa_exception_int_div_zero 0
	.end_amdhsa_kernel
	.section	.text._ZN7rocprim17ROCPRIM_400000_NS6detail17trampoline_kernelINS0_14default_configENS1_32segmented_reduce_config_selectorIdEEZNS1_21segmented_reduce_implIS3_PKdPdPKidN6hipcub16HIPCUB_304000_NS6detail27convert_result_type_wrapperIS8_S9_N2at6native12_GLOBAL__N_19CustomMinEEEEE10hipError_tPvRmT0_T1_jT2_SQ_T4_T3_P12ihipStream_tbEUlT_E_NS1_11comp_targetILNS1_3genE5ELNS1_11target_archE942ELNS1_3gpuE9ELNS1_3repE0EEENS1_30default_config_static_selectorELNS0_4arch9wavefront6targetE0EEEvSP_,"axG",@progbits,_ZN7rocprim17ROCPRIM_400000_NS6detail17trampoline_kernelINS0_14default_configENS1_32segmented_reduce_config_selectorIdEEZNS1_21segmented_reduce_implIS3_PKdPdPKidN6hipcub16HIPCUB_304000_NS6detail27convert_result_type_wrapperIS8_S9_N2at6native12_GLOBAL__N_19CustomMinEEEEE10hipError_tPvRmT0_T1_jT2_SQ_T4_T3_P12ihipStream_tbEUlT_E_NS1_11comp_targetILNS1_3genE5ELNS1_11target_archE942ELNS1_3gpuE9ELNS1_3repE0EEENS1_30default_config_static_selectorELNS0_4arch9wavefront6targetE0EEEvSP_,comdat
.Lfunc_end27:
	.size	_ZN7rocprim17ROCPRIM_400000_NS6detail17trampoline_kernelINS0_14default_configENS1_32segmented_reduce_config_selectorIdEEZNS1_21segmented_reduce_implIS3_PKdPdPKidN6hipcub16HIPCUB_304000_NS6detail27convert_result_type_wrapperIS8_S9_N2at6native12_GLOBAL__N_19CustomMinEEEEE10hipError_tPvRmT0_T1_jT2_SQ_T4_T3_P12ihipStream_tbEUlT_E_NS1_11comp_targetILNS1_3genE5ELNS1_11target_archE942ELNS1_3gpuE9ELNS1_3repE0EEENS1_30default_config_static_selectorELNS0_4arch9wavefront6targetE0EEEvSP_, .Lfunc_end27-_ZN7rocprim17ROCPRIM_400000_NS6detail17trampoline_kernelINS0_14default_configENS1_32segmented_reduce_config_selectorIdEEZNS1_21segmented_reduce_implIS3_PKdPdPKidN6hipcub16HIPCUB_304000_NS6detail27convert_result_type_wrapperIS8_S9_N2at6native12_GLOBAL__N_19CustomMinEEEEE10hipError_tPvRmT0_T1_jT2_SQ_T4_T3_P12ihipStream_tbEUlT_E_NS1_11comp_targetILNS1_3genE5ELNS1_11target_archE942ELNS1_3gpuE9ELNS1_3repE0EEENS1_30default_config_static_selectorELNS0_4arch9wavefront6targetE0EEEvSP_
                                        ; -- End function
	.section	.AMDGPU.csdata,"",@progbits
; Kernel info:
; codeLenInByte = 0
; NumSgprs: 0
; NumVgprs: 0
; ScratchSize: 0
; MemoryBound: 0
; FloatMode: 240
; IeeeMode: 1
; LDSByteSize: 0 bytes/workgroup (compile time only)
; SGPRBlocks: 0
; VGPRBlocks: 0
; NumSGPRsForWavesPerEU: 1
; NumVGPRsForWavesPerEU: 1
; Occupancy: 16
; WaveLimiterHint : 0
; COMPUTE_PGM_RSRC2:SCRATCH_EN: 0
; COMPUTE_PGM_RSRC2:USER_SGPR: 15
; COMPUTE_PGM_RSRC2:TRAP_HANDLER: 0
; COMPUTE_PGM_RSRC2:TGID_X_EN: 1
; COMPUTE_PGM_RSRC2:TGID_Y_EN: 0
; COMPUTE_PGM_RSRC2:TGID_Z_EN: 0
; COMPUTE_PGM_RSRC2:TIDIG_COMP_CNT: 0
	.section	.text._ZN7rocprim17ROCPRIM_400000_NS6detail17trampoline_kernelINS0_14default_configENS1_32segmented_reduce_config_selectorIdEEZNS1_21segmented_reduce_implIS3_PKdPdPKidN6hipcub16HIPCUB_304000_NS6detail27convert_result_type_wrapperIS8_S9_N2at6native12_GLOBAL__N_19CustomMinEEEEE10hipError_tPvRmT0_T1_jT2_SQ_T4_T3_P12ihipStream_tbEUlT_E_NS1_11comp_targetILNS1_3genE10ELNS1_11target_archE1201ELNS1_3gpuE5ELNS1_3repE0EEENS1_30default_config_static_selectorELNS0_4arch9wavefront6targetE0EEEvSP_,"axG",@progbits,_ZN7rocprim17ROCPRIM_400000_NS6detail17trampoline_kernelINS0_14default_configENS1_32segmented_reduce_config_selectorIdEEZNS1_21segmented_reduce_implIS3_PKdPdPKidN6hipcub16HIPCUB_304000_NS6detail27convert_result_type_wrapperIS8_S9_N2at6native12_GLOBAL__N_19CustomMinEEEEE10hipError_tPvRmT0_T1_jT2_SQ_T4_T3_P12ihipStream_tbEUlT_E_NS1_11comp_targetILNS1_3genE10ELNS1_11target_archE1201ELNS1_3gpuE5ELNS1_3repE0EEENS1_30default_config_static_selectorELNS0_4arch9wavefront6targetE0EEEvSP_,comdat
	.globl	_ZN7rocprim17ROCPRIM_400000_NS6detail17trampoline_kernelINS0_14default_configENS1_32segmented_reduce_config_selectorIdEEZNS1_21segmented_reduce_implIS3_PKdPdPKidN6hipcub16HIPCUB_304000_NS6detail27convert_result_type_wrapperIS8_S9_N2at6native12_GLOBAL__N_19CustomMinEEEEE10hipError_tPvRmT0_T1_jT2_SQ_T4_T3_P12ihipStream_tbEUlT_E_NS1_11comp_targetILNS1_3genE10ELNS1_11target_archE1201ELNS1_3gpuE5ELNS1_3repE0EEENS1_30default_config_static_selectorELNS0_4arch9wavefront6targetE0EEEvSP_ ; -- Begin function _ZN7rocprim17ROCPRIM_400000_NS6detail17trampoline_kernelINS0_14default_configENS1_32segmented_reduce_config_selectorIdEEZNS1_21segmented_reduce_implIS3_PKdPdPKidN6hipcub16HIPCUB_304000_NS6detail27convert_result_type_wrapperIS8_S9_N2at6native12_GLOBAL__N_19CustomMinEEEEE10hipError_tPvRmT0_T1_jT2_SQ_T4_T3_P12ihipStream_tbEUlT_E_NS1_11comp_targetILNS1_3genE10ELNS1_11target_archE1201ELNS1_3gpuE5ELNS1_3repE0EEENS1_30default_config_static_selectorELNS0_4arch9wavefront6targetE0EEEvSP_
	.p2align	8
	.type	_ZN7rocprim17ROCPRIM_400000_NS6detail17trampoline_kernelINS0_14default_configENS1_32segmented_reduce_config_selectorIdEEZNS1_21segmented_reduce_implIS3_PKdPdPKidN6hipcub16HIPCUB_304000_NS6detail27convert_result_type_wrapperIS8_S9_N2at6native12_GLOBAL__N_19CustomMinEEEEE10hipError_tPvRmT0_T1_jT2_SQ_T4_T3_P12ihipStream_tbEUlT_E_NS1_11comp_targetILNS1_3genE10ELNS1_11target_archE1201ELNS1_3gpuE5ELNS1_3repE0EEENS1_30default_config_static_selectorELNS0_4arch9wavefront6targetE0EEEvSP_,@function
_ZN7rocprim17ROCPRIM_400000_NS6detail17trampoline_kernelINS0_14default_configENS1_32segmented_reduce_config_selectorIdEEZNS1_21segmented_reduce_implIS3_PKdPdPKidN6hipcub16HIPCUB_304000_NS6detail27convert_result_type_wrapperIS8_S9_N2at6native12_GLOBAL__N_19CustomMinEEEEE10hipError_tPvRmT0_T1_jT2_SQ_T4_T3_P12ihipStream_tbEUlT_E_NS1_11comp_targetILNS1_3genE10ELNS1_11target_archE1201ELNS1_3gpuE5ELNS1_3repE0EEENS1_30default_config_static_selectorELNS0_4arch9wavefront6targetE0EEEvSP_: ; @_ZN7rocprim17ROCPRIM_400000_NS6detail17trampoline_kernelINS0_14default_configENS1_32segmented_reduce_config_selectorIdEEZNS1_21segmented_reduce_implIS3_PKdPdPKidN6hipcub16HIPCUB_304000_NS6detail27convert_result_type_wrapperIS8_S9_N2at6native12_GLOBAL__N_19CustomMinEEEEE10hipError_tPvRmT0_T1_jT2_SQ_T4_T3_P12ihipStream_tbEUlT_E_NS1_11comp_targetILNS1_3genE10ELNS1_11target_archE1201ELNS1_3gpuE5ELNS1_3repE0EEENS1_30default_config_static_selectorELNS0_4arch9wavefront6targetE0EEEvSP_
; %bb.0:
	.section	.rodata,"a",@progbits
	.p2align	6, 0x0
	.amdhsa_kernel _ZN7rocprim17ROCPRIM_400000_NS6detail17trampoline_kernelINS0_14default_configENS1_32segmented_reduce_config_selectorIdEEZNS1_21segmented_reduce_implIS3_PKdPdPKidN6hipcub16HIPCUB_304000_NS6detail27convert_result_type_wrapperIS8_S9_N2at6native12_GLOBAL__N_19CustomMinEEEEE10hipError_tPvRmT0_T1_jT2_SQ_T4_T3_P12ihipStream_tbEUlT_E_NS1_11comp_targetILNS1_3genE10ELNS1_11target_archE1201ELNS1_3gpuE5ELNS1_3repE0EEENS1_30default_config_static_selectorELNS0_4arch9wavefront6targetE0EEEvSP_
		.amdhsa_group_segment_fixed_size 0
		.amdhsa_private_segment_fixed_size 0
		.amdhsa_kernarg_size 56
		.amdhsa_user_sgpr_count 15
		.amdhsa_user_sgpr_dispatch_ptr 0
		.amdhsa_user_sgpr_queue_ptr 0
		.amdhsa_user_sgpr_kernarg_segment_ptr 1
		.amdhsa_user_sgpr_dispatch_id 0
		.amdhsa_user_sgpr_private_segment_size 0
		.amdhsa_wavefront_size32 1
		.amdhsa_uses_dynamic_stack 0
		.amdhsa_enable_private_segment 0
		.amdhsa_system_sgpr_workgroup_id_x 1
		.amdhsa_system_sgpr_workgroup_id_y 0
		.amdhsa_system_sgpr_workgroup_id_z 0
		.amdhsa_system_sgpr_workgroup_info 0
		.amdhsa_system_vgpr_workitem_id 0
		.amdhsa_next_free_vgpr 1
		.amdhsa_next_free_sgpr 1
		.amdhsa_reserve_vcc 0
		.amdhsa_float_round_mode_32 0
		.amdhsa_float_round_mode_16_64 0
		.amdhsa_float_denorm_mode_32 3
		.amdhsa_float_denorm_mode_16_64 3
		.amdhsa_dx10_clamp 1
		.amdhsa_ieee_mode 1
		.amdhsa_fp16_overflow 0
		.amdhsa_workgroup_processor_mode 1
		.amdhsa_memory_ordered 1
		.amdhsa_forward_progress 0
		.amdhsa_shared_vgpr_count 0
		.amdhsa_exception_fp_ieee_invalid_op 0
		.amdhsa_exception_fp_denorm_src 0
		.amdhsa_exception_fp_ieee_div_zero 0
		.amdhsa_exception_fp_ieee_overflow 0
		.amdhsa_exception_fp_ieee_underflow 0
		.amdhsa_exception_fp_ieee_inexact 0
		.amdhsa_exception_int_div_zero 0
	.end_amdhsa_kernel
	.section	.text._ZN7rocprim17ROCPRIM_400000_NS6detail17trampoline_kernelINS0_14default_configENS1_32segmented_reduce_config_selectorIdEEZNS1_21segmented_reduce_implIS3_PKdPdPKidN6hipcub16HIPCUB_304000_NS6detail27convert_result_type_wrapperIS8_S9_N2at6native12_GLOBAL__N_19CustomMinEEEEE10hipError_tPvRmT0_T1_jT2_SQ_T4_T3_P12ihipStream_tbEUlT_E_NS1_11comp_targetILNS1_3genE10ELNS1_11target_archE1201ELNS1_3gpuE5ELNS1_3repE0EEENS1_30default_config_static_selectorELNS0_4arch9wavefront6targetE0EEEvSP_,"axG",@progbits,_ZN7rocprim17ROCPRIM_400000_NS6detail17trampoline_kernelINS0_14default_configENS1_32segmented_reduce_config_selectorIdEEZNS1_21segmented_reduce_implIS3_PKdPdPKidN6hipcub16HIPCUB_304000_NS6detail27convert_result_type_wrapperIS8_S9_N2at6native12_GLOBAL__N_19CustomMinEEEEE10hipError_tPvRmT0_T1_jT2_SQ_T4_T3_P12ihipStream_tbEUlT_E_NS1_11comp_targetILNS1_3genE10ELNS1_11target_archE1201ELNS1_3gpuE5ELNS1_3repE0EEENS1_30default_config_static_selectorELNS0_4arch9wavefront6targetE0EEEvSP_,comdat
.Lfunc_end28:
	.size	_ZN7rocprim17ROCPRIM_400000_NS6detail17trampoline_kernelINS0_14default_configENS1_32segmented_reduce_config_selectorIdEEZNS1_21segmented_reduce_implIS3_PKdPdPKidN6hipcub16HIPCUB_304000_NS6detail27convert_result_type_wrapperIS8_S9_N2at6native12_GLOBAL__N_19CustomMinEEEEE10hipError_tPvRmT0_T1_jT2_SQ_T4_T3_P12ihipStream_tbEUlT_E_NS1_11comp_targetILNS1_3genE10ELNS1_11target_archE1201ELNS1_3gpuE5ELNS1_3repE0EEENS1_30default_config_static_selectorELNS0_4arch9wavefront6targetE0EEEvSP_, .Lfunc_end28-_ZN7rocprim17ROCPRIM_400000_NS6detail17trampoline_kernelINS0_14default_configENS1_32segmented_reduce_config_selectorIdEEZNS1_21segmented_reduce_implIS3_PKdPdPKidN6hipcub16HIPCUB_304000_NS6detail27convert_result_type_wrapperIS8_S9_N2at6native12_GLOBAL__N_19CustomMinEEEEE10hipError_tPvRmT0_T1_jT2_SQ_T4_T3_P12ihipStream_tbEUlT_E_NS1_11comp_targetILNS1_3genE10ELNS1_11target_archE1201ELNS1_3gpuE5ELNS1_3repE0EEENS1_30default_config_static_selectorELNS0_4arch9wavefront6targetE0EEEvSP_
                                        ; -- End function
	.section	.AMDGPU.csdata,"",@progbits
; Kernel info:
; codeLenInByte = 0
; NumSgprs: 0
; NumVgprs: 0
; ScratchSize: 0
; MemoryBound: 0
; FloatMode: 240
; IeeeMode: 1
; LDSByteSize: 0 bytes/workgroup (compile time only)
; SGPRBlocks: 0
; VGPRBlocks: 0
; NumSGPRsForWavesPerEU: 1
; NumVGPRsForWavesPerEU: 1
; Occupancy: 16
; WaveLimiterHint : 0
; COMPUTE_PGM_RSRC2:SCRATCH_EN: 0
; COMPUTE_PGM_RSRC2:USER_SGPR: 15
; COMPUTE_PGM_RSRC2:TRAP_HANDLER: 0
; COMPUTE_PGM_RSRC2:TGID_X_EN: 1
; COMPUTE_PGM_RSRC2:TGID_Y_EN: 0
; COMPUTE_PGM_RSRC2:TGID_Z_EN: 0
; COMPUTE_PGM_RSRC2:TIDIG_COMP_CNT: 0
	.section	.text._ZN7rocprim17ROCPRIM_400000_NS6detail17trampoline_kernelINS0_14default_configENS1_32segmented_reduce_config_selectorIdEEZNS1_21segmented_reduce_implIS3_PKdPdPKidN6hipcub16HIPCUB_304000_NS6detail27convert_result_type_wrapperIS8_S9_N2at6native12_GLOBAL__N_19CustomMinEEEEE10hipError_tPvRmT0_T1_jT2_SQ_T4_T3_P12ihipStream_tbEUlT_E_NS1_11comp_targetILNS1_3genE4ELNS1_11target_archE910ELNS1_3gpuE8ELNS1_3repE0EEENS1_30default_config_static_selectorELNS0_4arch9wavefront6targetE0EEEvSP_,"axG",@progbits,_ZN7rocprim17ROCPRIM_400000_NS6detail17trampoline_kernelINS0_14default_configENS1_32segmented_reduce_config_selectorIdEEZNS1_21segmented_reduce_implIS3_PKdPdPKidN6hipcub16HIPCUB_304000_NS6detail27convert_result_type_wrapperIS8_S9_N2at6native12_GLOBAL__N_19CustomMinEEEEE10hipError_tPvRmT0_T1_jT2_SQ_T4_T3_P12ihipStream_tbEUlT_E_NS1_11comp_targetILNS1_3genE4ELNS1_11target_archE910ELNS1_3gpuE8ELNS1_3repE0EEENS1_30default_config_static_selectorELNS0_4arch9wavefront6targetE0EEEvSP_,comdat
	.globl	_ZN7rocprim17ROCPRIM_400000_NS6detail17trampoline_kernelINS0_14default_configENS1_32segmented_reduce_config_selectorIdEEZNS1_21segmented_reduce_implIS3_PKdPdPKidN6hipcub16HIPCUB_304000_NS6detail27convert_result_type_wrapperIS8_S9_N2at6native12_GLOBAL__N_19CustomMinEEEEE10hipError_tPvRmT0_T1_jT2_SQ_T4_T3_P12ihipStream_tbEUlT_E_NS1_11comp_targetILNS1_3genE4ELNS1_11target_archE910ELNS1_3gpuE8ELNS1_3repE0EEENS1_30default_config_static_selectorELNS0_4arch9wavefront6targetE0EEEvSP_ ; -- Begin function _ZN7rocprim17ROCPRIM_400000_NS6detail17trampoline_kernelINS0_14default_configENS1_32segmented_reduce_config_selectorIdEEZNS1_21segmented_reduce_implIS3_PKdPdPKidN6hipcub16HIPCUB_304000_NS6detail27convert_result_type_wrapperIS8_S9_N2at6native12_GLOBAL__N_19CustomMinEEEEE10hipError_tPvRmT0_T1_jT2_SQ_T4_T3_P12ihipStream_tbEUlT_E_NS1_11comp_targetILNS1_3genE4ELNS1_11target_archE910ELNS1_3gpuE8ELNS1_3repE0EEENS1_30default_config_static_selectorELNS0_4arch9wavefront6targetE0EEEvSP_
	.p2align	8
	.type	_ZN7rocprim17ROCPRIM_400000_NS6detail17trampoline_kernelINS0_14default_configENS1_32segmented_reduce_config_selectorIdEEZNS1_21segmented_reduce_implIS3_PKdPdPKidN6hipcub16HIPCUB_304000_NS6detail27convert_result_type_wrapperIS8_S9_N2at6native12_GLOBAL__N_19CustomMinEEEEE10hipError_tPvRmT0_T1_jT2_SQ_T4_T3_P12ihipStream_tbEUlT_E_NS1_11comp_targetILNS1_3genE4ELNS1_11target_archE910ELNS1_3gpuE8ELNS1_3repE0EEENS1_30default_config_static_selectorELNS0_4arch9wavefront6targetE0EEEvSP_,@function
_ZN7rocprim17ROCPRIM_400000_NS6detail17trampoline_kernelINS0_14default_configENS1_32segmented_reduce_config_selectorIdEEZNS1_21segmented_reduce_implIS3_PKdPdPKidN6hipcub16HIPCUB_304000_NS6detail27convert_result_type_wrapperIS8_S9_N2at6native12_GLOBAL__N_19CustomMinEEEEE10hipError_tPvRmT0_T1_jT2_SQ_T4_T3_P12ihipStream_tbEUlT_E_NS1_11comp_targetILNS1_3genE4ELNS1_11target_archE910ELNS1_3gpuE8ELNS1_3repE0EEENS1_30default_config_static_selectorELNS0_4arch9wavefront6targetE0EEEvSP_: ; @_ZN7rocprim17ROCPRIM_400000_NS6detail17trampoline_kernelINS0_14default_configENS1_32segmented_reduce_config_selectorIdEEZNS1_21segmented_reduce_implIS3_PKdPdPKidN6hipcub16HIPCUB_304000_NS6detail27convert_result_type_wrapperIS8_S9_N2at6native12_GLOBAL__N_19CustomMinEEEEE10hipError_tPvRmT0_T1_jT2_SQ_T4_T3_P12ihipStream_tbEUlT_E_NS1_11comp_targetILNS1_3genE4ELNS1_11target_archE910ELNS1_3gpuE8ELNS1_3repE0EEENS1_30default_config_static_selectorELNS0_4arch9wavefront6targetE0EEEvSP_
; %bb.0:
	.section	.rodata,"a",@progbits
	.p2align	6, 0x0
	.amdhsa_kernel _ZN7rocprim17ROCPRIM_400000_NS6detail17trampoline_kernelINS0_14default_configENS1_32segmented_reduce_config_selectorIdEEZNS1_21segmented_reduce_implIS3_PKdPdPKidN6hipcub16HIPCUB_304000_NS6detail27convert_result_type_wrapperIS8_S9_N2at6native12_GLOBAL__N_19CustomMinEEEEE10hipError_tPvRmT0_T1_jT2_SQ_T4_T3_P12ihipStream_tbEUlT_E_NS1_11comp_targetILNS1_3genE4ELNS1_11target_archE910ELNS1_3gpuE8ELNS1_3repE0EEENS1_30default_config_static_selectorELNS0_4arch9wavefront6targetE0EEEvSP_
		.amdhsa_group_segment_fixed_size 0
		.amdhsa_private_segment_fixed_size 0
		.amdhsa_kernarg_size 56
		.amdhsa_user_sgpr_count 15
		.amdhsa_user_sgpr_dispatch_ptr 0
		.amdhsa_user_sgpr_queue_ptr 0
		.amdhsa_user_sgpr_kernarg_segment_ptr 1
		.amdhsa_user_sgpr_dispatch_id 0
		.amdhsa_user_sgpr_private_segment_size 0
		.amdhsa_wavefront_size32 1
		.amdhsa_uses_dynamic_stack 0
		.amdhsa_enable_private_segment 0
		.amdhsa_system_sgpr_workgroup_id_x 1
		.amdhsa_system_sgpr_workgroup_id_y 0
		.amdhsa_system_sgpr_workgroup_id_z 0
		.amdhsa_system_sgpr_workgroup_info 0
		.amdhsa_system_vgpr_workitem_id 0
		.amdhsa_next_free_vgpr 1
		.amdhsa_next_free_sgpr 1
		.amdhsa_reserve_vcc 0
		.amdhsa_float_round_mode_32 0
		.amdhsa_float_round_mode_16_64 0
		.amdhsa_float_denorm_mode_32 3
		.amdhsa_float_denorm_mode_16_64 3
		.amdhsa_dx10_clamp 1
		.amdhsa_ieee_mode 1
		.amdhsa_fp16_overflow 0
		.amdhsa_workgroup_processor_mode 1
		.amdhsa_memory_ordered 1
		.amdhsa_forward_progress 0
		.amdhsa_shared_vgpr_count 0
		.amdhsa_exception_fp_ieee_invalid_op 0
		.amdhsa_exception_fp_denorm_src 0
		.amdhsa_exception_fp_ieee_div_zero 0
		.amdhsa_exception_fp_ieee_overflow 0
		.amdhsa_exception_fp_ieee_underflow 0
		.amdhsa_exception_fp_ieee_inexact 0
		.amdhsa_exception_int_div_zero 0
	.end_amdhsa_kernel
	.section	.text._ZN7rocprim17ROCPRIM_400000_NS6detail17trampoline_kernelINS0_14default_configENS1_32segmented_reduce_config_selectorIdEEZNS1_21segmented_reduce_implIS3_PKdPdPKidN6hipcub16HIPCUB_304000_NS6detail27convert_result_type_wrapperIS8_S9_N2at6native12_GLOBAL__N_19CustomMinEEEEE10hipError_tPvRmT0_T1_jT2_SQ_T4_T3_P12ihipStream_tbEUlT_E_NS1_11comp_targetILNS1_3genE4ELNS1_11target_archE910ELNS1_3gpuE8ELNS1_3repE0EEENS1_30default_config_static_selectorELNS0_4arch9wavefront6targetE0EEEvSP_,"axG",@progbits,_ZN7rocprim17ROCPRIM_400000_NS6detail17trampoline_kernelINS0_14default_configENS1_32segmented_reduce_config_selectorIdEEZNS1_21segmented_reduce_implIS3_PKdPdPKidN6hipcub16HIPCUB_304000_NS6detail27convert_result_type_wrapperIS8_S9_N2at6native12_GLOBAL__N_19CustomMinEEEEE10hipError_tPvRmT0_T1_jT2_SQ_T4_T3_P12ihipStream_tbEUlT_E_NS1_11comp_targetILNS1_3genE4ELNS1_11target_archE910ELNS1_3gpuE8ELNS1_3repE0EEENS1_30default_config_static_selectorELNS0_4arch9wavefront6targetE0EEEvSP_,comdat
.Lfunc_end29:
	.size	_ZN7rocprim17ROCPRIM_400000_NS6detail17trampoline_kernelINS0_14default_configENS1_32segmented_reduce_config_selectorIdEEZNS1_21segmented_reduce_implIS3_PKdPdPKidN6hipcub16HIPCUB_304000_NS6detail27convert_result_type_wrapperIS8_S9_N2at6native12_GLOBAL__N_19CustomMinEEEEE10hipError_tPvRmT0_T1_jT2_SQ_T4_T3_P12ihipStream_tbEUlT_E_NS1_11comp_targetILNS1_3genE4ELNS1_11target_archE910ELNS1_3gpuE8ELNS1_3repE0EEENS1_30default_config_static_selectorELNS0_4arch9wavefront6targetE0EEEvSP_, .Lfunc_end29-_ZN7rocprim17ROCPRIM_400000_NS6detail17trampoline_kernelINS0_14default_configENS1_32segmented_reduce_config_selectorIdEEZNS1_21segmented_reduce_implIS3_PKdPdPKidN6hipcub16HIPCUB_304000_NS6detail27convert_result_type_wrapperIS8_S9_N2at6native12_GLOBAL__N_19CustomMinEEEEE10hipError_tPvRmT0_T1_jT2_SQ_T4_T3_P12ihipStream_tbEUlT_E_NS1_11comp_targetILNS1_3genE4ELNS1_11target_archE910ELNS1_3gpuE8ELNS1_3repE0EEENS1_30default_config_static_selectorELNS0_4arch9wavefront6targetE0EEEvSP_
                                        ; -- End function
	.section	.AMDGPU.csdata,"",@progbits
; Kernel info:
; codeLenInByte = 0
; NumSgprs: 0
; NumVgprs: 0
; ScratchSize: 0
; MemoryBound: 0
; FloatMode: 240
; IeeeMode: 1
; LDSByteSize: 0 bytes/workgroup (compile time only)
; SGPRBlocks: 0
; VGPRBlocks: 0
; NumSGPRsForWavesPerEU: 1
; NumVGPRsForWavesPerEU: 1
; Occupancy: 16
; WaveLimiterHint : 0
; COMPUTE_PGM_RSRC2:SCRATCH_EN: 0
; COMPUTE_PGM_RSRC2:USER_SGPR: 15
; COMPUTE_PGM_RSRC2:TRAP_HANDLER: 0
; COMPUTE_PGM_RSRC2:TGID_X_EN: 1
; COMPUTE_PGM_RSRC2:TGID_Y_EN: 0
; COMPUTE_PGM_RSRC2:TGID_Z_EN: 0
; COMPUTE_PGM_RSRC2:TIDIG_COMP_CNT: 0
	.section	.text._ZN7rocprim17ROCPRIM_400000_NS6detail17trampoline_kernelINS0_14default_configENS1_32segmented_reduce_config_selectorIdEEZNS1_21segmented_reduce_implIS3_PKdPdPKidN6hipcub16HIPCUB_304000_NS6detail27convert_result_type_wrapperIS8_S9_N2at6native12_GLOBAL__N_19CustomMinEEEEE10hipError_tPvRmT0_T1_jT2_SQ_T4_T3_P12ihipStream_tbEUlT_E_NS1_11comp_targetILNS1_3genE3ELNS1_11target_archE908ELNS1_3gpuE7ELNS1_3repE0EEENS1_30default_config_static_selectorELNS0_4arch9wavefront6targetE0EEEvSP_,"axG",@progbits,_ZN7rocprim17ROCPRIM_400000_NS6detail17trampoline_kernelINS0_14default_configENS1_32segmented_reduce_config_selectorIdEEZNS1_21segmented_reduce_implIS3_PKdPdPKidN6hipcub16HIPCUB_304000_NS6detail27convert_result_type_wrapperIS8_S9_N2at6native12_GLOBAL__N_19CustomMinEEEEE10hipError_tPvRmT0_T1_jT2_SQ_T4_T3_P12ihipStream_tbEUlT_E_NS1_11comp_targetILNS1_3genE3ELNS1_11target_archE908ELNS1_3gpuE7ELNS1_3repE0EEENS1_30default_config_static_selectorELNS0_4arch9wavefront6targetE0EEEvSP_,comdat
	.globl	_ZN7rocprim17ROCPRIM_400000_NS6detail17trampoline_kernelINS0_14default_configENS1_32segmented_reduce_config_selectorIdEEZNS1_21segmented_reduce_implIS3_PKdPdPKidN6hipcub16HIPCUB_304000_NS6detail27convert_result_type_wrapperIS8_S9_N2at6native12_GLOBAL__N_19CustomMinEEEEE10hipError_tPvRmT0_T1_jT2_SQ_T4_T3_P12ihipStream_tbEUlT_E_NS1_11comp_targetILNS1_3genE3ELNS1_11target_archE908ELNS1_3gpuE7ELNS1_3repE0EEENS1_30default_config_static_selectorELNS0_4arch9wavefront6targetE0EEEvSP_ ; -- Begin function _ZN7rocprim17ROCPRIM_400000_NS6detail17trampoline_kernelINS0_14default_configENS1_32segmented_reduce_config_selectorIdEEZNS1_21segmented_reduce_implIS3_PKdPdPKidN6hipcub16HIPCUB_304000_NS6detail27convert_result_type_wrapperIS8_S9_N2at6native12_GLOBAL__N_19CustomMinEEEEE10hipError_tPvRmT0_T1_jT2_SQ_T4_T3_P12ihipStream_tbEUlT_E_NS1_11comp_targetILNS1_3genE3ELNS1_11target_archE908ELNS1_3gpuE7ELNS1_3repE0EEENS1_30default_config_static_selectorELNS0_4arch9wavefront6targetE0EEEvSP_
	.p2align	8
	.type	_ZN7rocprim17ROCPRIM_400000_NS6detail17trampoline_kernelINS0_14default_configENS1_32segmented_reduce_config_selectorIdEEZNS1_21segmented_reduce_implIS3_PKdPdPKidN6hipcub16HIPCUB_304000_NS6detail27convert_result_type_wrapperIS8_S9_N2at6native12_GLOBAL__N_19CustomMinEEEEE10hipError_tPvRmT0_T1_jT2_SQ_T4_T3_P12ihipStream_tbEUlT_E_NS1_11comp_targetILNS1_3genE3ELNS1_11target_archE908ELNS1_3gpuE7ELNS1_3repE0EEENS1_30default_config_static_selectorELNS0_4arch9wavefront6targetE0EEEvSP_,@function
_ZN7rocprim17ROCPRIM_400000_NS6detail17trampoline_kernelINS0_14default_configENS1_32segmented_reduce_config_selectorIdEEZNS1_21segmented_reduce_implIS3_PKdPdPKidN6hipcub16HIPCUB_304000_NS6detail27convert_result_type_wrapperIS8_S9_N2at6native12_GLOBAL__N_19CustomMinEEEEE10hipError_tPvRmT0_T1_jT2_SQ_T4_T3_P12ihipStream_tbEUlT_E_NS1_11comp_targetILNS1_3genE3ELNS1_11target_archE908ELNS1_3gpuE7ELNS1_3repE0EEENS1_30default_config_static_selectorELNS0_4arch9wavefront6targetE0EEEvSP_: ; @_ZN7rocprim17ROCPRIM_400000_NS6detail17trampoline_kernelINS0_14default_configENS1_32segmented_reduce_config_selectorIdEEZNS1_21segmented_reduce_implIS3_PKdPdPKidN6hipcub16HIPCUB_304000_NS6detail27convert_result_type_wrapperIS8_S9_N2at6native12_GLOBAL__N_19CustomMinEEEEE10hipError_tPvRmT0_T1_jT2_SQ_T4_T3_P12ihipStream_tbEUlT_E_NS1_11comp_targetILNS1_3genE3ELNS1_11target_archE908ELNS1_3gpuE7ELNS1_3repE0EEENS1_30default_config_static_selectorELNS0_4arch9wavefront6targetE0EEEvSP_
; %bb.0:
	.section	.rodata,"a",@progbits
	.p2align	6, 0x0
	.amdhsa_kernel _ZN7rocprim17ROCPRIM_400000_NS6detail17trampoline_kernelINS0_14default_configENS1_32segmented_reduce_config_selectorIdEEZNS1_21segmented_reduce_implIS3_PKdPdPKidN6hipcub16HIPCUB_304000_NS6detail27convert_result_type_wrapperIS8_S9_N2at6native12_GLOBAL__N_19CustomMinEEEEE10hipError_tPvRmT0_T1_jT2_SQ_T4_T3_P12ihipStream_tbEUlT_E_NS1_11comp_targetILNS1_3genE3ELNS1_11target_archE908ELNS1_3gpuE7ELNS1_3repE0EEENS1_30default_config_static_selectorELNS0_4arch9wavefront6targetE0EEEvSP_
		.amdhsa_group_segment_fixed_size 0
		.amdhsa_private_segment_fixed_size 0
		.amdhsa_kernarg_size 56
		.amdhsa_user_sgpr_count 15
		.amdhsa_user_sgpr_dispatch_ptr 0
		.amdhsa_user_sgpr_queue_ptr 0
		.amdhsa_user_sgpr_kernarg_segment_ptr 1
		.amdhsa_user_sgpr_dispatch_id 0
		.amdhsa_user_sgpr_private_segment_size 0
		.amdhsa_wavefront_size32 1
		.amdhsa_uses_dynamic_stack 0
		.amdhsa_enable_private_segment 0
		.amdhsa_system_sgpr_workgroup_id_x 1
		.amdhsa_system_sgpr_workgroup_id_y 0
		.amdhsa_system_sgpr_workgroup_id_z 0
		.amdhsa_system_sgpr_workgroup_info 0
		.amdhsa_system_vgpr_workitem_id 0
		.amdhsa_next_free_vgpr 1
		.amdhsa_next_free_sgpr 1
		.amdhsa_reserve_vcc 0
		.amdhsa_float_round_mode_32 0
		.amdhsa_float_round_mode_16_64 0
		.amdhsa_float_denorm_mode_32 3
		.amdhsa_float_denorm_mode_16_64 3
		.amdhsa_dx10_clamp 1
		.amdhsa_ieee_mode 1
		.amdhsa_fp16_overflow 0
		.amdhsa_workgroup_processor_mode 1
		.amdhsa_memory_ordered 1
		.amdhsa_forward_progress 0
		.amdhsa_shared_vgpr_count 0
		.amdhsa_exception_fp_ieee_invalid_op 0
		.amdhsa_exception_fp_denorm_src 0
		.amdhsa_exception_fp_ieee_div_zero 0
		.amdhsa_exception_fp_ieee_overflow 0
		.amdhsa_exception_fp_ieee_underflow 0
		.amdhsa_exception_fp_ieee_inexact 0
		.amdhsa_exception_int_div_zero 0
	.end_amdhsa_kernel
	.section	.text._ZN7rocprim17ROCPRIM_400000_NS6detail17trampoline_kernelINS0_14default_configENS1_32segmented_reduce_config_selectorIdEEZNS1_21segmented_reduce_implIS3_PKdPdPKidN6hipcub16HIPCUB_304000_NS6detail27convert_result_type_wrapperIS8_S9_N2at6native12_GLOBAL__N_19CustomMinEEEEE10hipError_tPvRmT0_T1_jT2_SQ_T4_T3_P12ihipStream_tbEUlT_E_NS1_11comp_targetILNS1_3genE3ELNS1_11target_archE908ELNS1_3gpuE7ELNS1_3repE0EEENS1_30default_config_static_selectorELNS0_4arch9wavefront6targetE0EEEvSP_,"axG",@progbits,_ZN7rocprim17ROCPRIM_400000_NS6detail17trampoline_kernelINS0_14default_configENS1_32segmented_reduce_config_selectorIdEEZNS1_21segmented_reduce_implIS3_PKdPdPKidN6hipcub16HIPCUB_304000_NS6detail27convert_result_type_wrapperIS8_S9_N2at6native12_GLOBAL__N_19CustomMinEEEEE10hipError_tPvRmT0_T1_jT2_SQ_T4_T3_P12ihipStream_tbEUlT_E_NS1_11comp_targetILNS1_3genE3ELNS1_11target_archE908ELNS1_3gpuE7ELNS1_3repE0EEENS1_30default_config_static_selectorELNS0_4arch9wavefront6targetE0EEEvSP_,comdat
.Lfunc_end30:
	.size	_ZN7rocprim17ROCPRIM_400000_NS6detail17trampoline_kernelINS0_14default_configENS1_32segmented_reduce_config_selectorIdEEZNS1_21segmented_reduce_implIS3_PKdPdPKidN6hipcub16HIPCUB_304000_NS6detail27convert_result_type_wrapperIS8_S9_N2at6native12_GLOBAL__N_19CustomMinEEEEE10hipError_tPvRmT0_T1_jT2_SQ_T4_T3_P12ihipStream_tbEUlT_E_NS1_11comp_targetILNS1_3genE3ELNS1_11target_archE908ELNS1_3gpuE7ELNS1_3repE0EEENS1_30default_config_static_selectorELNS0_4arch9wavefront6targetE0EEEvSP_, .Lfunc_end30-_ZN7rocprim17ROCPRIM_400000_NS6detail17trampoline_kernelINS0_14default_configENS1_32segmented_reduce_config_selectorIdEEZNS1_21segmented_reduce_implIS3_PKdPdPKidN6hipcub16HIPCUB_304000_NS6detail27convert_result_type_wrapperIS8_S9_N2at6native12_GLOBAL__N_19CustomMinEEEEE10hipError_tPvRmT0_T1_jT2_SQ_T4_T3_P12ihipStream_tbEUlT_E_NS1_11comp_targetILNS1_3genE3ELNS1_11target_archE908ELNS1_3gpuE7ELNS1_3repE0EEENS1_30default_config_static_selectorELNS0_4arch9wavefront6targetE0EEEvSP_
                                        ; -- End function
	.section	.AMDGPU.csdata,"",@progbits
; Kernel info:
; codeLenInByte = 0
; NumSgprs: 0
; NumVgprs: 0
; ScratchSize: 0
; MemoryBound: 0
; FloatMode: 240
; IeeeMode: 1
; LDSByteSize: 0 bytes/workgroup (compile time only)
; SGPRBlocks: 0
; VGPRBlocks: 0
; NumSGPRsForWavesPerEU: 1
; NumVGPRsForWavesPerEU: 1
; Occupancy: 16
; WaveLimiterHint : 0
; COMPUTE_PGM_RSRC2:SCRATCH_EN: 0
; COMPUTE_PGM_RSRC2:USER_SGPR: 15
; COMPUTE_PGM_RSRC2:TRAP_HANDLER: 0
; COMPUTE_PGM_RSRC2:TGID_X_EN: 1
; COMPUTE_PGM_RSRC2:TGID_Y_EN: 0
; COMPUTE_PGM_RSRC2:TGID_Z_EN: 0
; COMPUTE_PGM_RSRC2:TIDIG_COMP_CNT: 0
	.section	.text._ZN7rocprim17ROCPRIM_400000_NS6detail17trampoline_kernelINS0_14default_configENS1_32segmented_reduce_config_selectorIdEEZNS1_21segmented_reduce_implIS3_PKdPdPKidN6hipcub16HIPCUB_304000_NS6detail27convert_result_type_wrapperIS8_S9_N2at6native12_GLOBAL__N_19CustomMinEEEEE10hipError_tPvRmT0_T1_jT2_SQ_T4_T3_P12ihipStream_tbEUlT_E_NS1_11comp_targetILNS1_3genE2ELNS1_11target_archE906ELNS1_3gpuE6ELNS1_3repE0EEENS1_30default_config_static_selectorELNS0_4arch9wavefront6targetE0EEEvSP_,"axG",@progbits,_ZN7rocprim17ROCPRIM_400000_NS6detail17trampoline_kernelINS0_14default_configENS1_32segmented_reduce_config_selectorIdEEZNS1_21segmented_reduce_implIS3_PKdPdPKidN6hipcub16HIPCUB_304000_NS6detail27convert_result_type_wrapperIS8_S9_N2at6native12_GLOBAL__N_19CustomMinEEEEE10hipError_tPvRmT0_T1_jT2_SQ_T4_T3_P12ihipStream_tbEUlT_E_NS1_11comp_targetILNS1_3genE2ELNS1_11target_archE906ELNS1_3gpuE6ELNS1_3repE0EEENS1_30default_config_static_selectorELNS0_4arch9wavefront6targetE0EEEvSP_,comdat
	.globl	_ZN7rocprim17ROCPRIM_400000_NS6detail17trampoline_kernelINS0_14default_configENS1_32segmented_reduce_config_selectorIdEEZNS1_21segmented_reduce_implIS3_PKdPdPKidN6hipcub16HIPCUB_304000_NS6detail27convert_result_type_wrapperIS8_S9_N2at6native12_GLOBAL__N_19CustomMinEEEEE10hipError_tPvRmT0_T1_jT2_SQ_T4_T3_P12ihipStream_tbEUlT_E_NS1_11comp_targetILNS1_3genE2ELNS1_11target_archE906ELNS1_3gpuE6ELNS1_3repE0EEENS1_30default_config_static_selectorELNS0_4arch9wavefront6targetE0EEEvSP_ ; -- Begin function _ZN7rocprim17ROCPRIM_400000_NS6detail17trampoline_kernelINS0_14default_configENS1_32segmented_reduce_config_selectorIdEEZNS1_21segmented_reduce_implIS3_PKdPdPKidN6hipcub16HIPCUB_304000_NS6detail27convert_result_type_wrapperIS8_S9_N2at6native12_GLOBAL__N_19CustomMinEEEEE10hipError_tPvRmT0_T1_jT2_SQ_T4_T3_P12ihipStream_tbEUlT_E_NS1_11comp_targetILNS1_3genE2ELNS1_11target_archE906ELNS1_3gpuE6ELNS1_3repE0EEENS1_30default_config_static_selectorELNS0_4arch9wavefront6targetE0EEEvSP_
	.p2align	8
	.type	_ZN7rocprim17ROCPRIM_400000_NS6detail17trampoline_kernelINS0_14default_configENS1_32segmented_reduce_config_selectorIdEEZNS1_21segmented_reduce_implIS3_PKdPdPKidN6hipcub16HIPCUB_304000_NS6detail27convert_result_type_wrapperIS8_S9_N2at6native12_GLOBAL__N_19CustomMinEEEEE10hipError_tPvRmT0_T1_jT2_SQ_T4_T3_P12ihipStream_tbEUlT_E_NS1_11comp_targetILNS1_3genE2ELNS1_11target_archE906ELNS1_3gpuE6ELNS1_3repE0EEENS1_30default_config_static_selectorELNS0_4arch9wavefront6targetE0EEEvSP_,@function
_ZN7rocprim17ROCPRIM_400000_NS6detail17trampoline_kernelINS0_14default_configENS1_32segmented_reduce_config_selectorIdEEZNS1_21segmented_reduce_implIS3_PKdPdPKidN6hipcub16HIPCUB_304000_NS6detail27convert_result_type_wrapperIS8_S9_N2at6native12_GLOBAL__N_19CustomMinEEEEE10hipError_tPvRmT0_T1_jT2_SQ_T4_T3_P12ihipStream_tbEUlT_E_NS1_11comp_targetILNS1_3genE2ELNS1_11target_archE906ELNS1_3gpuE6ELNS1_3repE0EEENS1_30default_config_static_selectorELNS0_4arch9wavefront6targetE0EEEvSP_: ; @_ZN7rocprim17ROCPRIM_400000_NS6detail17trampoline_kernelINS0_14default_configENS1_32segmented_reduce_config_selectorIdEEZNS1_21segmented_reduce_implIS3_PKdPdPKidN6hipcub16HIPCUB_304000_NS6detail27convert_result_type_wrapperIS8_S9_N2at6native12_GLOBAL__N_19CustomMinEEEEE10hipError_tPvRmT0_T1_jT2_SQ_T4_T3_P12ihipStream_tbEUlT_E_NS1_11comp_targetILNS1_3genE2ELNS1_11target_archE906ELNS1_3gpuE6ELNS1_3repE0EEENS1_30default_config_static_selectorELNS0_4arch9wavefront6targetE0EEEvSP_
; %bb.0:
	.section	.rodata,"a",@progbits
	.p2align	6, 0x0
	.amdhsa_kernel _ZN7rocprim17ROCPRIM_400000_NS6detail17trampoline_kernelINS0_14default_configENS1_32segmented_reduce_config_selectorIdEEZNS1_21segmented_reduce_implIS3_PKdPdPKidN6hipcub16HIPCUB_304000_NS6detail27convert_result_type_wrapperIS8_S9_N2at6native12_GLOBAL__N_19CustomMinEEEEE10hipError_tPvRmT0_T1_jT2_SQ_T4_T3_P12ihipStream_tbEUlT_E_NS1_11comp_targetILNS1_3genE2ELNS1_11target_archE906ELNS1_3gpuE6ELNS1_3repE0EEENS1_30default_config_static_selectorELNS0_4arch9wavefront6targetE0EEEvSP_
		.amdhsa_group_segment_fixed_size 0
		.amdhsa_private_segment_fixed_size 0
		.amdhsa_kernarg_size 56
		.amdhsa_user_sgpr_count 15
		.amdhsa_user_sgpr_dispatch_ptr 0
		.amdhsa_user_sgpr_queue_ptr 0
		.amdhsa_user_sgpr_kernarg_segment_ptr 1
		.amdhsa_user_sgpr_dispatch_id 0
		.amdhsa_user_sgpr_private_segment_size 0
		.amdhsa_wavefront_size32 1
		.amdhsa_uses_dynamic_stack 0
		.amdhsa_enable_private_segment 0
		.amdhsa_system_sgpr_workgroup_id_x 1
		.amdhsa_system_sgpr_workgroup_id_y 0
		.amdhsa_system_sgpr_workgroup_id_z 0
		.amdhsa_system_sgpr_workgroup_info 0
		.amdhsa_system_vgpr_workitem_id 0
		.amdhsa_next_free_vgpr 1
		.amdhsa_next_free_sgpr 1
		.amdhsa_reserve_vcc 0
		.amdhsa_float_round_mode_32 0
		.amdhsa_float_round_mode_16_64 0
		.amdhsa_float_denorm_mode_32 3
		.amdhsa_float_denorm_mode_16_64 3
		.amdhsa_dx10_clamp 1
		.amdhsa_ieee_mode 1
		.amdhsa_fp16_overflow 0
		.amdhsa_workgroup_processor_mode 1
		.amdhsa_memory_ordered 1
		.amdhsa_forward_progress 0
		.amdhsa_shared_vgpr_count 0
		.amdhsa_exception_fp_ieee_invalid_op 0
		.amdhsa_exception_fp_denorm_src 0
		.amdhsa_exception_fp_ieee_div_zero 0
		.amdhsa_exception_fp_ieee_overflow 0
		.amdhsa_exception_fp_ieee_underflow 0
		.amdhsa_exception_fp_ieee_inexact 0
		.amdhsa_exception_int_div_zero 0
	.end_amdhsa_kernel
	.section	.text._ZN7rocprim17ROCPRIM_400000_NS6detail17trampoline_kernelINS0_14default_configENS1_32segmented_reduce_config_selectorIdEEZNS1_21segmented_reduce_implIS3_PKdPdPKidN6hipcub16HIPCUB_304000_NS6detail27convert_result_type_wrapperIS8_S9_N2at6native12_GLOBAL__N_19CustomMinEEEEE10hipError_tPvRmT0_T1_jT2_SQ_T4_T3_P12ihipStream_tbEUlT_E_NS1_11comp_targetILNS1_3genE2ELNS1_11target_archE906ELNS1_3gpuE6ELNS1_3repE0EEENS1_30default_config_static_selectorELNS0_4arch9wavefront6targetE0EEEvSP_,"axG",@progbits,_ZN7rocprim17ROCPRIM_400000_NS6detail17trampoline_kernelINS0_14default_configENS1_32segmented_reduce_config_selectorIdEEZNS1_21segmented_reduce_implIS3_PKdPdPKidN6hipcub16HIPCUB_304000_NS6detail27convert_result_type_wrapperIS8_S9_N2at6native12_GLOBAL__N_19CustomMinEEEEE10hipError_tPvRmT0_T1_jT2_SQ_T4_T3_P12ihipStream_tbEUlT_E_NS1_11comp_targetILNS1_3genE2ELNS1_11target_archE906ELNS1_3gpuE6ELNS1_3repE0EEENS1_30default_config_static_selectorELNS0_4arch9wavefront6targetE0EEEvSP_,comdat
.Lfunc_end31:
	.size	_ZN7rocprim17ROCPRIM_400000_NS6detail17trampoline_kernelINS0_14default_configENS1_32segmented_reduce_config_selectorIdEEZNS1_21segmented_reduce_implIS3_PKdPdPKidN6hipcub16HIPCUB_304000_NS6detail27convert_result_type_wrapperIS8_S9_N2at6native12_GLOBAL__N_19CustomMinEEEEE10hipError_tPvRmT0_T1_jT2_SQ_T4_T3_P12ihipStream_tbEUlT_E_NS1_11comp_targetILNS1_3genE2ELNS1_11target_archE906ELNS1_3gpuE6ELNS1_3repE0EEENS1_30default_config_static_selectorELNS0_4arch9wavefront6targetE0EEEvSP_, .Lfunc_end31-_ZN7rocprim17ROCPRIM_400000_NS6detail17trampoline_kernelINS0_14default_configENS1_32segmented_reduce_config_selectorIdEEZNS1_21segmented_reduce_implIS3_PKdPdPKidN6hipcub16HIPCUB_304000_NS6detail27convert_result_type_wrapperIS8_S9_N2at6native12_GLOBAL__N_19CustomMinEEEEE10hipError_tPvRmT0_T1_jT2_SQ_T4_T3_P12ihipStream_tbEUlT_E_NS1_11comp_targetILNS1_3genE2ELNS1_11target_archE906ELNS1_3gpuE6ELNS1_3repE0EEENS1_30default_config_static_selectorELNS0_4arch9wavefront6targetE0EEEvSP_
                                        ; -- End function
	.section	.AMDGPU.csdata,"",@progbits
; Kernel info:
; codeLenInByte = 0
; NumSgprs: 0
; NumVgprs: 0
; ScratchSize: 0
; MemoryBound: 0
; FloatMode: 240
; IeeeMode: 1
; LDSByteSize: 0 bytes/workgroup (compile time only)
; SGPRBlocks: 0
; VGPRBlocks: 0
; NumSGPRsForWavesPerEU: 1
; NumVGPRsForWavesPerEU: 1
; Occupancy: 16
; WaveLimiterHint : 0
; COMPUTE_PGM_RSRC2:SCRATCH_EN: 0
; COMPUTE_PGM_RSRC2:USER_SGPR: 15
; COMPUTE_PGM_RSRC2:TRAP_HANDLER: 0
; COMPUTE_PGM_RSRC2:TGID_X_EN: 1
; COMPUTE_PGM_RSRC2:TGID_Y_EN: 0
; COMPUTE_PGM_RSRC2:TGID_Z_EN: 0
; COMPUTE_PGM_RSRC2:TIDIG_COMP_CNT: 0
	.section	.text._ZN7rocprim17ROCPRIM_400000_NS6detail17trampoline_kernelINS0_14default_configENS1_32segmented_reduce_config_selectorIdEEZNS1_21segmented_reduce_implIS3_PKdPdPKidN6hipcub16HIPCUB_304000_NS6detail27convert_result_type_wrapperIS8_S9_N2at6native12_GLOBAL__N_19CustomMinEEEEE10hipError_tPvRmT0_T1_jT2_SQ_T4_T3_P12ihipStream_tbEUlT_E_NS1_11comp_targetILNS1_3genE9ELNS1_11target_archE1100ELNS1_3gpuE3ELNS1_3repE0EEENS1_30default_config_static_selectorELNS0_4arch9wavefront6targetE0EEEvSP_,"axG",@progbits,_ZN7rocprim17ROCPRIM_400000_NS6detail17trampoline_kernelINS0_14default_configENS1_32segmented_reduce_config_selectorIdEEZNS1_21segmented_reduce_implIS3_PKdPdPKidN6hipcub16HIPCUB_304000_NS6detail27convert_result_type_wrapperIS8_S9_N2at6native12_GLOBAL__N_19CustomMinEEEEE10hipError_tPvRmT0_T1_jT2_SQ_T4_T3_P12ihipStream_tbEUlT_E_NS1_11comp_targetILNS1_3genE9ELNS1_11target_archE1100ELNS1_3gpuE3ELNS1_3repE0EEENS1_30default_config_static_selectorELNS0_4arch9wavefront6targetE0EEEvSP_,comdat
	.globl	_ZN7rocprim17ROCPRIM_400000_NS6detail17trampoline_kernelINS0_14default_configENS1_32segmented_reduce_config_selectorIdEEZNS1_21segmented_reduce_implIS3_PKdPdPKidN6hipcub16HIPCUB_304000_NS6detail27convert_result_type_wrapperIS8_S9_N2at6native12_GLOBAL__N_19CustomMinEEEEE10hipError_tPvRmT0_T1_jT2_SQ_T4_T3_P12ihipStream_tbEUlT_E_NS1_11comp_targetILNS1_3genE9ELNS1_11target_archE1100ELNS1_3gpuE3ELNS1_3repE0EEENS1_30default_config_static_selectorELNS0_4arch9wavefront6targetE0EEEvSP_ ; -- Begin function _ZN7rocprim17ROCPRIM_400000_NS6detail17trampoline_kernelINS0_14default_configENS1_32segmented_reduce_config_selectorIdEEZNS1_21segmented_reduce_implIS3_PKdPdPKidN6hipcub16HIPCUB_304000_NS6detail27convert_result_type_wrapperIS8_S9_N2at6native12_GLOBAL__N_19CustomMinEEEEE10hipError_tPvRmT0_T1_jT2_SQ_T4_T3_P12ihipStream_tbEUlT_E_NS1_11comp_targetILNS1_3genE9ELNS1_11target_archE1100ELNS1_3gpuE3ELNS1_3repE0EEENS1_30default_config_static_selectorELNS0_4arch9wavefront6targetE0EEEvSP_
	.p2align	8
	.type	_ZN7rocprim17ROCPRIM_400000_NS6detail17trampoline_kernelINS0_14default_configENS1_32segmented_reduce_config_selectorIdEEZNS1_21segmented_reduce_implIS3_PKdPdPKidN6hipcub16HIPCUB_304000_NS6detail27convert_result_type_wrapperIS8_S9_N2at6native12_GLOBAL__N_19CustomMinEEEEE10hipError_tPvRmT0_T1_jT2_SQ_T4_T3_P12ihipStream_tbEUlT_E_NS1_11comp_targetILNS1_3genE9ELNS1_11target_archE1100ELNS1_3gpuE3ELNS1_3repE0EEENS1_30default_config_static_selectorELNS0_4arch9wavefront6targetE0EEEvSP_,@function
_ZN7rocprim17ROCPRIM_400000_NS6detail17trampoline_kernelINS0_14default_configENS1_32segmented_reduce_config_selectorIdEEZNS1_21segmented_reduce_implIS3_PKdPdPKidN6hipcub16HIPCUB_304000_NS6detail27convert_result_type_wrapperIS8_S9_N2at6native12_GLOBAL__N_19CustomMinEEEEE10hipError_tPvRmT0_T1_jT2_SQ_T4_T3_P12ihipStream_tbEUlT_E_NS1_11comp_targetILNS1_3genE9ELNS1_11target_archE1100ELNS1_3gpuE3ELNS1_3repE0EEENS1_30default_config_static_selectorELNS0_4arch9wavefront6targetE0EEEvSP_: ; @_ZN7rocprim17ROCPRIM_400000_NS6detail17trampoline_kernelINS0_14default_configENS1_32segmented_reduce_config_selectorIdEEZNS1_21segmented_reduce_implIS3_PKdPdPKidN6hipcub16HIPCUB_304000_NS6detail27convert_result_type_wrapperIS8_S9_N2at6native12_GLOBAL__N_19CustomMinEEEEE10hipError_tPvRmT0_T1_jT2_SQ_T4_T3_P12ihipStream_tbEUlT_E_NS1_11comp_targetILNS1_3genE9ELNS1_11target_archE1100ELNS1_3gpuE3ELNS1_3repE0EEENS1_30default_config_static_selectorELNS0_4arch9wavefront6targetE0EEEvSP_
; %bb.0:
	s_mov_b32 s2, s15
	s_clause 0x1
	s_load_b256 s[4:11], s[0:1], 0x0
	s_load_b64 s[14:15], s[0:1], 0x20
	s_mov_b32 s3, 0
	s_load_b64 s[12:13], s[0:1], 0x30
	v_cmp_eq_u32_e32 vcc_lo, 0, v0
	s_waitcnt lgkmcnt(0)
	s_lshl_b64 s[16:17], s[8:9], 2
	s_delay_alu instid0(SALU_CYCLE_1) | instskip(SKIP_4) | instid1(SALU_CYCLE_1)
	s_add_u32 s10, s10, s16
	s_addc_u32 s11, s11, s17
	s_add_u32 s14, s14, s16
	s_addc_u32 s15, s15, s17
	s_lshl_b64 s[0:1], s[2:3], 2
	s_add_u32 s10, s10, s0
	s_addc_u32 s11, s11, s1
	s_add_u32 s0, s14, s0
	s_addc_u32 s1, s15, s1
	s_load_b32 s10, s[10:11], 0x0
	s_load_b32 s15, s[0:1], 0x0
	s_waitcnt lgkmcnt(0)
	s_cmp_gt_i32 s15, s10
	s_cbranch_scc1 .LBB32_3
; %bb.1:
	s_and_b32 s14, vcc_lo, exec_lo
	s_cbranch_execz .LBB32_4
; %bb.2:
	v_dual_mov_b32 v3, s12 :: v_dual_mov_b32 v4, s13
	s_and_saveexec_b32 s0, s14
	s_cbranch_execnz .LBB32_371
	s_branch .LBB32_372
.LBB32_3:
	s_mov_b32 s14, s3
.LBB32_4:
	s_add_i32 s0, s10, 0x1000
	s_delay_alu instid0(SALU_CYCLE_1)
	s_cmp_le_i32 s0, s15
	s_cbranch_scc0 .LBB32_132
; %bb.5:
	s_ashr_i32 s11, s10, 31
	v_lshlrev_b32_e32 v37, 3, v0
	s_lshl_b64 s[16:17], s[10:11], 3
	s_delay_alu instid0(SALU_CYCLE_1) | instskip(SKIP_1) | instid1(VALU_DEP_1)
	s_add_u32 s16, s4, s16
	s_addc_u32 s17, s5, s17
	v_add_co_u32 v13, s1, s16, v37
	s_delay_alu instid0(VALU_DEP_1) | instskip(SKIP_1) | instid1(VALU_DEP_2)
	v_add_co_ci_u32_e64 v14, null, s17, 0, s1
	s_mov_b32 s1, exec_lo
	v_add_co_u32 v1, vcc_lo, 0x1000, v13
	s_delay_alu instid0(VALU_DEP_2)
	v_add_co_ci_u32_e32 v2, vcc_lo, 0, v14, vcc_lo
	v_add_co_u32 v17, vcc_lo, v13, 0x2000
	v_add_co_ci_u32_e32 v18, vcc_lo, 0, v14, vcc_lo
	v_add_co_u32 v3, vcc_lo, 0x2000, v13
	v_add_co_ci_u32_e32 v4, vcc_lo, 0, v14, vcc_lo
	s_clause 0x4
	global_load_b64 v[25:26], v[17:18], off
	global_load_b64 v[31:32], v37, s[16:17]
	global_load_b64 v[29:30], v37, s[16:17] offset:2048
	global_load_b64 v[27:28], v[1:2], off offset:2048
	global_load_b64 v[19:20], v[3:4], off offset:2048
	v_add_co_u32 v1, vcc_lo, 0x3000, v13
	v_add_co_ci_u32_e32 v2, vcc_lo, 0, v14, vcc_lo
	v_add_co_u32 v3, vcc_lo, v13, 0x4000
	v_add_co_ci_u32_e32 v4, vcc_lo, 0, v14, vcc_lo
	;; [unrolled: 2-line block ×7, first 2 shown]
	s_clause 0xa
	global_load_b64 v[23:24], v[3:4], off offset:-4096
	global_load_b64 v[15:16], v[3:4], off
	global_load_b64 v[11:12], v[7:8], off offset:-4096
	global_load_b64 v[7:8], v[7:8], off
	global_load_b64 v[21:22], v[1:2], off offset:2048
	global_load_b64 v[13:14], v[5:6], off offset:2048
	;; [unrolled: 1-line block ×4, first 2 shown]
	global_load_b64 v[3:4], v[35:36], off
	global_load_b64 v[33:34], v[17:18], off offset:-4096
	global_load_b64 v[1:2], v[35:36], off offset:2048
	s_waitcnt vmcnt(14)
	v_dual_mov_b32 v17, v31 :: v_dual_mov_b32 v18, v32
	v_cmpx_o_f64_e32 v[31:32], v[31:32]
	s_cbranch_execz .LBB32_9
; %bb.6:
	s_waitcnt vmcnt(13)
	v_dual_mov_b32 v17, v29 :: v_dual_mov_b32 v18, v30
	s_mov_b32 s11, exec_lo
	v_cmpx_o_f64_e32 v[29:30], v[29:30]
; %bb.7:
	v_cmp_lt_f64_e32 vcc_lo, v[29:30], v[31:32]
	v_dual_cndmask_b32 v18, v32, v30 :: v_dual_cndmask_b32 v17, v31, v29
; %bb.8:
	s_or_b32 exec_lo, exec_lo, s11
.LBB32_9:
	s_delay_alu instid0(SALU_CYCLE_1) | instskip(NEXT) | instid1(SALU_CYCLE_1)
	s_or_b32 exec_lo, exec_lo, s1
	s_mov_b32 s1, exec_lo
	s_delay_alu instid0(VALU_DEP_1)
	v_cmpx_o_f64_e32 v[17:18], v[17:18]
	s_cbranch_execz .LBB32_13
; %bb.10:
	s_waitcnt vmcnt(1)
	v_dual_mov_b32 v36, v34 :: v_dual_mov_b32 v35, v33
	s_mov_b32 s11, exec_lo
	v_cmpx_o_f64_e32 v[33:34], v[33:34]
; %bb.11:
	v_cmp_lt_f64_e32 vcc_lo, v[33:34], v[17:18]
	v_dual_cndmask_b32 v36, v18, v34 :: v_dual_cndmask_b32 v35, v17, v33
; %bb.12:
	s_or_b32 exec_lo, exec_lo, s11
	s_delay_alu instid0(VALU_DEP_1)
	v_dual_mov_b32 v17, v35 :: v_dual_mov_b32 v18, v36
.LBB32_13:
	s_or_b32 exec_lo, exec_lo, s1
	s_delay_alu instid0(SALU_CYCLE_1) | instskip(NEXT) | instid1(VALU_DEP_1)
	s_mov_b32 s1, exec_lo
	v_cmpx_o_f64_e32 v[17:18], v[17:18]
	s_cbranch_execz .LBB32_17
; %bb.14:
	s_waitcnt vmcnt(12)
	v_dual_mov_b32 v36, v28 :: v_dual_mov_b32 v35, v27
	s_mov_b32 s11, exec_lo
	v_cmpx_o_f64_e32 v[27:28], v[27:28]
; %bb.15:
	v_cmp_lt_f64_e32 vcc_lo, v[27:28], v[17:18]
	v_dual_cndmask_b32 v36, v18, v28 :: v_dual_cndmask_b32 v35, v17, v27
; %bb.16:
	s_or_b32 exec_lo, exec_lo, s11
	s_delay_alu instid0(VALU_DEP_1)
	v_dual_mov_b32 v17, v35 :: v_dual_mov_b32 v18, v36
.LBB32_17:
	s_or_b32 exec_lo, exec_lo, s1
	s_delay_alu instid0(SALU_CYCLE_1) | instskip(NEXT) | instid1(VALU_DEP_1)
	s_mov_b32 s1, exec_lo
	v_cmpx_o_f64_e32 v[17:18], v[17:18]
	s_cbranch_execz .LBB32_21
; %bb.18:
	v_dual_mov_b32 v36, v26 :: v_dual_mov_b32 v35, v25
	s_mov_b32 s11, exec_lo
	v_cmpx_o_f64_e32 v[25:26], v[25:26]
; %bb.19:
	v_cmp_lt_f64_e32 vcc_lo, v[25:26], v[17:18]
	v_dual_cndmask_b32 v36, v18, v26 :: v_dual_cndmask_b32 v35, v17, v25
; %bb.20:
	s_or_b32 exec_lo, exec_lo, s11
	s_delay_alu instid0(VALU_DEP_1)
	v_dual_mov_b32 v17, v35 :: v_dual_mov_b32 v18, v36
.LBB32_21:
	s_or_b32 exec_lo, exec_lo, s1
	s_delay_alu instid0(SALU_CYCLE_1) | instskip(NEXT) | instid1(VALU_DEP_1)
	s_mov_b32 s1, exec_lo
	v_cmpx_o_f64_e32 v[17:18], v[17:18]
	s_cbranch_execz .LBB32_25
; %bb.22:
	s_waitcnt vmcnt(11)
	v_dual_mov_b32 v36, v20 :: v_dual_mov_b32 v35, v19
	s_mov_b32 s11, exec_lo
	v_cmpx_o_f64_e32 v[19:20], v[19:20]
; %bb.23:
	v_cmp_lt_f64_e32 vcc_lo, v[19:20], v[17:18]
	v_dual_cndmask_b32 v36, v18, v20 :: v_dual_cndmask_b32 v35, v17, v19
; %bb.24:
	s_or_b32 exec_lo, exec_lo, s11
	s_delay_alu instid0(VALU_DEP_1)
	v_dual_mov_b32 v17, v35 :: v_dual_mov_b32 v18, v36
.LBB32_25:
	s_or_b32 exec_lo, exec_lo, s1
	s_delay_alu instid0(SALU_CYCLE_1) | instskip(NEXT) | instid1(VALU_DEP_1)
	s_mov_b32 s1, exec_lo
	v_cmpx_o_f64_e32 v[17:18], v[17:18]
	s_cbranch_execz .LBB32_29
; %bb.26:
	s_waitcnt vmcnt(10)
	v_dual_mov_b32 v36, v24 :: v_dual_mov_b32 v35, v23
	s_mov_b32 s11, exec_lo
	v_cmpx_o_f64_e32 v[23:24], v[23:24]
; %bb.27:
	v_cmp_lt_f64_e32 vcc_lo, v[23:24], v[17:18]
	v_dual_cndmask_b32 v36, v18, v24 :: v_dual_cndmask_b32 v35, v17, v23
; %bb.28:
	s_or_b32 exec_lo, exec_lo, s11
	s_delay_alu instid0(VALU_DEP_1)
	v_dual_mov_b32 v17, v35 :: v_dual_mov_b32 v18, v36
.LBB32_29:
	;; [unrolled: 18-line block ×11, first 2 shown]
	s_or_b32 exec_lo, exec_lo, s1
	s_add_i32 s1, s10, 0x2000
	s_delay_alu instid0(SALU_CYCLE_1)
	s_cmp_ge_i32 s1, s15
	s_cbranch_scc1 .LBB32_133
; %bb.66:
	v_add_co_u32 v38, s1, s4, v37
	s_delay_alu instid0(VALU_DEP_1)
	v_add_co_ci_u32_e64 v39, null, s5, 0, s1
	s_branch .LBB32_69
.LBB32_67:                              ;   in Loop: Header=BB32_69 Depth=1
	s_or_b32 exec_lo, exec_lo, s11
	s_delay_alu instid0(VALU_DEP_1)
	v_dual_mov_b32 v17, v35 :: v_dual_mov_b32 v18, v36
.LBB32_68:                              ;   in Loop: Header=BB32_69 Depth=1
	s_or_b32 exec_lo, exec_lo, s1
	s_add_i32 s1, s0, 0x2000
	s_addk_i32 s0, 0x1000
	s_cmp_lt_i32 s1, s15
	s_cbranch_scc0 .LBB32_133
.LBB32_69:                              ; =>This Inner Loop Header: Depth=1
	s_ashr_i32 s1, s0, 31
	s_delay_alu instid0(SALU_CYCLE_1) | instskip(SKIP_4) | instid1(VALU_DEP_2)
	s_lshl_b64 s[16:17], s[0:1], 3
	s_mov_b32 s1, exec_lo
	s_waitcnt vmcnt(0)
	v_add_co_u32 v1, vcc_lo, v38, s16
	v_add_co_ci_u32_e32 v2, vcc_lo, s17, v39, vcc_lo
	v_add_co_u32 v3, vcc_lo, 0x1000, v1
	s_delay_alu instid0(VALU_DEP_2)
	v_add_co_ci_u32_e32 v4, vcc_lo, 0, v2, vcc_lo
	v_add_co_u32 v33, vcc_lo, v1, 0x2000
	v_add_co_ci_u32_e32 v34, vcc_lo, 0, v2, vcc_lo
	v_add_co_u32 v5, vcc_lo, 0x2000, v1
	v_add_co_ci_u32_e32 v6, vcc_lo, 0, v2, vcc_lo
	s_clause 0x4
	global_load_b64 v[25:26], v[33:34], off
	global_load_b64 v[31:32], v[1:2], off
	global_load_b64 v[29:30], v[1:2], off offset:2048
	global_load_b64 v[27:28], v[3:4], off offset:2048
	;; [unrolled: 1-line block ×3, first 2 shown]
	v_add_co_u32 v3, vcc_lo, 0x3000, v1
	v_add_co_ci_u32_e32 v4, vcc_lo, 0, v2, vcc_lo
	v_add_co_u32 v5, vcc_lo, v1, 0x4000
	v_add_co_ci_u32_e32 v6, vcc_lo, 0, v2, vcc_lo
	;; [unrolled: 2-line block ×7, first 2 shown]
	s_clause 0xa
	global_load_b64 v[23:24], v[5:6], off offset:-4096
	global_load_b64 v[15:16], v[5:6], off
	global_load_b64 v[11:12], v[7:8], off offset:-4096
	global_load_b64 v[7:8], v[7:8], off
	global_load_b64 v[21:22], v[3:4], off offset:2048
	global_load_b64 v[13:14], v[9:10], off offset:2048
	;; [unrolled: 1-line block ×4, first 2 shown]
	global_load_b64 v[3:4], v[1:2], off
	global_load_b64 v[33:34], v[33:34], off offset:-4096
	global_load_b64 v[1:2], v[1:2], off offset:2048
	v_cmpx_o_f64_e32 v[17:18], v[17:18]
	s_cbranch_execz .LBB32_73
; %bb.70:                               ;   in Loop: Header=BB32_69 Depth=1
	s_waitcnt vmcnt(14)
	v_dual_mov_b32 v36, v32 :: v_dual_mov_b32 v35, v31
	s_mov_b32 s11, exec_lo
	v_cmpx_o_f64_e32 v[31:32], v[31:32]
; %bb.71:                               ;   in Loop: Header=BB32_69 Depth=1
	v_cmp_lt_f64_e32 vcc_lo, v[31:32], v[17:18]
	v_dual_cndmask_b32 v36, v18, v32 :: v_dual_cndmask_b32 v35, v17, v31
; %bb.72:                               ;   in Loop: Header=BB32_69 Depth=1
	s_or_b32 exec_lo, exec_lo, s11
	s_delay_alu instid0(VALU_DEP_1)
	v_dual_mov_b32 v17, v35 :: v_dual_mov_b32 v18, v36
.LBB32_73:                              ;   in Loop: Header=BB32_69 Depth=1
	s_or_b32 exec_lo, exec_lo, s1
	s_delay_alu instid0(SALU_CYCLE_1) | instskip(NEXT) | instid1(VALU_DEP_1)
	s_mov_b32 s1, exec_lo
	v_cmpx_o_f64_e32 v[17:18], v[17:18]
	s_cbranch_execz .LBB32_77
; %bb.74:                               ;   in Loop: Header=BB32_69 Depth=1
	s_waitcnt vmcnt(13)
	v_dual_mov_b32 v36, v30 :: v_dual_mov_b32 v35, v29
	s_mov_b32 s11, exec_lo
	v_cmpx_o_f64_e32 v[29:30], v[29:30]
; %bb.75:                               ;   in Loop: Header=BB32_69 Depth=1
	v_cmp_lt_f64_e32 vcc_lo, v[29:30], v[17:18]
	v_dual_cndmask_b32 v36, v18, v30 :: v_dual_cndmask_b32 v35, v17, v29
; %bb.76:                               ;   in Loop: Header=BB32_69 Depth=1
	s_or_b32 exec_lo, exec_lo, s11
	s_delay_alu instid0(VALU_DEP_1)
	v_dual_mov_b32 v17, v35 :: v_dual_mov_b32 v18, v36
.LBB32_77:                              ;   in Loop: Header=BB32_69 Depth=1
	s_or_b32 exec_lo, exec_lo, s1
	s_delay_alu instid0(SALU_CYCLE_1) | instskip(NEXT) | instid1(VALU_DEP_1)
	s_mov_b32 s1, exec_lo
	;; [unrolled: 18-line block ×7, first 2 shown]
	v_cmpx_o_f64_e32 v[17:18], v[17:18]
	s_cbranch_execz .LBB32_101
; %bb.98:                               ;   in Loop: Header=BB32_69 Depth=1
	s_waitcnt vmcnt(6)
	v_dual_mov_b32 v36, v22 :: v_dual_mov_b32 v35, v21
	s_mov_b32 s11, exec_lo
	v_cmpx_o_f64_e32 v[21:22], v[21:22]
; %bb.99:                               ;   in Loop: Header=BB32_69 Depth=1
	v_cmp_lt_f64_e32 vcc_lo, v[21:22], v[17:18]
	v_dual_cndmask_b32 v36, v18, v22 :: v_dual_cndmask_b32 v35, v17, v21
; %bb.100:                              ;   in Loop: Header=BB32_69 Depth=1
	s_or_b32 exec_lo, exec_lo, s11
	s_delay_alu instid0(VALU_DEP_1)
	v_dual_mov_b32 v17, v35 :: v_dual_mov_b32 v18, v36
.LBB32_101:                             ;   in Loop: Header=BB32_69 Depth=1
	s_or_b32 exec_lo, exec_lo, s1
	s_delay_alu instid0(SALU_CYCLE_1) | instskip(NEXT) | instid1(VALU_DEP_1)
	s_mov_b32 s1, exec_lo
	v_cmpx_o_f64_e32 v[17:18], v[17:18]
	s_cbranch_execz .LBB32_105
; %bb.102:                              ;   in Loop: Header=BB32_69 Depth=1
	s_waitcnt vmcnt(9)
	v_dual_mov_b32 v36, v16 :: v_dual_mov_b32 v35, v15
	s_mov_b32 s11, exec_lo
	v_cmpx_o_f64_e32 v[15:16], v[15:16]
; %bb.103:                              ;   in Loop: Header=BB32_69 Depth=1
	v_cmp_lt_f64_e32 vcc_lo, v[15:16], v[17:18]
	v_dual_cndmask_b32 v36, v18, v16 :: v_dual_cndmask_b32 v35, v17, v15
; %bb.104:                              ;   in Loop: Header=BB32_69 Depth=1
	s_or_b32 exec_lo, exec_lo, s11
	s_delay_alu instid0(VALU_DEP_1)
	v_dual_mov_b32 v17, v35 :: v_dual_mov_b32 v18, v36
.LBB32_105:                             ;   in Loop: Header=BB32_69 Depth=1
	s_or_b32 exec_lo, exec_lo, s1
	s_delay_alu instid0(SALU_CYCLE_1) | instskip(NEXT) | instid1(VALU_DEP_1)
	s_mov_b32 s1, exec_lo
	v_cmpx_o_f64_e32 v[17:18], v[17:18]
	s_cbranch_execz .LBB32_109
; %bb.106:                              ;   in Loop: Header=BB32_69 Depth=1
	s_waitcnt vmcnt(5)
	v_dual_mov_b32 v36, v14 :: v_dual_mov_b32 v35, v13
	s_mov_b32 s11, exec_lo
	v_cmpx_o_f64_e32 v[13:14], v[13:14]
; %bb.107:                              ;   in Loop: Header=BB32_69 Depth=1
	v_cmp_lt_f64_e32 vcc_lo, v[13:14], v[17:18]
	v_dual_cndmask_b32 v36, v18, v14 :: v_dual_cndmask_b32 v35, v17, v13
; %bb.108:                              ;   in Loop: Header=BB32_69 Depth=1
	s_or_b32 exec_lo, exec_lo, s11
	s_delay_alu instid0(VALU_DEP_1)
	v_dual_mov_b32 v17, v35 :: v_dual_mov_b32 v18, v36
.LBB32_109:                             ;   in Loop: Header=BB32_69 Depth=1
	;; [unrolled: 18-line block ×7, first 2 shown]
	s_or_b32 exec_lo, exec_lo, s1
	s_delay_alu instid0(SALU_CYCLE_1) | instskip(NEXT) | instid1(VALU_DEP_1)
	s_mov_b32 s1, exec_lo
	v_cmpx_o_f64_e32 v[17:18], v[17:18]
	s_cbranch_execz .LBB32_68
; %bb.130:                              ;   in Loop: Header=BB32_69 Depth=1
	s_waitcnt vmcnt(0)
	v_dual_mov_b32 v36, v2 :: v_dual_mov_b32 v35, v1
	s_mov_b32 s11, exec_lo
	v_cmpx_o_f64_e32 v[1:2], v[1:2]
	s_cbranch_execz .LBB32_67
; %bb.131:                              ;   in Loop: Header=BB32_69 Depth=1
	v_cmp_lt_f64_e32 vcc_lo, v[1:2], v[17:18]
	v_dual_cndmask_b32 v36, v18, v2 :: v_dual_cndmask_b32 v35, v17, v1
	s_branch .LBB32_67
.LBB32_132:
                                        ; implicit-def: $vgpr1_vgpr2
	s_cbranch_execnz .LBB32_266
	s_branch .LBB32_364
.LBB32_133:
	s_ashr_i32 s1, s0, 31
	s_sub_i32 s11, s15, s0
	s_lshl_b64 s[0:1], s[0:1], 3
	s_mov_b32 s16, exec_lo
	s_add_u32 s0, s4, s0
	s_addc_u32 s1, s5, s1
	v_cmpx_gt_u32_e64 s11, v0
	s_cbranch_execz .LBB32_135
; %bb.134:
	global_load_b64 v[31:32], v37, s[0:1]
.LBB32_135:
	s_or_b32 exec_lo, exec_lo, s16
	v_or_b32_e32 v49, 0x100, v0
	s_mov_b32 s16, exec_lo
	s_delay_alu instid0(VALU_DEP_1)
	v_cmpx_gt_u32_e64 s11, v49
	s_cbranch_execz .LBB32_137
; %bb.136:
	global_load_b64 v[29:30], v37, s[0:1] offset:2048
.LBB32_137:
	s_or_b32 exec_lo, exec_lo, s16
	v_or_b32_e32 v48, 0x200, v0
	s_mov_b32 s16, exec_lo
	s_delay_alu instid0(VALU_DEP_1)
	v_cmpx_gt_u32_e64 s11, v48
	s_cbranch_execz .LBB32_139
; %bb.138:
	s_waitcnt vmcnt(1)
	v_lshlrev_b32_e32 v33, 3, v48
	global_load_b64 v[33:34], v33, s[0:1]
.LBB32_139:
	s_or_b32 exec_lo, exec_lo, s16
	v_or_b32_e32 v47, 0x300, v0
	s_mov_b32 s16, exec_lo
	s_delay_alu instid0(VALU_DEP_1)
	v_cmpx_gt_u32_e64 s11, v47
	s_cbranch_execz .LBB32_141
; %bb.140:
	s_waitcnt vmcnt(12)
	v_lshlrev_b32_e32 v27, 3, v47
	global_load_b64 v[27:28], v27, s[0:1]
.LBB32_141:
	;; [unrolled: 11-line block ×14, first 2 shown]
	s_or_b32 exec_lo, exec_lo, s16
	v_cmp_o_f64_e32 vcc_lo, v[17:18], v[17:18]
	v_cmp_gt_u32_e64 s0, s11, v0
	s_delay_alu instid0(VALU_DEP_1) | instskip(NEXT) | instid1(SALU_CYCLE_1)
	s_and_b32 s1, s0, vcc_lo
	s_and_saveexec_b32 s0, s1
	s_cbranch_execz .LBB32_169
; %bb.166:
	s_mov_b32 s1, exec_lo
	s_waitcnt vmcnt(0)
	v_cmpx_o_f64_e32 v[31:32], v[31:32]
; %bb.167:
	v_cmp_lt_f64_e32 vcc_lo, v[31:32], v[17:18]
	v_dual_cndmask_b32 v32, v18, v32 :: v_dual_cndmask_b32 v31, v17, v31
; %bb.168:
	s_or_b32 exec_lo, exec_lo, s1
	s_delay_alu instid0(VALU_DEP_1)
	v_dual_mov_b32 v17, v31 :: v_dual_mov_b32 v18, v32
.LBB32_169:
	s_or_b32 exec_lo, exec_lo, s0
	s_delay_alu instid0(VALU_DEP_1) | instskip(SKIP_1) | instid1(VALU_DEP_1)
	v_cmp_o_f64_e32 vcc_lo, v[17:18], v[17:18]
	v_cmp_gt_u32_e64 s0, s11, v49
	s_and_b32 s1, s0, vcc_lo
	s_delay_alu instid0(SALU_CYCLE_1)
	s_and_saveexec_b32 s0, s1
	s_cbranch_execz .LBB32_173
; %bb.170:
	s_mov_b32 s1, exec_lo
	s_waitcnt vmcnt(0)
	v_cmpx_o_f64_e32 v[29:30], v[29:30]
; %bb.171:
	v_cmp_lt_f64_e32 vcc_lo, v[29:30], v[17:18]
	v_dual_cndmask_b32 v30, v18, v30 :: v_dual_cndmask_b32 v29, v17, v29
; %bb.172:
	s_or_b32 exec_lo, exec_lo, s1
	s_delay_alu instid0(VALU_DEP_1)
	v_dual_mov_b32 v17, v29 :: v_dual_mov_b32 v18, v30
.LBB32_173:
	s_or_b32 exec_lo, exec_lo, s0
	s_delay_alu instid0(VALU_DEP_1) | instskip(SKIP_1) | instid1(VALU_DEP_1)
	v_cmp_o_f64_e32 vcc_lo, v[17:18], v[17:18]
	v_cmp_gt_u32_e64 s0, s11, v48
	s_and_b32 s1, s0, vcc_lo
	s_delay_alu instid0(SALU_CYCLE_1)
	;; [unrolled: 20-line block ×15, first 2 shown]
	s_and_saveexec_b32 s0, s1
	s_cbranch_execz .LBB32_229
; %bb.226:
	s_mov_b32 s1, exec_lo
	s_waitcnt vmcnt(0)
	v_cmpx_o_f64_e32 v[1:2], v[1:2]
; %bb.227:
	v_cmp_lt_f64_e32 vcc_lo, v[1:2], v[17:18]
	v_dual_cndmask_b32 v2, v18, v2 :: v_dual_cndmask_b32 v1, v17, v1
; %bb.228:
	s_or_b32 exec_lo, exec_lo, s1
	s_delay_alu instid0(VALU_DEP_1)
	v_dual_mov_b32 v18, v2 :: v_dual_mov_b32 v17, v1
.LBB32_229:
	s_or_b32 exec_lo, exec_lo, s0
	s_waitcnt vmcnt(0)
	s_delay_alu instid0(VALU_DEP_1) | instskip(NEXT) | instid1(VALU_DEP_2)
	v_mov_b32_dpp v1, v17 quad_perm:[1,0,3,2] row_mask:0xf bank_mask:0xf
	v_mov_b32_dpp v2, v18 quad_perm:[1,0,3,2] row_mask:0xf bank_mask:0xf
	s_mov_b32 s0, exec_lo
	s_delay_alu instid0(VALU_DEP_1)
	v_cmpx_o_f64_e32 v[1:2], v[1:2]
	s_xor_b32 s0, exec_lo, s0
	s_cbranch_execz .LBB32_233
; %bb.230:
	s_mov_b32 s1, exec_lo
	v_cmpx_o_f64_e32 v[17:18], v[17:18]
; %bb.231:
	v_cmp_lt_f64_e32 vcc_lo, v[17:18], v[1:2]
	v_dual_cndmask_b32 v18, v2, v18 :: v_dual_cndmask_b32 v17, v1, v17
; %bb.232:
	s_or_b32 exec_lo, exec_lo, s1
	s_delay_alu instid0(VALU_DEP_1)
	v_dual_mov_b32 v1, v17 :: v_dual_mov_b32 v2, v18
.LBB32_233:
	s_or_b32 exec_lo, exec_lo, s0
	s_delay_alu instid0(VALU_DEP_1) | instskip(NEXT) | instid1(VALU_DEP_2)
	v_mov_b32_dpp v3, v1 quad_perm:[2,3,0,1] row_mask:0xf bank_mask:0xf
	v_mov_b32_dpp v4, v2 quad_perm:[2,3,0,1] row_mask:0xf bank_mask:0xf
	s_mov_b32 s0, exec_lo
	s_delay_alu instid0(VALU_DEP_1)
	v_cmpx_o_f64_e32 v[3:4], v[3:4]
	s_cbranch_execz .LBB32_237
; %bb.234:
	s_mov_b32 s1, exec_lo
	v_cmpx_o_f64_e32 v[1:2], v[1:2]
; %bb.235:
	v_cmp_lt_f64_e32 vcc_lo, v[1:2], v[3:4]
	v_dual_cndmask_b32 v2, v4, v2 :: v_dual_cndmask_b32 v1, v3, v1
; %bb.236:
	s_or_b32 exec_lo, exec_lo, s1
	s_delay_alu instid0(VALU_DEP_1)
	v_dual_mov_b32 v4, v2 :: v_dual_mov_b32 v3, v1
.LBB32_237:
	s_or_b32 exec_lo, exec_lo, s0
	s_delay_alu instid0(VALU_DEP_1) | instskip(NEXT) | instid1(VALU_DEP_2)
	v_mov_b32_dpp v1, v3 row_ror:4 row_mask:0xf bank_mask:0xf
	v_mov_b32_dpp v2, v4 row_ror:4 row_mask:0xf bank_mask:0xf
	s_mov_b32 s0, exec_lo
	s_delay_alu instid0(VALU_DEP_1)
	v_cmpx_o_f64_e32 v[1:2], v[1:2]
	s_cbranch_execz .LBB32_241
; %bb.238:
	s_mov_b32 s1, exec_lo
	v_cmpx_o_f64_e32 v[3:4], v[3:4]
; %bb.239:
	v_cmp_lt_f64_e32 vcc_lo, v[3:4], v[1:2]
	v_dual_cndmask_b32 v4, v2, v4 :: v_dual_cndmask_b32 v3, v1, v3
; %bb.240:
	s_or_b32 exec_lo, exec_lo, s1
	s_delay_alu instid0(VALU_DEP_1)
	v_dual_mov_b32 v1, v3 :: v_dual_mov_b32 v2, v4
.LBB32_241:
	s_or_b32 exec_lo, exec_lo, s0
	s_delay_alu instid0(VALU_DEP_1) | instskip(NEXT) | instid1(VALU_DEP_2)
	v_mov_b32_dpp v3, v1 row_ror:8 row_mask:0xf bank_mask:0xf
	v_mov_b32_dpp v4, v2 row_ror:8 row_mask:0xf bank_mask:0xf
	s_mov_b32 s0, exec_lo
	s_delay_alu instid0(VALU_DEP_1)
	v_cmpx_o_f64_e32 v[3:4], v[3:4]
	s_cbranch_execz .LBB32_245
; %bb.242:
	s_mov_b32 s1, exec_lo
	v_cmpx_o_f64_e32 v[1:2], v[1:2]
; %bb.243:
	v_cmp_lt_f64_e32 vcc_lo, v[1:2], v[3:4]
	v_dual_cndmask_b32 v2, v4, v2 :: v_dual_cndmask_b32 v1, v3, v1
; %bb.244:
	s_or_b32 exec_lo, exec_lo, s1
	s_delay_alu instid0(VALU_DEP_1)
	v_dual_mov_b32 v4, v2 :: v_dual_mov_b32 v3, v1
.LBB32_245:
	s_or_b32 exec_lo, exec_lo, s0
	ds_swizzle_b32 v1, v3 offset:swizzle(BROADCAST,32,15)
	ds_swizzle_b32 v2, v4 offset:swizzle(BROADCAST,32,15)
	s_mov_b32 s0, exec_lo
	s_waitcnt lgkmcnt(0)
	v_cmpx_o_f64_e32 v[1:2], v[1:2]
	s_cbranch_execz .LBB32_249
; %bb.246:
	s_mov_b32 s1, exec_lo
	v_cmpx_o_f64_e32 v[3:4], v[3:4]
; %bb.247:
	v_cmp_lt_f64_e32 vcc_lo, v[3:4], v[1:2]
	v_dual_cndmask_b32 v4, v2, v4 :: v_dual_cndmask_b32 v3, v1, v3
; %bb.248:
	s_or_b32 exec_lo, exec_lo, s1
	s_delay_alu instid0(VALU_DEP_1)
	v_dual_mov_b32 v1, v3 :: v_dual_mov_b32 v2, v4
.LBB32_249:
	s_or_b32 exec_lo, exec_lo, s0
	v_mov_b32_e32 v3, 0
	v_mbcnt_lo_u32_b32 v5, -1, 0
	s_mov_b32 s0, exec_lo
	ds_bpermute_b32 v1, v3, v1 offset:124
	ds_bpermute_b32 v2, v3, v2 offset:124
	v_cmpx_eq_u32_e32 0, v5
	s_cbranch_execz .LBB32_251
; %bb.250:
	v_lshrrev_b32_e32 v3, 2, v0
	s_delay_alu instid0(VALU_DEP_1)
	v_and_b32_e32 v3, 56, v3
	s_waitcnt lgkmcnt(0)
	ds_store_b64 v3, v[1:2]
.LBB32_251:
	s_or_b32 exec_lo, exec_lo, s0
	s_delay_alu instid0(SALU_CYCLE_1)
	s_mov_b32 s1, exec_lo
	s_waitcnt lgkmcnt(0)
	s_barrier
	buffer_gl0_inv
	v_cmpx_gt_u32_e32 32, v0
	s_cbranch_execz .LBB32_265
; %bb.252:
	v_and_b32_e32 v6, 7, v5
	s_delay_alu instid0(VALU_DEP_1) | instskip(SKIP_4) | instid1(VALU_DEP_1)
	v_lshlrev_b32_e32 v1, 3, v6
	v_cmp_ne_u32_e64 s0, 7, v6
	ds_load_b64 v[1:2], v1
	v_add_co_ci_u32_e64 v3, s0, 0, v5, s0
	s_mov_b32 s0, exec_lo
	v_lshlrev_b32_e32 v4, 2, v3
	s_waitcnt lgkmcnt(0)
	ds_bpermute_b32 v3, v4, v1
	ds_bpermute_b32 v4, v4, v2
	v_cmpx_o_f64_e32 v[1:2], v[1:2]
	s_cbranch_execz .LBB32_256
; %bb.253:
	s_mov_b32 s11, exec_lo
	s_waitcnt lgkmcnt(0)
	v_cmpx_o_f64_e32 v[3:4], v[3:4]
; %bb.254:
	v_cmp_gt_f64_e32 vcc_lo, v[1:2], v[3:4]
	v_dual_cndmask_b32 v4, v2, v4 :: v_dual_cndmask_b32 v3, v1, v3
; %bb.255:
	s_or_b32 exec_lo, exec_lo, s11
	s_delay_alu instid0(VALU_DEP_1)
	v_dual_mov_b32 v1, v3 :: v_dual_mov_b32 v2, v4
.LBB32_256:
	s_or_b32 exec_lo, exec_lo, s0
	v_cmp_gt_u32_e64 s0, 6, v6
	s_waitcnt lgkmcnt(1)
	s_delay_alu instid0(VALU_DEP_1) | instskip(SKIP_1) | instid1(VALU_DEP_1)
	v_cndmask_b32_e64 v3, 0, 1, s0
	s_mov_b32 s0, exec_lo
	v_lshlrev_b32_e32 v3, 1, v3
	s_waitcnt lgkmcnt(0)
	s_delay_alu instid0(VALU_DEP_1)
	v_add_lshl_u32 v4, v3, v5, 2
	ds_bpermute_b32 v3, v4, v1
	ds_bpermute_b32 v4, v4, v2
	v_cmpx_o_f64_e32 v[1:2], v[1:2]
	s_cbranch_execz .LBB32_260
; %bb.257:
	s_mov_b32 s11, exec_lo
	s_waitcnt lgkmcnt(0)
	v_cmpx_o_f64_e32 v[3:4], v[3:4]
; %bb.258:
	v_cmp_gt_f64_e32 vcc_lo, v[1:2], v[3:4]
	v_dual_cndmask_b32 v4, v2, v4 :: v_dual_cndmask_b32 v3, v1, v3
; %bb.259:
	s_or_b32 exec_lo, exec_lo, s11
	s_delay_alu instid0(VALU_DEP_1)
	v_dual_mov_b32 v1, v3 :: v_dual_mov_b32 v2, v4
.LBB32_260:
	s_or_b32 exec_lo, exec_lo, s0
	v_cmp_gt_u32_e64 s0, 4, v6
	s_waitcnt lgkmcnt(1)
	s_delay_alu instid0(VALU_DEP_1) | instskip(SKIP_1) | instid1(VALU_DEP_1)
	v_cndmask_b32_e64 v3, 0, 1, s0
	s_mov_b32 s0, exec_lo
	v_lshlrev_b32_e32 v3, 2, v3
	s_waitcnt lgkmcnt(0)
	s_delay_alu instid0(VALU_DEP_1)
	v_add_lshl_u32 v4, v3, v5, 2
	ds_bpermute_b32 v3, v4, v1
	ds_bpermute_b32 v4, v4, v2
	v_cmpx_o_f64_e32 v[1:2], v[1:2]
	s_cbranch_execz .LBB32_264
; %bb.261:
	s_mov_b32 s11, exec_lo
	s_waitcnt lgkmcnt(0)
	v_cmpx_o_f64_e32 v[3:4], v[3:4]
; %bb.262:
	v_cmp_gt_f64_e32 vcc_lo, v[1:2], v[3:4]
	v_dual_cndmask_b32 v4, v2, v4 :: v_dual_cndmask_b32 v3, v1, v3
; %bb.263:
	s_or_b32 exec_lo, exec_lo, s11
	s_delay_alu instid0(VALU_DEP_1)
	v_dual_mov_b32 v1, v3 :: v_dual_mov_b32 v2, v4
.LBB32_264:
	s_or_b32 exec_lo, exec_lo, s0
.LBB32_265:
	s_delay_alu instid0(SALU_CYCLE_1)
	s_or_b32 exec_lo, exec_lo, s1
	s_branch .LBB32_364
.LBB32_266:
	s_sub_i32 s1, s15, s10
	s_mov_b32 s0, exec_lo
                                        ; implicit-def: $vgpr3_vgpr4
	v_cmpx_gt_u32_e64 s1, v0
	s_cbranch_execz .LBB32_276
; %bb.267:
	v_add_nc_u32_e32 v1, s10, v0
	s_mov_b32 s10, exec_lo
	s_delay_alu instid0(VALU_DEP_1) | instskip(SKIP_1) | instid1(VALU_DEP_1)
	v_ashrrev_i32_e32 v2, 31, v1
	s_waitcnt lgkmcnt(1)
	v_lshlrev_b64 v[2:3], 3, v[1:2]
	v_add_nc_u32_e32 v1, 0x100, v1
	s_delay_alu instid0(VALU_DEP_2) | instskip(NEXT) | instid1(VALU_DEP_3)
	v_add_co_u32 v2, vcc_lo, s4, v2
	v_add_co_ci_u32_e32 v3, vcc_lo, s5, v3, vcc_lo
	s_waitcnt lgkmcnt(0)
	global_load_b64 v[3:4], v[2:3], off
	v_cmpx_gt_i32_e64 s15, v1
	s_cbranch_execz .LBB32_275
; %bb.268:
	s_mov_b32 s11, 0
	s_set_inst_prefetch_distance 0x1
	s_branch .LBB32_271
	.p2align	6
.LBB32_269:                             ;   in Loop: Header=BB32_271 Depth=1
	s_or_b32 exec_lo, exec_lo, s17
	s_delay_alu instid0(VALU_DEP_1)
	v_dual_mov_b32 v3, v5 :: v_dual_mov_b32 v4, v6
.LBB32_270:                             ;   in Loop: Header=BB32_271 Depth=1
	s_or_b32 exec_lo, exec_lo, s16
	v_add_nc_u32_e32 v1, 0x100, v1
	s_delay_alu instid0(VALU_DEP_1) | instskip(SKIP_1) | instid1(SALU_CYCLE_1)
	v_cmp_le_i32_e32 vcc_lo, s15, v1
	s_or_b32 s11, vcc_lo, s11
	s_and_not1_b32 exec_lo, exec_lo, s11
	s_cbranch_execz .LBB32_274
.LBB32_271:                             ; =>This Inner Loop Header: Depth=1
	s_mov_b32 s16, exec_lo
	s_waitcnt vmcnt(0)
	v_cmpx_o_f64_e32 v[3:4], v[3:4]
	s_cbranch_execz .LBB32_270
; %bb.272:                              ;   in Loop: Header=BB32_271 Depth=1
	v_ashrrev_i32_e32 v2, 31, v1
	s_mov_b32 s17, exec_lo
	s_delay_alu instid0(VALU_DEP_1) | instskip(NEXT) | instid1(VALU_DEP_1)
	v_lshlrev_b64 v[5:6], 3, v[1:2]
	v_add_co_u32 v5, vcc_lo, s4, v5
	s_delay_alu instid0(VALU_DEP_2)
	v_add_co_ci_u32_e32 v6, vcc_lo, s5, v6, vcc_lo
	global_load_b64 v[5:6], v[5:6], off
	s_waitcnt vmcnt(0)
	v_cmpx_o_f64_e32 v[5:6], v[5:6]
	s_cbranch_execz .LBB32_269
; %bb.273:                              ;   in Loop: Header=BB32_271 Depth=1
	v_cmp_lt_f64_e32 vcc_lo, v[5:6], v[3:4]
	v_dual_cndmask_b32 v6, v4, v6 :: v_dual_cndmask_b32 v5, v3, v5
	s_branch .LBB32_269
.LBB32_274:
	s_set_inst_prefetch_distance 0x2
	s_or_b32 exec_lo, exec_lo, s11
.LBB32_275:
	s_delay_alu instid0(SALU_CYCLE_1)
	s_or_b32 exec_lo, exec_lo, s10
.LBB32_276:
	s_delay_alu instid0(SALU_CYCLE_1)
	s_or_b32 exec_lo, exec_lo, s0
	v_lshrrev_b32_e32 v10, 5, v0
	v_mbcnt_lo_u32_b32 v9, -1, 0
	s_cmpk_lt_u32 s1, 0x100
	s_mov_b32 s0, -1
	s_cbranch_scc0 .LBB32_326
; %bb.277:
	s_delay_alu instid0(VALU_DEP_1) | instskip(SKIP_3) | instid1(VALU_DEP_1)
	v_cmp_ne_u32_e32 vcc_lo, 31, v9
	s_waitcnt vmcnt(0) lgkmcnt(0)
	v_dual_mov_b32 v5, v3 :: v_dual_mov_b32 v6, v4
	v_add_co_ci_u32_e32 v1, vcc_lo, 0, v9, vcc_lo
	v_lshlrev_b32_e32 v1, 2, v1
	ds_bpermute_b32 v7, v1, v3
	ds_bpermute_b32 v8, v1, v4
	v_and_b32_e32 v1, 0xe0, v0
	s_delay_alu instid0(VALU_DEP_1) | instskip(SKIP_1) | instid1(VALU_DEP_1)
	v_sub_nc_u32_e64 v11, s1, v1 clamp
	v_add_nc_u32_e32 v1, 1, v9
	v_cmp_lt_u32_e32 vcc_lo, v1, v11
	v_dual_mov_b32 v1, v3 :: v_dual_mov_b32 v2, v4
	s_and_saveexec_b32 s0, vcc_lo
	s_cbranch_execz .LBB32_283
; %bb.278:
	v_dual_mov_b32 v6, v4 :: v_dual_mov_b32 v5, v3
	s_mov_b32 s4, exec_lo
	v_cmpx_o_f64_e32 v[3:4], v[3:4]
	s_cbranch_execz .LBB32_282
; %bb.279:
	s_mov_b32 s5, exec_lo
	s_waitcnt lgkmcnt(0)
	v_cmpx_o_f64_e32 v[7:8], v[7:8]
; %bb.280:
	v_cmp_gt_f64_e32 vcc_lo, v[3:4], v[7:8]
	v_dual_cndmask_b32 v8, v4, v8 :: v_dual_cndmask_b32 v7, v3, v7
; %bb.281:
	s_or_b32 exec_lo, exec_lo, s5
	s_delay_alu instid0(VALU_DEP_1)
	v_dual_mov_b32 v5, v7 :: v_dual_mov_b32 v6, v8
.LBB32_282:
	s_or_b32 exec_lo, exec_lo, s4
	s_delay_alu instid0(VALU_DEP_1)
	v_dual_mov_b32 v1, v5 :: v_dual_mov_b32 v2, v6
.LBB32_283:
	s_or_b32 exec_lo, exec_lo, s0
	v_cmp_gt_u32_e32 vcc_lo, 30, v9
	v_add_nc_u32_e32 v12, 2, v9
	s_mov_b32 s0, exec_lo
	s_waitcnt lgkmcnt(1)
	v_cndmask_b32_e64 v7, 0, 1, vcc_lo
	s_delay_alu instid0(VALU_DEP_1) | instskip(SKIP_1) | instid1(VALU_DEP_1)
	v_lshlrev_b32_e32 v7, 1, v7
	s_waitcnt lgkmcnt(0)
	v_add_lshl_u32 v8, v7, v9, 2
	ds_bpermute_b32 v7, v8, v5
	ds_bpermute_b32 v8, v8, v6
	v_cmpx_lt_u32_e64 v12, v11
	s_cbranch_execz .LBB32_289
; %bb.284:
	s_mov_b32 s4, exec_lo
	v_cmpx_o_f64_e32 v[1:2], v[1:2]
	s_cbranch_execz .LBB32_288
; %bb.285:
	s_mov_b32 s5, exec_lo
	s_waitcnt lgkmcnt(0)
	v_cmpx_o_f64_e32 v[7:8], v[7:8]
; %bb.286:
	v_cmp_gt_f64_e32 vcc_lo, v[1:2], v[7:8]
	v_dual_cndmask_b32 v8, v2, v8 :: v_dual_cndmask_b32 v7, v1, v7
; %bb.287:
	s_or_b32 exec_lo, exec_lo, s5
	s_delay_alu instid0(VALU_DEP_1)
	v_dual_mov_b32 v1, v7 :: v_dual_mov_b32 v2, v8
.LBB32_288:
	s_or_b32 exec_lo, exec_lo, s4
	s_delay_alu instid0(VALU_DEP_1)
	v_dual_mov_b32 v5, v1 :: v_dual_mov_b32 v6, v2
.LBB32_289:
	s_or_b32 exec_lo, exec_lo, s0
	v_cmp_gt_u32_e32 vcc_lo, 28, v9
	v_add_nc_u32_e32 v12, 4, v9
	s_mov_b32 s0, exec_lo
	s_waitcnt lgkmcnt(1)
	v_cndmask_b32_e64 v7, 0, 1, vcc_lo
	s_delay_alu instid0(VALU_DEP_1) | instskip(SKIP_1) | instid1(VALU_DEP_1)
	v_lshlrev_b32_e32 v7, 2, v7
	s_waitcnt lgkmcnt(0)
	v_add_lshl_u32 v8, v7, v9, 2
	ds_bpermute_b32 v7, v8, v5
	ds_bpermute_b32 v8, v8, v6
	v_cmpx_lt_u32_e64 v12, v11
	s_cbranch_execz .LBB32_295
; %bb.290:
	s_mov_b32 s4, exec_lo
	v_cmpx_o_f64_e32 v[1:2], v[1:2]
	s_cbranch_execz .LBB32_294
; %bb.291:
	s_mov_b32 s5, exec_lo
	s_waitcnt lgkmcnt(0)
	v_cmpx_o_f64_e32 v[7:8], v[7:8]
; %bb.292:
	v_cmp_gt_f64_e32 vcc_lo, v[1:2], v[7:8]
	v_dual_cndmask_b32 v8, v2, v8 :: v_dual_cndmask_b32 v7, v1, v7
; %bb.293:
	s_or_b32 exec_lo, exec_lo, s5
	s_delay_alu instid0(VALU_DEP_1)
	v_dual_mov_b32 v1, v7 :: v_dual_mov_b32 v2, v8
.LBB32_294:
	s_or_b32 exec_lo, exec_lo, s4
	s_delay_alu instid0(VALU_DEP_1)
	v_dual_mov_b32 v5, v1 :: v_dual_mov_b32 v6, v2
.LBB32_295:
	;; [unrolled: 34-line block ×3, first 2 shown]
	s_or_b32 exec_lo, exec_lo, s0
	v_cmp_o_f64_e32 vcc_lo, v[1:2], v[1:2]
	v_cmp_gt_u32_e64 s0, 16, v9
	s_waitcnt lgkmcnt(1)
	s_delay_alu instid0(VALU_DEP_1) | instskip(NEXT) | instid1(VALU_DEP_1)
	v_cndmask_b32_e64 v7, 0, 1, s0
	v_lshlrev_b32_e32 v7, 4, v7
	s_delay_alu instid0(VALU_DEP_1) | instskip(SKIP_3) | instid1(VALU_DEP_1)
	v_add_lshl_u32 v7, v7, v9, 2
	ds_bpermute_b32 v5, v7, v5
	ds_bpermute_b32 v6, v7, v6
	v_add_nc_u32_e32 v7, 16, v9
	v_cmp_lt_u32_e64 s0, v7, v11
	s_delay_alu instid0(VALU_DEP_1) | instskip(NEXT) | instid1(SALU_CYCLE_1)
	s_and_b32 s4, s0, vcc_lo
	s_and_saveexec_b32 s0, s4
	s_cbranch_execz .LBB32_305
; %bb.302:
	s_mov_b32 s4, exec_lo
	s_waitcnt lgkmcnt(0)
	v_cmpx_o_f64_e32 v[5:6], v[5:6]
; %bb.303:
	v_cmp_gt_f64_e32 vcc_lo, v[1:2], v[5:6]
	v_dual_cndmask_b32 v6, v2, v6 :: v_dual_cndmask_b32 v5, v1, v5
; %bb.304:
	s_or_b32 exec_lo, exec_lo, s4
	s_delay_alu instid0(VALU_DEP_1)
	v_dual_mov_b32 v1, v5 :: v_dual_mov_b32 v2, v6
.LBB32_305:
	s_or_b32 exec_lo, exec_lo, s0
	s_delay_alu instid0(SALU_CYCLE_1)
	s_mov_b32 s0, exec_lo
	v_cmpx_eq_u32_e32 0, v9
	s_cbranch_execz .LBB32_307
; %bb.306:
	s_waitcnt lgkmcnt(1)
	v_lshlrev_b32_e32 v5, 3, v10
	ds_store_b64 v5, v[1:2]
.LBB32_307:
	s_or_b32 exec_lo, exec_lo, s0
	s_delay_alu instid0(SALU_CYCLE_1)
	s_mov_b32 s4, exec_lo
	s_waitcnt lgkmcnt(0)
	s_barrier
	buffer_gl0_inv
	v_cmpx_gt_u32_e32 8, v0
	s_cbranch_execz .LBB32_325
; %bb.308:
	v_lshlrev_b32_e32 v1, 3, v9
	v_and_b32_e32 v7, 7, v9
	s_add_i32 s1, s1, 31
	s_mov_b32 s0, exec_lo
	s_lshr_b32 s1, s1, 5
	ds_load_b64 v[1:2], v1
	v_cmp_ne_u32_e32 vcc_lo, 7, v7
	v_add_nc_u32_e32 v8, 1, v7
	v_add_co_ci_u32_e32 v5, vcc_lo, 0, v9, vcc_lo
	s_delay_alu instid0(VALU_DEP_1)
	v_lshlrev_b32_e32 v6, 2, v5
	s_waitcnt lgkmcnt(0)
	ds_bpermute_b32 v5, v6, v1
	ds_bpermute_b32 v6, v6, v2
	v_cmpx_gt_u32_e64 s1, v8
	s_cbranch_execz .LBB32_314
; %bb.309:
	s_mov_b32 s5, exec_lo
	v_cmpx_o_f64_e32 v[1:2], v[1:2]
	s_cbranch_execz .LBB32_313
; %bb.310:
	s_mov_b32 s10, exec_lo
	s_waitcnt lgkmcnt(0)
	v_cmpx_o_f64_e32 v[5:6], v[5:6]
; %bb.311:
	v_cmp_gt_f64_e32 vcc_lo, v[1:2], v[5:6]
	v_dual_cndmask_b32 v6, v2, v6 :: v_dual_cndmask_b32 v5, v1, v5
; %bb.312:
	s_or_b32 exec_lo, exec_lo, s10
	s_delay_alu instid0(VALU_DEP_1)
	v_dual_mov_b32 v1, v5 :: v_dual_mov_b32 v2, v6
.LBB32_313:
	s_or_b32 exec_lo, exec_lo, s5
.LBB32_314:
	s_delay_alu instid0(SALU_CYCLE_1)
	s_or_b32 exec_lo, exec_lo, s0
	v_cmp_gt_u32_e32 vcc_lo, 6, v7
	v_add_nc_u32_e32 v8, 2, v7
	s_mov_b32 s0, exec_lo
	s_waitcnt lgkmcnt(1)
	v_cndmask_b32_e64 v5, 0, 1, vcc_lo
	s_delay_alu instid0(VALU_DEP_1) | instskip(SKIP_1) | instid1(VALU_DEP_1)
	v_lshlrev_b32_e32 v5, 1, v5
	s_waitcnt lgkmcnt(0)
	v_add_lshl_u32 v6, v5, v9, 2
	ds_bpermute_b32 v5, v6, v1
	ds_bpermute_b32 v6, v6, v2
	v_cmpx_gt_u32_e64 s1, v8
	s_cbranch_execz .LBB32_320
; %bb.315:
	s_mov_b32 s5, exec_lo
	v_cmpx_o_f64_e32 v[1:2], v[1:2]
	s_cbranch_execz .LBB32_319
; %bb.316:
	s_mov_b32 s10, exec_lo
	s_waitcnt lgkmcnt(0)
	v_cmpx_o_f64_e32 v[5:6], v[5:6]
; %bb.317:
	v_cmp_gt_f64_e32 vcc_lo, v[1:2], v[5:6]
	v_dual_cndmask_b32 v6, v2, v6 :: v_dual_cndmask_b32 v5, v1, v5
; %bb.318:
	s_or_b32 exec_lo, exec_lo, s10
	s_delay_alu instid0(VALU_DEP_1)
	v_dual_mov_b32 v1, v5 :: v_dual_mov_b32 v2, v6
.LBB32_319:
	s_or_b32 exec_lo, exec_lo, s5
.LBB32_320:
	s_delay_alu instid0(SALU_CYCLE_1) | instskip(NEXT) | instid1(VALU_DEP_1)
	s_or_b32 exec_lo, exec_lo, s0
	v_cmp_o_f64_e32 vcc_lo, v[1:2], v[1:2]
	v_cmp_gt_u32_e64 s0, 4, v7
	v_add_nc_u32_e32 v7, 4, v7
	s_waitcnt lgkmcnt(1)
	s_delay_alu instid0(VALU_DEP_2) | instskip(NEXT) | instid1(VALU_DEP_2)
	v_cndmask_b32_e64 v5, 0, 1, s0
	v_cmp_gt_u32_e64 s0, s1, v7
	s_delay_alu instid0(VALU_DEP_2) | instskip(SKIP_1) | instid1(VALU_DEP_1)
	v_lshlrev_b32_e32 v5, 2, v5
	s_waitcnt lgkmcnt(0)
	v_add_lshl_u32 v6, v5, v9, 2
	ds_bpermute_b32 v5, v6, v1
	ds_bpermute_b32 v6, v6, v2
	s_and_b32 s1, s0, vcc_lo
	s_delay_alu instid0(SALU_CYCLE_1)
	s_and_saveexec_b32 s0, s1
	s_cbranch_execz .LBB32_324
; %bb.321:
	s_mov_b32 s1, exec_lo
	s_waitcnt lgkmcnt(0)
	v_cmpx_o_f64_e32 v[5:6], v[5:6]
; %bb.322:
	v_cmp_gt_f64_e32 vcc_lo, v[1:2], v[5:6]
	v_dual_cndmask_b32 v6, v2, v6 :: v_dual_cndmask_b32 v5, v1, v5
; %bb.323:
	s_or_b32 exec_lo, exec_lo, s1
	s_delay_alu instid0(VALU_DEP_1)
	v_dual_mov_b32 v1, v5 :: v_dual_mov_b32 v2, v6
.LBB32_324:
	s_or_b32 exec_lo, exec_lo, s0
.LBB32_325:
	s_delay_alu instid0(SALU_CYCLE_1)
	s_or_b32 exec_lo, exec_lo, s4
	s_branch .LBB32_364
.LBB32_326:
                                        ; implicit-def: $vgpr1_vgpr2
	s_and_b32 vcc_lo, exec_lo, s0
	s_cbranch_vccz .LBB32_364
; %bb.327:
	s_waitcnt vmcnt(0) lgkmcnt(1)
	v_mov_b32_dpp v1, v3 quad_perm:[1,0,3,2] row_mask:0xf bank_mask:0xf
	s_waitcnt lgkmcnt(0)
	v_mov_b32_dpp v2, v4 quad_perm:[1,0,3,2] row_mask:0xf bank_mask:0xf
	s_mov_b32 s0, exec_lo
	s_delay_alu instid0(VALU_DEP_1)
	v_cmpx_o_f64_e32 v[1:2], v[1:2]
	s_cbranch_execz .LBB32_331
; %bb.328:
	s_mov_b32 s1, exec_lo
	v_cmpx_o_f64_e32 v[3:4], v[3:4]
; %bb.329:
	v_cmp_lt_f64_e32 vcc_lo, v[3:4], v[1:2]
	v_dual_cndmask_b32 v4, v2, v4 :: v_dual_cndmask_b32 v3, v1, v3
; %bb.330:
	s_or_b32 exec_lo, exec_lo, s1
	s_delay_alu instid0(VALU_DEP_1)
	v_dual_mov_b32 v1, v3 :: v_dual_mov_b32 v2, v4
.LBB32_331:
	s_or_b32 exec_lo, exec_lo, s0
	s_delay_alu instid0(VALU_DEP_1) | instskip(NEXT) | instid1(VALU_DEP_2)
	v_mov_b32_dpp v3, v1 quad_perm:[2,3,0,1] row_mask:0xf bank_mask:0xf
	v_mov_b32_dpp v4, v2 quad_perm:[2,3,0,1] row_mask:0xf bank_mask:0xf
	s_mov_b32 s0, exec_lo
	s_delay_alu instid0(VALU_DEP_1)
	v_cmpx_o_f64_e32 v[3:4], v[3:4]
	s_cbranch_execz .LBB32_335
; %bb.332:
	s_mov_b32 s1, exec_lo
	v_cmpx_o_f64_e32 v[1:2], v[1:2]
; %bb.333:
	v_cmp_lt_f64_e32 vcc_lo, v[1:2], v[3:4]
	v_dual_cndmask_b32 v2, v4, v2 :: v_dual_cndmask_b32 v1, v3, v1
; %bb.334:
	s_or_b32 exec_lo, exec_lo, s1
	s_delay_alu instid0(VALU_DEP_1)
	v_dual_mov_b32 v4, v2 :: v_dual_mov_b32 v3, v1
.LBB32_335:
	s_or_b32 exec_lo, exec_lo, s0
	s_delay_alu instid0(VALU_DEP_1) | instskip(NEXT) | instid1(VALU_DEP_2)
	v_mov_b32_dpp v1, v3 row_ror:4 row_mask:0xf bank_mask:0xf
	v_mov_b32_dpp v2, v4 row_ror:4 row_mask:0xf bank_mask:0xf
	s_mov_b32 s0, exec_lo
	s_delay_alu instid0(VALU_DEP_1)
	v_cmpx_o_f64_e32 v[1:2], v[1:2]
	s_cbranch_execz .LBB32_339
; %bb.336:
	s_mov_b32 s1, exec_lo
	v_cmpx_o_f64_e32 v[3:4], v[3:4]
; %bb.337:
	v_cmp_lt_f64_e32 vcc_lo, v[3:4], v[1:2]
	v_dual_cndmask_b32 v4, v2, v4 :: v_dual_cndmask_b32 v3, v1, v3
; %bb.338:
	s_or_b32 exec_lo, exec_lo, s1
	s_delay_alu instid0(VALU_DEP_1)
	v_dual_mov_b32 v1, v3 :: v_dual_mov_b32 v2, v4
.LBB32_339:
	s_or_b32 exec_lo, exec_lo, s0
	s_delay_alu instid0(VALU_DEP_1) | instskip(NEXT) | instid1(VALU_DEP_2)
	v_mov_b32_dpp v3, v1 row_ror:8 row_mask:0xf bank_mask:0xf
	v_mov_b32_dpp v4, v2 row_ror:8 row_mask:0xf bank_mask:0xf
	s_mov_b32 s0, exec_lo
	s_delay_alu instid0(VALU_DEP_1)
	v_cmpx_o_f64_e32 v[3:4], v[3:4]
	s_cbranch_execz .LBB32_343
; %bb.340:
	s_mov_b32 s1, exec_lo
	v_cmpx_o_f64_e32 v[1:2], v[1:2]
; %bb.341:
	v_cmp_lt_f64_e32 vcc_lo, v[1:2], v[3:4]
	v_dual_cndmask_b32 v2, v4, v2 :: v_dual_cndmask_b32 v1, v3, v1
; %bb.342:
	s_or_b32 exec_lo, exec_lo, s1
	s_delay_alu instid0(VALU_DEP_1)
	v_dual_mov_b32 v4, v2 :: v_dual_mov_b32 v3, v1
.LBB32_343:
	s_or_b32 exec_lo, exec_lo, s0
	ds_swizzle_b32 v1, v3 offset:swizzle(BROADCAST,32,15)
	ds_swizzle_b32 v2, v4 offset:swizzle(BROADCAST,32,15)
	s_mov_b32 s0, exec_lo
	s_waitcnt lgkmcnt(0)
	v_cmpx_o_f64_e32 v[1:2], v[1:2]
	s_cbranch_execz .LBB32_347
; %bb.344:
	s_mov_b32 s1, exec_lo
	v_cmpx_o_f64_e32 v[3:4], v[3:4]
; %bb.345:
	v_cmp_lt_f64_e32 vcc_lo, v[3:4], v[1:2]
	v_dual_cndmask_b32 v4, v2, v4 :: v_dual_cndmask_b32 v3, v1, v3
; %bb.346:
	s_or_b32 exec_lo, exec_lo, s1
	s_delay_alu instid0(VALU_DEP_1)
	v_dual_mov_b32 v1, v3 :: v_dual_mov_b32 v2, v4
.LBB32_347:
	s_or_b32 exec_lo, exec_lo, s0
	v_mov_b32_e32 v3, 0
	s_mov_b32 s0, exec_lo
	ds_bpermute_b32 v1, v3, v1 offset:124
	ds_bpermute_b32 v2, v3, v2 offset:124
	v_cmpx_eq_u32_e32 0, v9
	s_cbranch_execz .LBB32_349
; %bb.348:
	v_lshlrev_b32_e32 v3, 3, v10
	s_waitcnt lgkmcnt(0)
	ds_store_b64 v3, v[1:2]
.LBB32_349:
	s_or_b32 exec_lo, exec_lo, s0
	s_delay_alu instid0(SALU_CYCLE_1)
	s_mov_b32 s1, exec_lo
	s_waitcnt lgkmcnt(0)
	s_barrier
	buffer_gl0_inv
	v_cmpx_gt_u32_e32 32, v0
	s_cbranch_execz .LBB32_363
; %bb.350:
	v_and_b32_e32 v5, 7, v9
	s_delay_alu instid0(VALU_DEP_1) | instskip(SKIP_4) | instid1(VALU_DEP_1)
	v_lshlrev_b32_e32 v1, 3, v5
	v_cmp_ne_u32_e64 s0, 7, v5
	ds_load_b64 v[1:2], v1
	v_add_co_ci_u32_e64 v3, s0, 0, v9, s0
	s_mov_b32 s0, exec_lo
	v_lshlrev_b32_e32 v4, 2, v3
	s_waitcnt lgkmcnt(0)
	ds_bpermute_b32 v3, v4, v1
	ds_bpermute_b32 v4, v4, v2
	v_cmpx_o_f64_e32 v[1:2], v[1:2]
	s_cbranch_execz .LBB32_354
; %bb.351:
	s_mov_b32 s4, exec_lo
	s_waitcnt lgkmcnt(0)
	v_cmpx_o_f64_e32 v[3:4], v[3:4]
; %bb.352:
	v_cmp_gt_f64_e32 vcc_lo, v[1:2], v[3:4]
	v_dual_cndmask_b32 v4, v2, v4 :: v_dual_cndmask_b32 v3, v1, v3
; %bb.353:
	s_or_b32 exec_lo, exec_lo, s4
	s_delay_alu instid0(VALU_DEP_1)
	v_dual_mov_b32 v1, v3 :: v_dual_mov_b32 v2, v4
.LBB32_354:
	s_or_b32 exec_lo, exec_lo, s0
	v_cmp_gt_u32_e64 s0, 6, v5
	s_waitcnt lgkmcnt(1)
	s_delay_alu instid0(VALU_DEP_1) | instskip(SKIP_1) | instid1(VALU_DEP_1)
	v_cndmask_b32_e64 v3, 0, 1, s0
	s_mov_b32 s0, exec_lo
	v_lshlrev_b32_e32 v3, 1, v3
	s_waitcnt lgkmcnt(0)
	s_delay_alu instid0(VALU_DEP_1)
	v_add_lshl_u32 v4, v3, v9, 2
	ds_bpermute_b32 v3, v4, v1
	ds_bpermute_b32 v4, v4, v2
	v_cmpx_o_f64_e32 v[1:2], v[1:2]
	s_cbranch_execz .LBB32_358
; %bb.355:
	s_mov_b32 s4, exec_lo
	s_waitcnt lgkmcnt(0)
	v_cmpx_o_f64_e32 v[3:4], v[3:4]
; %bb.356:
	v_cmp_gt_f64_e32 vcc_lo, v[1:2], v[3:4]
	v_dual_cndmask_b32 v4, v2, v4 :: v_dual_cndmask_b32 v3, v1, v3
; %bb.357:
	s_or_b32 exec_lo, exec_lo, s4
	s_delay_alu instid0(VALU_DEP_1)
	v_dual_mov_b32 v1, v3 :: v_dual_mov_b32 v2, v4
.LBB32_358:
	s_or_b32 exec_lo, exec_lo, s0
	v_cmp_gt_u32_e64 s0, 4, v5
	s_waitcnt lgkmcnt(1)
	s_delay_alu instid0(VALU_DEP_1) | instskip(SKIP_1) | instid1(VALU_DEP_1)
	v_cndmask_b32_e64 v3, 0, 1, s0
	s_mov_b32 s0, exec_lo
	v_lshlrev_b32_e32 v3, 2, v3
	s_waitcnt lgkmcnt(0)
	s_delay_alu instid0(VALU_DEP_1)
	v_add_lshl_u32 v4, v3, v9, 2
	ds_bpermute_b32 v3, v4, v1
	ds_bpermute_b32 v4, v4, v2
	v_cmpx_o_f64_e32 v[1:2], v[1:2]
	s_cbranch_execz .LBB32_362
; %bb.359:
	s_mov_b32 s4, exec_lo
	s_waitcnt lgkmcnt(0)
	v_cmpx_o_f64_e32 v[3:4], v[3:4]
; %bb.360:
	v_cmp_gt_f64_e32 vcc_lo, v[1:2], v[3:4]
	v_dual_cndmask_b32 v4, v2, v4 :: v_dual_cndmask_b32 v3, v1, v3
; %bb.361:
	s_or_b32 exec_lo, exec_lo, s4
	s_delay_alu instid0(VALU_DEP_1)
	v_dual_mov_b32 v1, v3 :: v_dual_mov_b32 v2, v4
.LBB32_362:
	s_or_b32 exec_lo, exec_lo, s0
.LBB32_363:
	s_delay_alu instid0(SALU_CYCLE_1)
	s_or_b32 exec_lo, exec_lo, s1
.LBB32_364:
	s_delay_alu instid0(SALU_CYCLE_1)
	s_mov_b32 s0, exec_lo
                                        ; implicit-def: $vgpr3_vgpr4
	v_cmpx_eq_u32_e32 0, v0
	s_cbranch_execz .LBB32_370
; %bb.365:
	v_cmp_u_f64_e64 s1, s[12:13], s[12:13]
	s_waitcnt vmcnt(0) lgkmcnt(0)
	v_dual_mov_b32 v3, s12 :: v_dual_mov_b32 v4, s13
	s_delay_alu instid0(VALU_DEP_2)
	s_and_b32 vcc_lo, exec_lo, s1
	s_cbranch_vccnz .LBB32_369
; %bb.366:
	s_mov_b32 s1, exec_lo
	v_cmpx_o_f64_e32 v[1:2], v[1:2]
; %bb.367:
	v_cmp_gt_f64_e32 vcc_lo, s[12:13], v[1:2]
	v_cndmask_b32_e32 v2, s13, v2, vcc_lo
	v_cndmask_b32_e32 v1, s12, v1, vcc_lo
; %bb.368:
	s_or_b32 exec_lo, exec_lo, s1
	s_delay_alu instid0(VALU_DEP_1)
	v_dual_mov_b32 v4, v2 :: v_dual_mov_b32 v3, v1
.LBB32_369:
	s_or_b32 s14, s14, exec_lo
.LBB32_370:
	s_or_b32 exec_lo, exec_lo, s0
	s_and_saveexec_b32 s0, s14
	s_cbranch_execz .LBB32_372
.LBB32_371:
	s_lshl_b64 s[0:1], s[8:9], 3
	v_mov_b32_e32 v0, 0
	s_add_u32 s4, s6, s0
	s_addc_u32 s5, s7, s1
	s_lshl_b64 s[0:1], s[2:3], 3
	s_delay_alu instid0(SALU_CYCLE_1)
	s_add_u32 s0, s4, s0
	s_addc_u32 s1, s5, s1
	s_waitcnt vmcnt(0) lgkmcnt(0)
	global_store_b64 v0, v[3:4], s[0:1]
.LBB32_372:
	s_nop 0
	s_sendmsg sendmsg(MSG_DEALLOC_VGPRS)
	s_endpgm
	.section	.rodata,"a",@progbits
	.p2align	6, 0x0
	.amdhsa_kernel _ZN7rocprim17ROCPRIM_400000_NS6detail17trampoline_kernelINS0_14default_configENS1_32segmented_reduce_config_selectorIdEEZNS1_21segmented_reduce_implIS3_PKdPdPKidN6hipcub16HIPCUB_304000_NS6detail27convert_result_type_wrapperIS8_S9_N2at6native12_GLOBAL__N_19CustomMinEEEEE10hipError_tPvRmT0_T1_jT2_SQ_T4_T3_P12ihipStream_tbEUlT_E_NS1_11comp_targetILNS1_3genE9ELNS1_11target_archE1100ELNS1_3gpuE3ELNS1_3repE0EEENS1_30default_config_static_selectorELNS0_4arch9wavefront6targetE0EEEvSP_
		.amdhsa_group_segment_fixed_size 64
		.amdhsa_private_segment_fixed_size 0
		.amdhsa_kernarg_size 56
		.amdhsa_user_sgpr_count 15
		.amdhsa_user_sgpr_dispatch_ptr 0
		.amdhsa_user_sgpr_queue_ptr 0
		.amdhsa_user_sgpr_kernarg_segment_ptr 1
		.amdhsa_user_sgpr_dispatch_id 0
		.amdhsa_user_sgpr_private_segment_size 0
		.amdhsa_wavefront_size32 1
		.amdhsa_uses_dynamic_stack 0
		.amdhsa_enable_private_segment 0
		.amdhsa_system_sgpr_workgroup_id_x 1
		.amdhsa_system_sgpr_workgroup_id_y 0
		.amdhsa_system_sgpr_workgroup_id_z 0
		.amdhsa_system_sgpr_workgroup_info 0
		.amdhsa_system_vgpr_workitem_id 0
		.amdhsa_next_free_vgpr 50
		.amdhsa_next_free_sgpr 18
		.amdhsa_reserve_vcc 1
		.amdhsa_float_round_mode_32 0
		.amdhsa_float_round_mode_16_64 0
		.amdhsa_float_denorm_mode_32 3
		.amdhsa_float_denorm_mode_16_64 3
		.amdhsa_dx10_clamp 1
		.amdhsa_ieee_mode 1
		.amdhsa_fp16_overflow 0
		.amdhsa_workgroup_processor_mode 1
		.amdhsa_memory_ordered 1
		.amdhsa_forward_progress 0
		.amdhsa_shared_vgpr_count 0
		.amdhsa_exception_fp_ieee_invalid_op 0
		.amdhsa_exception_fp_denorm_src 0
		.amdhsa_exception_fp_ieee_div_zero 0
		.amdhsa_exception_fp_ieee_overflow 0
		.amdhsa_exception_fp_ieee_underflow 0
		.amdhsa_exception_fp_ieee_inexact 0
		.amdhsa_exception_int_div_zero 0
	.end_amdhsa_kernel
	.section	.text._ZN7rocprim17ROCPRIM_400000_NS6detail17trampoline_kernelINS0_14default_configENS1_32segmented_reduce_config_selectorIdEEZNS1_21segmented_reduce_implIS3_PKdPdPKidN6hipcub16HIPCUB_304000_NS6detail27convert_result_type_wrapperIS8_S9_N2at6native12_GLOBAL__N_19CustomMinEEEEE10hipError_tPvRmT0_T1_jT2_SQ_T4_T3_P12ihipStream_tbEUlT_E_NS1_11comp_targetILNS1_3genE9ELNS1_11target_archE1100ELNS1_3gpuE3ELNS1_3repE0EEENS1_30default_config_static_selectorELNS0_4arch9wavefront6targetE0EEEvSP_,"axG",@progbits,_ZN7rocprim17ROCPRIM_400000_NS6detail17trampoline_kernelINS0_14default_configENS1_32segmented_reduce_config_selectorIdEEZNS1_21segmented_reduce_implIS3_PKdPdPKidN6hipcub16HIPCUB_304000_NS6detail27convert_result_type_wrapperIS8_S9_N2at6native12_GLOBAL__N_19CustomMinEEEEE10hipError_tPvRmT0_T1_jT2_SQ_T4_T3_P12ihipStream_tbEUlT_E_NS1_11comp_targetILNS1_3genE9ELNS1_11target_archE1100ELNS1_3gpuE3ELNS1_3repE0EEENS1_30default_config_static_selectorELNS0_4arch9wavefront6targetE0EEEvSP_,comdat
.Lfunc_end32:
	.size	_ZN7rocprim17ROCPRIM_400000_NS6detail17trampoline_kernelINS0_14default_configENS1_32segmented_reduce_config_selectorIdEEZNS1_21segmented_reduce_implIS3_PKdPdPKidN6hipcub16HIPCUB_304000_NS6detail27convert_result_type_wrapperIS8_S9_N2at6native12_GLOBAL__N_19CustomMinEEEEE10hipError_tPvRmT0_T1_jT2_SQ_T4_T3_P12ihipStream_tbEUlT_E_NS1_11comp_targetILNS1_3genE9ELNS1_11target_archE1100ELNS1_3gpuE3ELNS1_3repE0EEENS1_30default_config_static_selectorELNS0_4arch9wavefront6targetE0EEEvSP_, .Lfunc_end32-_ZN7rocprim17ROCPRIM_400000_NS6detail17trampoline_kernelINS0_14default_configENS1_32segmented_reduce_config_selectorIdEEZNS1_21segmented_reduce_implIS3_PKdPdPKidN6hipcub16HIPCUB_304000_NS6detail27convert_result_type_wrapperIS8_S9_N2at6native12_GLOBAL__N_19CustomMinEEEEE10hipError_tPvRmT0_T1_jT2_SQ_T4_T3_P12ihipStream_tbEUlT_E_NS1_11comp_targetILNS1_3genE9ELNS1_11target_archE1100ELNS1_3gpuE3ELNS1_3repE0EEENS1_30default_config_static_selectorELNS0_4arch9wavefront6targetE0EEEvSP_
                                        ; -- End function
	.section	.AMDGPU.csdata,"",@progbits
; Kernel info:
; codeLenInByte = 8340
; NumSgprs: 20
; NumVgprs: 50
; ScratchSize: 0
; MemoryBound: 1
; FloatMode: 240
; IeeeMode: 1
; LDSByteSize: 64 bytes/workgroup (compile time only)
; SGPRBlocks: 2
; VGPRBlocks: 6
; NumSGPRsForWavesPerEU: 20
; NumVGPRsForWavesPerEU: 50
; Occupancy: 16
; WaveLimiterHint : 1
; COMPUTE_PGM_RSRC2:SCRATCH_EN: 0
; COMPUTE_PGM_RSRC2:USER_SGPR: 15
; COMPUTE_PGM_RSRC2:TRAP_HANDLER: 0
; COMPUTE_PGM_RSRC2:TGID_X_EN: 1
; COMPUTE_PGM_RSRC2:TGID_Y_EN: 0
; COMPUTE_PGM_RSRC2:TGID_Z_EN: 0
; COMPUTE_PGM_RSRC2:TIDIG_COMP_CNT: 0
	.section	.text._ZN7rocprim17ROCPRIM_400000_NS6detail17trampoline_kernelINS0_14default_configENS1_32segmented_reduce_config_selectorIdEEZNS1_21segmented_reduce_implIS3_PKdPdPKidN6hipcub16HIPCUB_304000_NS6detail27convert_result_type_wrapperIS8_S9_N2at6native12_GLOBAL__N_19CustomMinEEEEE10hipError_tPvRmT0_T1_jT2_SQ_T4_T3_P12ihipStream_tbEUlT_E_NS1_11comp_targetILNS1_3genE8ELNS1_11target_archE1030ELNS1_3gpuE2ELNS1_3repE0EEENS1_30default_config_static_selectorELNS0_4arch9wavefront6targetE0EEEvSP_,"axG",@progbits,_ZN7rocprim17ROCPRIM_400000_NS6detail17trampoline_kernelINS0_14default_configENS1_32segmented_reduce_config_selectorIdEEZNS1_21segmented_reduce_implIS3_PKdPdPKidN6hipcub16HIPCUB_304000_NS6detail27convert_result_type_wrapperIS8_S9_N2at6native12_GLOBAL__N_19CustomMinEEEEE10hipError_tPvRmT0_T1_jT2_SQ_T4_T3_P12ihipStream_tbEUlT_E_NS1_11comp_targetILNS1_3genE8ELNS1_11target_archE1030ELNS1_3gpuE2ELNS1_3repE0EEENS1_30default_config_static_selectorELNS0_4arch9wavefront6targetE0EEEvSP_,comdat
	.globl	_ZN7rocprim17ROCPRIM_400000_NS6detail17trampoline_kernelINS0_14default_configENS1_32segmented_reduce_config_selectorIdEEZNS1_21segmented_reduce_implIS3_PKdPdPKidN6hipcub16HIPCUB_304000_NS6detail27convert_result_type_wrapperIS8_S9_N2at6native12_GLOBAL__N_19CustomMinEEEEE10hipError_tPvRmT0_T1_jT2_SQ_T4_T3_P12ihipStream_tbEUlT_E_NS1_11comp_targetILNS1_3genE8ELNS1_11target_archE1030ELNS1_3gpuE2ELNS1_3repE0EEENS1_30default_config_static_selectorELNS0_4arch9wavefront6targetE0EEEvSP_ ; -- Begin function _ZN7rocprim17ROCPRIM_400000_NS6detail17trampoline_kernelINS0_14default_configENS1_32segmented_reduce_config_selectorIdEEZNS1_21segmented_reduce_implIS3_PKdPdPKidN6hipcub16HIPCUB_304000_NS6detail27convert_result_type_wrapperIS8_S9_N2at6native12_GLOBAL__N_19CustomMinEEEEE10hipError_tPvRmT0_T1_jT2_SQ_T4_T3_P12ihipStream_tbEUlT_E_NS1_11comp_targetILNS1_3genE8ELNS1_11target_archE1030ELNS1_3gpuE2ELNS1_3repE0EEENS1_30default_config_static_selectorELNS0_4arch9wavefront6targetE0EEEvSP_
	.p2align	8
	.type	_ZN7rocprim17ROCPRIM_400000_NS6detail17trampoline_kernelINS0_14default_configENS1_32segmented_reduce_config_selectorIdEEZNS1_21segmented_reduce_implIS3_PKdPdPKidN6hipcub16HIPCUB_304000_NS6detail27convert_result_type_wrapperIS8_S9_N2at6native12_GLOBAL__N_19CustomMinEEEEE10hipError_tPvRmT0_T1_jT2_SQ_T4_T3_P12ihipStream_tbEUlT_E_NS1_11comp_targetILNS1_3genE8ELNS1_11target_archE1030ELNS1_3gpuE2ELNS1_3repE0EEENS1_30default_config_static_selectorELNS0_4arch9wavefront6targetE0EEEvSP_,@function
_ZN7rocprim17ROCPRIM_400000_NS6detail17trampoline_kernelINS0_14default_configENS1_32segmented_reduce_config_selectorIdEEZNS1_21segmented_reduce_implIS3_PKdPdPKidN6hipcub16HIPCUB_304000_NS6detail27convert_result_type_wrapperIS8_S9_N2at6native12_GLOBAL__N_19CustomMinEEEEE10hipError_tPvRmT0_T1_jT2_SQ_T4_T3_P12ihipStream_tbEUlT_E_NS1_11comp_targetILNS1_3genE8ELNS1_11target_archE1030ELNS1_3gpuE2ELNS1_3repE0EEENS1_30default_config_static_selectorELNS0_4arch9wavefront6targetE0EEEvSP_: ; @_ZN7rocprim17ROCPRIM_400000_NS6detail17trampoline_kernelINS0_14default_configENS1_32segmented_reduce_config_selectorIdEEZNS1_21segmented_reduce_implIS3_PKdPdPKidN6hipcub16HIPCUB_304000_NS6detail27convert_result_type_wrapperIS8_S9_N2at6native12_GLOBAL__N_19CustomMinEEEEE10hipError_tPvRmT0_T1_jT2_SQ_T4_T3_P12ihipStream_tbEUlT_E_NS1_11comp_targetILNS1_3genE8ELNS1_11target_archE1030ELNS1_3gpuE2ELNS1_3repE0EEENS1_30default_config_static_selectorELNS0_4arch9wavefront6targetE0EEEvSP_
; %bb.0:
	.section	.rodata,"a",@progbits
	.p2align	6, 0x0
	.amdhsa_kernel _ZN7rocprim17ROCPRIM_400000_NS6detail17trampoline_kernelINS0_14default_configENS1_32segmented_reduce_config_selectorIdEEZNS1_21segmented_reduce_implIS3_PKdPdPKidN6hipcub16HIPCUB_304000_NS6detail27convert_result_type_wrapperIS8_S9_N2at6native12_GLOBAL__N_19CustomMinEEEEE10hipError_tPvRmT0_T1_jT2_SQ_T4_T3_P12ihipStream_tbEUlT_E_NS1_11comp_targetILNS1_3genE8ELNS1_11target_archE1030ELNS1_3gpuE2ELNS1_3repE0EEENS1_30default_config_static_selectorELNS0_4arch9wavefront6targetE0EEEvSP_
		.amdhsa_group_segment_fixed_size 0
		.amdhsa_private_segment_fixed_size 0
		.amdhsa_kernarg_size 56
		.amdhsa_user_sgpr_count 15
		.amdhsa_user_sgpr_dispatch_ptr 0
		.amdhsa_user_sgpr_queue_ptr 0
		.amdhsa_user_sgpr_kernarg_segment_ptr 1
		.amdhsa_user_sgpr_dispatch_id 0
		.amdhsa_user_sgpr_private_segment_size 0
		.amdhsa_wavefront_size32 1
		.amdhsa_uses_dynamic_stack 0
		.amdhsa_enable_private_segment 0
		.amdhsa_system_sgpr_workgroup_id_x 1
		.amdhsa_system_sgpr_workgroup_id_y 0
		.amdhsa_system_sgpr_workgroup_id_z 0
		.amdhsa_system_sgpr_workgroup_info 0
		.amdhsa_system_vgpr_workitem_id 0
		.amdhsa_next_free_vgpr 1
		.amdhsa_next_free_sgpr 1
		.amdhsa_reserve_vcc 0
		.amdhsa_float_round_mode_32 0
		.amdhsa_float_round_mode_16_64 0
		.amdhsa_float_denorm_mode_32 3
		.amdhsa_float_denorm_mode_16_64 3
		.amdhsa_dx10_clamp 1
		.amdhsa_ieee_mode 1
		.amdhsa_fp16_overflow 0
		.amdhsa_workgroup_processor_mode 1
		.amdhsa_memory_ordered 1
		.amdhsa_forward_progress 0
		.amdhsa_shared_vgpr_count 0
		.amdhsa_exception_fp_ieee_invalid_op 0
		.amdhsa_exception_fp_denorm_src 0
		.amdhsa_exception_fp_ieee_div_zero 0
		.amdhsa_exception_fp_ieee_overflow 0
		.amdhsa_exception_fp_ieee_underflow 0
		.amdhsa_exception_fp_ieee_inexact 0
		.amdhsa_exception_int_div_zero 0
	.end_amdhsa_kernel
	.section	.text._ZN7rocprim17ROCPRIM_400000_NS6detail17trampoline_kernelINS0_14default_configENS1_32segmented_reduce_config_selectorIdEEZNS1_21segmented_reduce_implIS3_PKdPdPKidN6hipcub16HIPCUB_304000_NS6detail27convert_result_type_wrapperIS8_S9_N2at6native12_GLOBAL__N_19CustomMinEEEEE10hipError_tPvRmT0_T1_jT2_SQ_T4_T3_P12ihipStream_tbEUlT_E_NS1_11comp_targetILNS1_3genE8ELNS1_11target_archE1030ELNS1_3gpuE2ELNS1_3repE0EEENS1_30default_config_static_selectorELNS0_4arch9wavefront6targetE0EEEvSP_,"axG",@progbits,_ZN7rocprim17ROCPRIM_400000_NS6detail17trampoline_kernelINS0_14default_configENS1_32segmented_reduce_config_selectorIdEEZNS1_21segmented_reduce_implIS3_PKdPdPKidN6hipcub16HIPCUB_304000_NS6detail27convert_result_type_wrapperIS8_S9_N2at6native12_GLOBAL__N_19CustomMinEEEEE10hipError_tPvRmT0_T1_jT2_SQ_T4_T3_P12ihipStream_tbEUlT_E_NS1_11comp_targetILNS1_3genE8ELNS1_11target_archE1030ELNS1_3gpuE2ELNS1_3repE0EEENS1_30default_config_static_selectorELNS0_4arch9wavefront6targetE0EEEvSP_,comdat
.Lfunc_end33:
	.size	_ZN7rocprim17ROCPRIM_400000_NS6detail17trampoline_kernelINS0_14default_configENS1_32segmented_reduce_config_selectorIdEEZNS1_21segmented_reduce_implIS3_PKdPdPKidN6hipcub16HIPCUB_304000_NS6detail27convert_result_type_wrapperIS8_S9_N2at6native12_GLOBAL__N_19CustomMinEEEEE10hipError_tPvRmT0_T1_jT2_SQ_T4_T3_P12ihipStream_tbEUlT_E_NS1_11comp_targetILNS1_3genE8ELNS1_11target_archE1030ELNS1_3gpuE2ELNS1_3repE0EEENS1_30default_config_static_selectorELNS0_4arch9wavefront6targetE0EEEvSP_, .Lfunc_end33-_ZN7rocprim17ROCPRIM_400000_NS6detail17trampoline_kernelINS0_14default_configENS1_32segmented_reduce_config_selectorIdEEZNS1_21segmented_reduce_implIS3_PKdPdPKidN6hipcub16HIPCUB_304000_NS6detail27convert_result_type_wrapperIS8_S9_N2at6native12_GLOBAL__N_19CustomMinEEEEE10hipError_tPvRmT0_T1_jT2_SQ_T4_T3_P12ihipStream_tbEUlT_E_NS1_11comp_targetILNS1_3genE8ELNS1_11target_archE1030ELNS1_3gpuE2ELNS1_3repE0EEENS1_30default_config_static_selectorELNS0_4arch9wavefront6targetE0EEEvSP_
                                        ; -- End function
	.section	.AMDGPU.csdata,"",@progbits
; Kernel info:
; codeLenInByte = 0
; NumSgprs: 0
; NumVgprs: 0
; ScratchSize: 0
; MemoryBound: 0
; FloatMode: 240
; IeeeMode: 1
; LDSByteSize: 0 bytes/workgroup (compile time only)
; SGPRBlocks: 0
; VGPRBlocks: 0
; NumSGPRsForWavesPerEU: 1
; NumVGPRsForWavesPerEU: 1
; Occupancy: 16
; WaveLimiterHint : 0
; COMPUTE_PGM_RSRC2:SCRATCH_EN: 0
; COMPUTE_PGM_RSRC2:USER_SGPR: 15
; COMPUTE_PGM_RSRC2:TRAP_HANDLER: 0
; COMPUTE_PGM_RSRC2:TGID_X_EN: 1
; COMPUTE_PGM_RSRC2:TGID_Y_EN: 0
; COMPUTE_PGM_RSRC2:TGID_Z_EN: 0
; COMPUTE_PGM_RSRC2:TIDIG_COMP_CNT: 0
	.section	.text._ZN7rocprim17ROCPRIM_400000_NS6detail17trampoline_kernelINS0_14default_configENS1_32segmented_reduce_config_selectorIdEEZNS1_21segmented_reduce_implIS3_PKdPdPKidN6hipcub16HIPCUB_304000_NS6detail27convert_result_type_wrapperIS8_S9_N2at6native12_GLOBAL__N_110CustomProdEEEEE10hipError_tPvRmT0_T1_jT2_SQ_T4_T3_P12ihipStream_tbEUlT_E_NS1_11comp_targetILNS1_3genE0ELNS1_11target_archE4294967295ELNS1_3gpuE0ELNS1_3repE0EEENS1_30default_config_static_selectorELNS0_4arch9wavefront6targetE0EEEvSP_,"axG",@progbits,_ZN7rocprim17ROCPRIM_400000_NS6detail17trampoline_kernelINS0_14default_configENS1_32segmented_reduce_config_selectorIdEEZNS1_21segmented_reduce_implIS3_PKdPdPKidN6hipcub16HIPCUB_304000_NS6detail27convert_result_type_wrapperIS8_S9_N2at6native12_GLOBAL__N_110CustomProdEEEEE10hipError_tPvRmT0_T1_jT2_SQ_T4_T3_P12ihipStream_tbEUlT_E_NS1_11comp_targetILNS1_3genE0ELNS1_11target_archE4294967295ELNS1_3gpuE0ELNS1_3repE0EEENS1_30default_config_static_selectorELNS0_4arch9wavefront6targetE0EEEvSP_,comdat
	.globl	_ZN7rocprim17ROCPRIM_400000_NS6detail17trampoline_kernelINS0_14default_configENS1_32segmented_reduce_config_selectorIdEEZNS1_21segmented_reduce_implIS3_PKdPdPKidN6hipcub16HIPCUB_304000_NS6detail27convert_result_type_wrapperIS8_S9_N2at6native12_GLOBAL__N_110CustomProdEEEEE10hipError_tPvRmT0_T1_jT2_SQ_T4_T3_P12ihipStream_tbEUlT_E_NS1_11comp_targetILNS1_3genE0ELNS1_11target_archE4294967295ELNS1_3gpuE0ELNS1_3repE0EEENS1_30default_config_static_selectorELNS0_4arch9wavefront6targetE0EEEvSP_ ; -- Begin function _ZN7rocprim17ROCPRIM_400000_NS6detail17trampoline_kernelINS0_14default_configENS1_32segmented_reduce_config_selectorIdEEZNS1_21segmented_reduce_implIS3_PKdPdPKidN6hipcub16HIPCUB_304000_NS6detail27convert_result_type_wrapperIS8_S9_N2at6native12_GLOBAL__N_110CustomProdEEEEE10hipError_tPvRmT0_T1_jT2_SQ_T4_T3_P12ihipStream_tbEUlT_E_NS1_11comp_targetILNS1_3genE0ELNS1_11target_archE4294967295ELNS1_3gpuE0ELNS1_3repE0EEENS1_30default_config_static_selectorELNS0_4arch9wavefront6targetE0EEEvSP_
	.p2align	8
	.type	_ZN7rocprim17ROCPRIM_400000_NS6detail17trampoline_kernelINS0_14default_configENS1_32segmented_reduce_config_selectorIdEEZNS1_21segmented_reduce_implIS3_PKdPdPKidN6hipcub16HIPCUB_304000_NS6detail27convert_result_type_wrapperIS8_S9_N2at6native12_GLOBAL__N_110CustomProdEEEEE10hipError_tPvRmT0_T1_jT2_SQ_T4_T3_P12ihipStream_tbEUlT_E_NS1_11comp_targetILNS1_3genE0ELNS1_11target_archE4294967295ELNS1_3gpuE0ELNS1_3repE0EEENS1_30default_config_static_selectorELNS0_4arch9wavefront6targetE0EEEvSP_,@function
_ZN7rocprim17ROCPRIM_400000_NS6detail17trampoline_kernelINS0_14default_configENS1_32segmented_reduce_config_selectorIdEEZNS1_21segmented_reduce_implIS3_PKdPdPKidN6hipcub16HIPCUB_304000_NS6detail27convert_result_type_wrapperIS8_S9_N2at6native12_GLOBAL__N_110CustomProdEEEEE10hipError_tPvRmT0_T1_jT2_SQ_T4_T3_P12ihipStream_tbEUlT_E_NS1_11comp_targetILNS1_3genE0ELNS1_11target_archE4294967295ELNS1_3gpuE0ELNS1_3repE0EEENS1_30default_config_static_selectorELNS0_4arch9wavefront6targetE0EEEvSP_: ; @_ZN7rocprim17ROCPRIM_400000_NS6detail17trampoline_kernelINS0_14default_configENS1_32segmented_reduce_config_selectorIdEEZNS1_21segmented_reduce_implIS3_PKdPdPKidN6hipcub16HIPCUB_304000_NS6detail27convert_result_type_wrapperIS8_S9_N2at6native12_GLOBAL__N_110CustomProdEEEEE10hipError_tPvRmT0_T1_jT2_SQ_T4_T3_P12ihipStream_tbEUlT_E_NS1_11comp_targetILNS1_3genE0ELNS1_11target_archE4294967295ELNS1_3gpuE0ELNS1_3repE0EEENS1_30default_config_static_selectorELNS0_4arch9wavefront6targetE0EEEvSP_
; %bb.0:
	.section	.rodata,"a",@progbits
	.p2align	6, 0x0
	.amdhsa_kernel _ZN7rocprim17ROCPRIM_400000_NS6detail17trampoline_kernelINS0_14default_configENS1_32segmented_reduce_config_selectorIdEEZNS1_21segmented_reduce_implIS3_PKdPdPKidN6hipcub16HIPCUB_304000_NS6detail27convert_result_type_wrapperIS8_S9_N2at6native12_GLOBAL__N_110CustomProdEEEEE10hipError_tPvRmT0_T1_jT2_SQ_T4_T3_P12ihipStream_tbEUlT_E_NS1_11comp_targetILNS1_3genE0ELNS1_11target_archE4294967295ELNS1_3gpuE0ELNS1_3repE0EEENS1_30default_config_static_selectorELNS0_4arch9wavefront6targetE0EEEvSP_
		.amdhsa_group_segment_fixed_size 0
		.amdhsa_private_segment_fixed_size 0
		.amdhsa_kernarg_size 56
		.amdhsa_user_sgpr_count 15
		.amdhsa_user_sgpr_dispatch_ptr 0
		.amdhsa_user_sgpr_queue_ptr 0
		.amdhsa_user_sgpr_kernarg_segment_ptr 1
		.amdhsa_user_sgpr_dispatch_id 0
		.amdhsa_user_sgpr_private_segment_size 0
		.amdhsa_wavefront_size32 1
		.amdhsa_uses_dynamic_stack 0
		.amdhsa_enable_private_segment 0
		.amdhsa_system_sgpr_workgroup_id_x 1
		.amdhsa_system_sgpr_workgroup_id_y 0
		.amdhsa_system_sgpr_workgroup_id_z 0
		.amdhsa_system_sgpr_workgroup_info 0
		.amdhsa_system_vgpr_workitem_id 0
		.amdhsa_next_free_vgpr 1
		.amdhsa_next_free_sgpr 1
		.amdhsa_reserve_vcc 0
		.amdhsa_float_round_mode_32 0
		.amdhsa_float_round_mode_16_64 0
		.amdhsa_float_denorm_mode_32 3
		.amdhsa_float_denorm_mode_16_64 3
		.amdhsa_dx10_clamp 1
		.amdhsa_ieee_mode 1
		.amdhsa_fp16_overflow 0
		.amdhsa_workgroup_processor_mode 1
		.amdhsa_memory_ordered 1
		.amdhsa_forward_progress 0
		.amdhsa_shared_vgpr_count 0
		.amdhsa_exception_fp_ieee_invalid_op 0
		.amdhsa_exception_fp_denorm_src 0
		.amdhsa_exception_fp_ieee_div_zero 0
		.amdhsa_exception_fp_ieee_overflow 0
		.amdhsa_exception_fp_ieee_underflow 0
		.amdhsa_exception_fp_ieee_inexact 0
		.amdhsa_exception_int_div_zero 0
	.end_amdhsa_kernel
	.section	.text._ZN7rocprim17ROCPRIM_400000_NS6detail17trampoline_kernelINS0_14default_configENS1_32segmented_reduce_config_selectorIdEEZNS1_21segmented_reduce_implIS3_PKdPdPKidN6hipcub16HIPCUB_304000_NS6detail27convert_result_type_wrapperIS8_S9_N2at6native12_GLOBAL__N_110CustomProdEEEEE10hipError_tPvRmT0_T1_jT2_SQ_T4_T3_P12ihipStream_tbEUlT_E_NS1_11comp_targetILNS1_3genE0ELNS1_11target_archE4294967295ELNS1_3gpuE0ELNS1_3repE0EEENS1_30default_config_static_selectorELNS0_4arch9wavefront6targetE0EEEvSP_,"axG",@progbits,_ZN7rocprim17ROCPRIM_400000_NS6detail17trampoline_kernelINS0_14default_configENS1_32segmented_reduce_config_selectorIdEEZNS1_21segmented_reduce_implIS3_PKdPdPKidN6hipcub16HIPCUB_304000_NS6detail27convert_result_type_wrapperIS8_S9_N2at6native12_GLOBAL__N_110CustomProdEEEEE10hipError_tPvRmT0_T1_jT2_SQ_T4_T3_P12ihipStream_tbEUlT_E_NS1_11comp_targetILNS1_3genE0ELNS1_11target_archE4294967295ELNS1_3gpuE0ELNS1_3repE0EEENS1_30default_config_static_selectorELNS0_4arch9wavefront6targetE0EEEvSP_,comdat
.Lfunc_end34:
	.size	_ZN7rocprim17ROCPRIM_400000_NS6detail17trampoline_kernelINS0_14default_configENS1_32segmented_reduce_config_selectorIdEEZNS1_21segmented_reduce_implIS3_PKdPdPKidN6hipcub16HIPCUB_304000_NS6detail27convert_result_type_wrapperIS8_S9_N2at6native12_GLOBAL__N_110CustomProdEEEEE10hipError_tPvRmT0_T1_jT2_SQ_T4_T3_P12ihipStream_tbEUlT_E_NS1_11comp_targetILNS1_3genE0ELNS1_11target_archE4294967295ELNS1_3gpuE0ELNS1_3repE0EEENS1_30default_config_static_selectorELNS0_4arch9wavefront6targetE0EEEvSP_, .Lfunc_end34-_ZN7rocprim17ROCPRIM_400000_NS6detail17trampoline_kernelINS0_14default_configENS1_32segmented_reduce_config_selectorIdEEZNS1_21segmented_reduce_implIS3_PKdPdPKidN6hipcub16HIPCUB_304000_NS6detail27convert_result_type_wrapperIS8_S9_N2at6native12_GLOBAL__N_110CustomProdEEEEE10hipError_tPvRmT0_T1_jT2_SQ_T4_T3_P12ihipStream_tbEUlT_E_NS1_11comp_targetILNS1_3genE0ELNS1_11target_archE4294967295ELNS1_3gpuE0ELNS1_3repE0EEENS1_30default_config_static_selectorELNS0_4arch9wavefront6targetE0EEEvSP_
                                        ; -- End function
	.section	.AMDGPU.csdata,"",@progbits
; Kernel info:
; codeLenInByte = 0
; NumSgprs: 0
; NumVgprs: 0
; ScratchSize: 0
; MemoryBound: 0
; FloatMode: 240
; IeeeMode: 1
; LDSByteSize: 0 bytes/workgroup (compile time only)
; SGPRBlocks: 0
; VGPRBlocks: 0
; NumSGPRsForWavesPerEU: 1
; NumVGPRsForWavesPerEU: 1
; Occupancy: 16
; WaveLimiterHint : 0
; COMPUTE_PGM_RSRC2:SCRATCH_EN: 0
; COMPUTE_PGM_RSRC2:USER_SGPR: 15
; COMPUTE_PGM_RSRC2:TRAP_HANDLER: 0
; COMPUTE_PGM_RSRC2:TGID_X_EN: 1
; COMPUTE_PGM_RSRC2:TGID_Y_EN: 0
; COMPUTE_PGM_RSRC2:TGID_Z_EN: 0
; COMPUTE_PGM_RSRC2:TIDIG_COMP_CNT: 0
	.section	.text._ZN7rocprim17ROCPRIM_400000_NS6detail17trampoline_kernelINS0_14default_configENS1_32segmented_reduce_config_selectorIdEEZNS1_21segmented_reduce_implIS3_PKdPdPKidN6hipcub16HIPCUB_304000_NS6detail27convert_result_type_wrapperIS8_S9_N2at6native12_GLOBAL__N_110CustomProdEEEEE10hipError_tPvRmT0_T1_jT2_SQ_T4_T3_P12ihipStream_tbEUlT_E_NS1_11comp_targetILNS1_3genE5ELNS1_11target_archE942ELNS1_3gpuE9ELNS1_3repE0EEENS1_30default_config_static_selectorELNS0_4arch9wavefront6targetE0EEEvSP_,"axG",@progbits,_ZN7rocprim17ROCPRIM_400000_NS6detail17trampoline_kernelINS0_14default_configENS1_32segmented_reduce_config_selectorIdEEZNS1_21segmented_reduce_implIS3_PKdPdPKidN6hipcub16HIPCUB_304000_NS6detail27convert_result_type_wrapperIS8_S9_N2at6native12_GLOBAL__N_110CustomProdEEEEE10hipError_tPvRmT0_T1_jT2_SQ_T4_T3_P12ihipStream_tbEUlT_E_NS1_11comp_targetILNS1_3genE5ELNS1_11target_archE942ELNS1_3gpuE9ELNS1_3repE0EEENS1_30default_config_static_selectorELNS0_4arch9wavefront6targetE0EEEvSP_,comdat
	.globl	_ZN7rocprim17ROCPRIM_400000_NS6detail17trampoline_kernelINS0_14default_configENS1_32segmented_reduce_config_selectorIdEEZNS1_21segmented_reduce_implIS3_PKdPdPKidN6hipcub16HIPCUB_304000_NS6detail27convert_result_type_wrapperIS8_S9_N2at6native12_GLOBAL__N_110CustomProdEEEEE10hipError_tPvRmT0_T1_jT2_SQ_T4_T3_P12ihipStream_tbEUlT_E_NS1_11comp_targetILNS1_3genE5ELNS1_11target_archE942ELNS1_3gpuE9ELNS1_3repE0EEENS1_30default_config_static_selectorELNS0_4arch9wavefront6targetE0EEEvSP_ ; -- Begin function _ZN7rocprim17ROCPRIM_400000_NS6detail17trampoline_kernelINS0_14default_configENS1_32segmented_reduce_config_selectorIdEEZNS1_21segmented_reduce_implIS3_PKdPdPKidN6hipcub16HIPCUB_304000_NS6detail27convert_result_type_wrapperIS8_S9_N2at6native12_GLOBAL__N_110CustomProdEEEEE10hipError_tPvRmT0_T1_jT2_SQ_T4_T3_P12ihipStream_tbEUlT_E_NS1_11comp_targetILNS1_3genE5ELNS1_11target_archE942ELNS1_3gpuE9ELNS1_3repE0EEENS1_30default_config_static_selectorELNS0_4arch9wavefront6targetE0EEEvSP_
	.p2align	8
	.type	_ZN7rocprim17ROCPRIM_400000_NS6detail17trampoline_kernelINS0_14default_configENS1_32segmented_reduce_config_selectorIdEEZNS1_21segmented_reduce_implIS3_PKdPdPKidN6hipcub16HIPCUB_304000_NS6detail27convert_result_type_wrapperIS8_S9_N2at6native12_GLOBAL__N_110CustomProdEEEEE10hipError_tPvRmT0_T1_jT2_SQ_T4_T3_P12ihipStream_tbEUlT_E_NS1_11comp_targetILNS1_3genE5ELNS1_11target_archE942ELNS1_3gpuE9ELNS1_3repE0EEENS1_30default_config_static_selectorELNS0_4arch9wavefront6targetE0EEEvSP_,@function
_ZN7rocprim17ROCPRIM_400000_NS6detail17trampoline_kernelINS0_14default_configENS1_32segmented_reduce_config_selectorIdEEZNS1_21segmented_reduce_implIS3_PKdPdPKidN6hipcub16HIPCUB_304000_NS6detail27convert_result_type_wrapperIS8_S9_N2at6native12_GLOBAL__N_110CustomProdEEEEE10hipError_tPvRmT0_T1_jT2_SQ_T4_T3_P12ihipStream_tbEUlT_E_NS1_11comp_targetILNS1_3genE5ELNS1_11target_archE942ELNS1_3gpuE9ELNS1_3repE0EEENS1_30default_config_static_selectorELNS0_4arch9wavefront6targetE0EEEvSP_: ; @_ZN7rocprim17ROCPRIM_400000_NS6detail17trampoline_kernelINS0_14default_configENS1_32segmented_reduce_config_selectorIdEEZNS1_21segmented_reduce_implIS3_PKdPdPKidN6hipcub16HIPCUB_304000_NS6detail27convert_result_type_wrapperIS8_S9_N2at6native12_GLOBAL__N_110CustomProdEEEEE10hipError_tPvRmT0_T1_jT2_SQ_T4_T3_P12ihipStream_tbEUlT_E_NS1_11comp_targetILNS1_3genE5ELNS1_11target_archE942ELNS1_3gpuE9ELNS1_3repE0EEENS1_30default_config_static_selectorELNS0_4arch9wavefront6targetE0EEEvSP_
; %bb.0:
	.section	.rodata,"a",@progbits
	.p2align	6, 0x0
	.amdhsa_kernel _ZN7rocprim17ROCPRIM_400000_NS6detail17trampoline_kernelINS0_14default_configENS1_32segmented_reduce_config_selectorIdEEZNS1_21segmented_reduce_implIS3_PKdPdPKidN6hipcub16HIPCUB_304000_NS6detail27convert_result_type_wrapperIS8_S9_N2at6native12_GLOBAL__N_110CustomProdEEEEE10hipError_tPvRmT0_T1_jT2_SQ_T4_T3_P12ihipStream_tbEUlT_E_NS1_11comp_targetILNS1_3genE5ELNS1_11target_archE942ELNS1_3gpuE9ELNS1_3repE0EEENS1_30default_config_static_selectorELNS0_4arch9wavefront6targetE0EEEvSP_
		.amdhsa_group_segment_fixed_size 0
		.amdhsa_private_segment_fixed_size 0
		.amdhsa_kernarg_size 56
		.amdhsa_user_sgpr_count 15
		.amdhsa_user_sgpr_dispatch_ptr 0
		.amdhsa_user_sgpr_queue_ptr 0
		.amdhsa_user_sgpr_kernarg_segment_ptr 1
		.amdhsa_user_sgpr_dispatch_id 0
		.amdhsa_user_sgpr_private_segment_size 0
		.amdhsa_wavefront_size32 1
		.amdhsa_uses_dynamic_stack 0
		.amdhsa_enable_private_segment 0
		.amdhsa_system_sgpr_workgroup_id_x 1
		.amdhsa_system_sgpr_workgroup_id_y 0
		.amdhsa_system_sgpr_workgroup_id_z 0
		.amdhsa_system_sgpr_workgroup_info 0
		.amdhsa_system_vgpr_workitem_id 0
		.amdhsa_next_free_vgpr 1
		.amdhsa_next_free_sgpr 1
		.amdhsa_reserve_vcc 0
		.amdhsa_float_round_mode_32 0
		.amdhsa_float_round_mode_16_64 0
		.amdhsa_float_denorm_mode_32 3
		.amdhsa_float_denorm_mode_16_64 3
		.amdhsa_dx10_clamp 1
		.amdhsa_ieee_mode 1
		.amdhsa_fp16_overflow 0
		.amdhsa_workgroup_processor_mode 1
		.amdhsa_memory_ordered 1
		.amdhsa_forward_progress 0
		.amdhsa_shared_vgpr_count 0
		.amdhsa_exception_fp_ieee_invalid_op 0
		.amdhsa_exception_fp_denorm_src 0
		.amdhsa_exception_fp_ieee_div_zero 0
		.amdhsa_exception_fp_ieee_overflow 0
		.amdhsa_exception_fp_ieee_underflow 0
		.amdhsa_exception_fp_ieee_inexact 0
		.amdhsa_exception_int_div_zero 0
	.end_amdhsa_kernel
	.section	.text._ZN7rocprim17ROCPRIM_400000_NS6detail17trampoline_kernelINS0_14default_configENS1_32segmented_reduce_config_selectorIdEEZNS1_21segmented_reduce_implIS3_PKdPdPKidN6hipcub16HIPCUB_304000_NS6detail27convert_result_type_wrapperIS8_S9_N2at6native12_GLOBAL__N_110CustomProdEEEEE10hipError_tPvRmT0_T1_jT2_SQ_T4_T3_P12ihipStream_tbEUlT_E_NS1_11comp_targetILNS1_3genE5ELNS1_11target_archE942ELNS1_3gpuE9ELNS1_3repE0EEENS1_30default_config_static_selectorELNS0_4arch9wavefront6targetE0EEEvSP_,"axG",@progbits,_ZN7rocprim17ROCPRIM_400000_NS6detail17trampoline_kernelINS0_14default_configENS1_32segmented_reduce_config_selectorIdEEZNS1_21segmented_reduce_implIS3_PKdPdPKidN6hipcub16HIPCUB_304000_NS6detail27convert_result_type_wrapperIS8_S9_N2at6native12_GLOBAL__N_110CustomProdEEEEE10hipError_tPvRmT0_T1_jT2_SQ_T4_T3_P12ihipStream_tbEUlT_E_NS1_11comp_targetILNS1_3genE5ELNS1_11target_archE942ELNS1_3gpuE9ELNS1_3repE0EEENS1_30default_config_static_selectorELNS0_4arch9wavefront6targetE0EEEvSP_,comdat
.Lfunc_end35:
	.size	_ZN7rocprim17ROCPRIM_400000_NS6detail17trampoline_kernelINS0_14default_configENS1_32segmented_reduce_config_selectorIdEEZNS1_21segmented_reduce_implIS3_PKdPdPKidN6hipcub16HIPCUB_304000_NS6detail27convert_result_type_wrapperIS8_S9_N2at6native12_GLOBAL__N_110CustomProdEEEEE10hipError_tPvRmT0_T1_jT2_SQ_T4_T3_P12ihipStream_tbEUlT_E_NS1_11comp_targetILNS1_3genE5ELNS1_11target_archE942ELNS1_3gpuE9ELNS1_3repE0EEENS1_30default_config_static_selectorELNS0_4arch9wavefront6targetE0EEEvSP_, .Lfunc_end35-_ZN7rocprim17ROCPRIM_400000_NS6detail17trampoline_kernelINS0_14default_configENS1_32segmented_reduce_config_selectorIdEEZNS1_21segmented_reduce_implIS3_PKdPdPKidN6hipcub16HIPCUB_304000_NS6detail27convert_result_type_wrapperIS8_S9_N2at6native12_GLOBAL__N_110CustomProdEEEEE10hipError_tPvRmT0_T1_jT2_SQ_T4_T3_P12ihipStream_tbEUlT_E_NS1_11comp_targetILNS1_3genE5ELNS1_11target_archE942ELNS1_3gpuE9ELNS1_3repE0EEENS1_30default_config_static_selectorELNS0_4arch9wavefront6targetE0EEEvSP_
                                        ; -- End function
	.section	.AMDGPU.csdata,"",@progbits
; Kernel info:
; codeLenInByte = 0
; NumSgprs: 0
; NumVgprs: 0
; ScratchSize: 0
; MemoryBound: 0
; FloatMode: 240
; IeeeMode: 1
; LDSByteSize: 0 bytes/workgroup (compile time only)
; SGPRBlocks: 0
; VGPRBlocks: 0
; NumSGPRsForWavesPerEU: 1
; NumVGPRsForWavesPerEU: 1
; Occupancy: 16
; WaveLimiterHint : 0
; COMPUTE_PGM_RSRC2:SCRATCH_EN: 0
; COMPUTE_PGM_RSRC2:USER_SGPR: 15
; COMPUTE_PGM_RSRC2:TRAP_HANDLER: 0
; COMPUTE_PGM_RSRC2:TGID_X_EN: 1
; COMPUTE_PGM_RSRC2:TGID_Y_EN: 0
; COMPUTE_PGM_RSRC2:TGID_Z_EN: 0
; COMPUTE_PGM_RSRC2:TIDIG_COMP_CNT: 0
	.section	.text._ZN7rocprim17ROCPRIM_400000_NS6detail17trampoline_kernelINS0_14default_configENS1_32segmented_reduce_config_selectorIdEEZNS1_21segmented_reduce_implIS3_PKdPdPKidN6hipcub16HIPCUB_304000_NS6detail27convert_result_type_wrapperIS8_S9_N2at6native12_GLOBAL__N_110CustomProdEEEEE10hipError_tPvRmT0_T1_jT2_SQ_T4_T3_P12ihipStream_tbEUlT_E_NS1_11comp_targetILNS1_3genE10ELNS1_11target_archE1201ELNS1_3gpuE5ELNS1_3repE0EEENS1_30default_config_static_selectorELNS0_4arch9wavefront6targetE0EEEvSP_,"axG",@progbits,_ZN7rocprim17ROCPRIM_400000_NS6detail17trampoline_kernelINS0_14default_configENS1_32segmented_reduce_config_selectorIdEEZNS1_21segmented_reduce_implIS3_PKdPdPKidN6hipcub16HIPCUB_304000_NS6detail27convert_result_type_wrapperIS8_S9_N2at6native12_GLOBAL__N_110CustomProdEEEEE10hipError_tPvRmT0_T1_jT2_SQ_T4_T3_P12ihipStream_tbEUlT_E_NS1_11comp_targetILNS1_3genE10ELNS1_11target_archE1201ELNS1_3gpuE5ELNS1_3repE0EEENS1_30default_config_static_selectorELNS0_4arch9wavefront6targetE0EEEvSP_,comdat
	.globl	_ZN7rocprim17ROCPRIM_400000_NS6detail17trampoline_kernelINS0_14default_configENS1_32segmented_reduce_config_selectorIdEEZNS1_21segmented_reduce_implIS3_PKdPdPKidN6hipcub16HIPCUB_304000_NS6detail27convert_result_type_wrapperIS8_S9_N2at6native12_GLOBAL__N_110CustomProdEEEEE10hipError_tPvRmT0_T1_jT2_SQ_T4_T3_P12ihipStream_tbEUlT_E_NS1_11comp_targetILNS1_3genE10ELNS1_11target_archE1201ELNS1_3gpuE5ELNS1_3repE0EEENS1_30default_config_static_selectorELNS0_4arch9wavefront6targetE0EEEvSP_ ; -- Begin function _ZN7rocprim17ROCPRIM_400000_NS6detail17trampoline_kernelINS0_14default_configENS1_32segmented_reduce_config_selectorIdEEZNS1_21segmented_reduce_implIS3_PKdPdPKidN6hipcub16HIPCUB_304000_NS6detail27convert_result_type_wrapperIS8_S9_N2at6native12_GLOBAL__N_110CustomProdEEEEE10hipError_tPvRmT0_T1_jT2_SQ_T4_T3_P12ihipStream_tbEUlT_E_NS1_11comp_targetILNS1_3genE10ELNS1_11target_archE1201ELNS1_3gpuE5ELNS1_3repE0EEENS1_30default_config_static_selectorELNS0_4arch9wavefront6targetE0EEEvSP_
	.p2align	8
	.type	_ZN7rocprim17ROCPRIM_400000_NS6detail17trampoline_kernelINS0_14default_configENS1_32segmented_reduce_config_selectorIdEEZNS1_21segmented_reduce_implIS3_PKdPdPKidN6hipcub16HIPCUB_304000_NS6detail27convert_result_type_wrapperIS8_S9_N2at6native12_GLOBAL__N_110CustomProdEEEEE10hipError_tPvRmT0_T1_jT2_SQ_T4_T3_P12ihipStream_tbEUlT_E_NS1_11comp_targetILNS1_3genE10ELNS1_11target_archE1201ELNS1_3gpuE5ELNS1_3repE0EEENS1_30default_config_static_selectorELNS0_4arch9wavefront6targetE0EEEvSP_,@function
_ZN7rocprim17ROCPRIM_400000_NS6detail17trampoline_kernelINS0_14default_configENS1_32segmented_reduce_config_selectorIdEEZNS1_21segmented_reduce_implIS3_PKdPdPKidN6hipcub16HIPCUB_304000_NS6detail27convert_result_type_wrapperIS8_S9_N2at6native12_GLOBAL__N_110CustomProdEEEEE10hipError_tPvRmT0_T1_jT2_SQ_T4_T3_P12ihipStream_tbEUlT_E_NS1_11comp_targetILNS1_3genE10ELNS1_11target_archE1201ELNS1_3gpuE5ELNS1_3repE0EEENS1_30default_config_static_selectorELNS0_4arch9wavefront6targetE0EEEvSP_: ; @_ZN7rocprim17ROCPRIM_400000_NS6detail17trampoline_kernelINS0_14default_configENS1_32segmented_reduce_config_selectorIdEEZNS1_21segmented_reduce_implIS3_PKdPdPKidN6hipcub16HIPCUB_304000_NS6detail27convert_result_type_wrapperIS8_S9_N2at6native12_GLOBAL__N_110CustomProdEEEEE10hipError_tPvRmT0_T1_jT2_SQ_T4_T3_P12ihipStream_tbEUlT_E_NS1_11comp_targetILNS1_3genE10ELNS1_11target_archE1201ELNS1_3gpuE5ELNS1_3repE0EEENS1_30default_config_static_selectorELNS0_4arch9wavefront6targetE0EEEvSP_
; %bb.0:
	.section	.rodata,"a",@progbits
	.p2align	6, 0x0
	.amdhsa_kernel _ZN7rocprim17ROCPRIM_400000_NS6detail17trampoline_kernelINS0_14default_configENS1_32segmented_reduce_config_selectorIdEEZNS1_21segmented_reduce_implIS3_PKdPdPKidN6hipcub16HIPCUB_304000_NS6detail27convert_result_type_wrapperIS8_S9_N2at6native12_GLOBAL__N_110CustomProdEEEEE10hipError_tPvRmT0_T1_jT2_SQ_T4_T3_P12ihipStream_tbEUlT_E_NS1_11comp_targetILNS1_3genE10ELNS1_11target_archE1201ELNS1_3gpuE5ELNS1_3repE0EEENS1_30default_config_static_selectorELNS0_4arch9wavefront6targetE0EEEvSP_
		.amdhsa_group_segment_fixed_size 0
		.amdhsa_private_segment_fixed_size 0
		.amdhsa_kernarg_size 56
		.amdhsa_user_sgpr_count 15
		.amdhsa_user_sgpr_dispatch_ptr 0
		.amdhsa_user_sgpr_queue_ptr 0
		.amdhsa_user_sgpr_kernarg_segment_ptr 1
		.amdhsa_user_sgpr_dispatch_id 0
		.amdhsa_user_sgpr_private_segment_size 0
		.amdhsa_wavefront_size32 1
		.amdhsa_uses_dynamic_stack 0
		.amdhsa_enable_private_segment 0
		.amdhsa_system_sgpr_workgroup_id_x 1
		.amdhsa_system_sgpr_workgroup_id_y 0
		.amdhsa_system_sgpr_workgroup_id_z 0
		.amdhsa_system_sgpr_workgroup_info 0
		.amdhsa_system_vgpr_workitem_id 0
		.amdhsa_next_free_vgpr 1
		.amdhsa_next_free_sgpr 1
		.amdhsa_reserve_vcc 0
		.amdhsa_float_round_mode_32 0
		.amdhsa_float_round_mode_16_64 0
		.amdhsa_float_denorm_mode_32 3
		.amdhsa_float_denorm_mode_16_64 3
		.amdhsa_dx10_clamp 1
		.amdhsa_ieee_mode 1
		.amdhsa_fp16_overflow 0
		.amdhsa_workgroup_processor_mode 1
		.amdhsa_memory_ordered 1
		.amdhsa_forward_progress 0
		.amdhsa_shared_vgpr_count 0
		.amdhsa_exception_fp_ieee_invalid_op 0
		.amdhsa_exception_fp_denorm_src 0
		.amdhsa_exception_fp_ieee_div_zero 0
		.amdhsa_exception_fp_ieee_overflow 0
		.amdhsa_exception_fp_ieee_underflow 0
		.amdhsa_exception_fp_ieee_inexact 0
		.amdhsa_exception_int_div_zero 0
	.end_amdhsa_kernel
	.section	.text._ZN7rocprim17ROCPRIM_400000_NS6detail17trampoline_kernelINS0_14default_configENS1_32segmented_reduce_config_selectorIdEEZNS1_21segmented_reduce_implIS3_PKdPdPKidN6hipcub16HIPCUB_304000_NS6detail27convert_result_type_wrapperIS8_S9_N2at6native12_GLOBAL__N_110CustomProdEEEEE10hipError_tPvRmT0_T1_jT2_SQ_T4_T3_P12ihipStream_tbEUlT_E_NS1_11comp_targetILNS1_3genE10ELNS1_11target_archE1201ELNS1_3gpuE5ELNS1_3repE0EEENS1_30default_config_static_selectorELNS0_4arch9wavefront6targetE0EEEvSP_,"axG",@progbits,_ZN7rocprim17ROCPRIM_400000_NS6detail17trampoline_kernelINS0_14default_configENS1_32segmented_reduce_config_selectorIdEEZNS1_21segmented_reduce_implIS3_PKdPdPKidN6hipcub16HIPCUB_304000_NS6detail27convert_result_type_wrapperIS8_S9_N2at6native12_GLOBAL__N_110CustomProdEEEEE10hipError_tPvRmT0_T1_jT2_SQ_T4_T3_P12ihipStream_tbEUlT_E_NS1_11comp_targetILNS1_3genE10ELNS1_11target_archE1201ELNS1_3gpuE5ELNS1_3repE0EEENS1_30default_config_static_selectorELNS0_4arch9wavefront6targetE0EEEvSP_,comdat
.Lfunc_end36:
	.size	_ZN7rocprim17ROCPRIM_400000_NS6detail17trampoline_kernelINS0_14default_configENS1_32segmented_reduce_config_selectorIdEEZNS1_21segmented_reduce_implIS3_PKdPdPKidN6hipcub16HIPCUB_304000_NS6detail27convert_result_type_wrapperIS8_S9_N2at6native12_GLOBAL__N_110CustomProdEEEEE10hipError_tPvRmT0_T1_jT2_SQ_T4_T3_P12ihipStream_tbEUlT_E_NS1_11comp_targetILNS1_3genE10ELNS1_11target_archE1201ELNS1_3gpuE5ELNS1_3repE0EEENS1_30default_config_static_selectorELNS0_4arch9wavefront6targetE0EEEvSP_, .Lfunc_end36-_ZN7rocprim17ROCPRIM_400000_NS6detail17trampoline_kernelINS0_14default_configENS1_32segmented_reduce_config_selectorIdEEZNS1_21segmented_reduce_implIS3_PKdPdPKidN6hipcub16HIPCUB_304000_NS6detail27convert_result_type_wrapperIS8_S9_N2at6native12_GLOBAL__N_110CustomProdEEEEE10hipError_tPvRmT0_T1_jT2_SQ_T4_T3_P12ihipStream_tbEUlT_E_NS1_11comp_targetILNS1_3genE10ELNS1_11target_archE1201ELNS1_3gpuE5ELNS1_3repE0EEENS1_30default_config_static_selectorELNS0_4arch9wavefront6targetE0EEEvSP_
                                        ; -- End function
	.section	.AMDGPU.csdata,"",@progbits
; Kernel info:
; codeLenInByte = 0
; NumSgprs: 0
; NumVgprs: 0
; ScratchSize: 0
; MemoryBound: 0
; FloatMode: 240
; IeeeMode: 1
; LDSByteSize: 0 bytes/workgroup (compile time only)
; SGPRBlocks: 0
; VGPRBlocks: 0
; NumSGPRsForWavesPerEU: 1
; NumVGPRsForWavesPerEU: 1
; Occupancy: 16
; WaveLimiterHint : 0
; COMPUTE_PGM_RSRC2:SCRATCH_EN: 0
; COMPUTE_PGM_RSRC2:USER_SGPR: 15
; COMPUTE_PGM_RSRC2:TRAP_HANDLER: 0
; COMPUTE_PGM_RSRC2:TGID_X_EN: 1
; COMPUTE_PGM_RSRC2:TGID_Y_EN: 0
; COMPUTE_PGM_RSRC2:TGID_Z_EN: 0
; COMPUTE_PGM_RSRC2:TIDIG_COMP_CNT: 0
	.section	.text._ZN7rocprim17ROCPRIM_400000_NS6detail17trampoline_kernelINS0_14default_configENS1_32segmented_reduce_config_selectorIdEEZNS1_21segmented_reduce_implIS3_PKdPdPKidN6hipcub16HIPCUB_304000_NS6detail27convert_result_type_wrapperIS8_S9_N2at6native12_GLOBAL__N_110CustomProdEEEEE10hipError_tPvRmT0_T1_jT2_SQ_T4_T3_P12ihipStream_tbEUlT_E_NS1_11comp_targetILNS1_3genE4ELNS1_11target_archE910ELNS1_3gpuE8ELNS1_3repE0EEENS1_30default_config_static_selectorELNS0_4arch9wavefront6targetE0EEEvSP_,"axG",@progbits,_ZN7rocprim17ROCPRIM_400000_NS6detail17trampoline_kernelINS0_14default_configENS1_32segmented_reduce_config_selectorIdEEZNS1_21segmented_reduce_implIS3_PKdPdPKidN6hipcub16HIPCUB_304000_NS6detail27convert_result_type_wrapperIS8_S9_N2at6native12_GLOBAL__N_110CustomProdEEEEE10hipError_tPvRmT0_T1_jT2_SQ_T4_T3_P12ihipStream_tbEUlT_E_NS1_11comp_targetILNS1_3genE4ELNS1_11target_archE910ELNS1_3gpuE8ELNS1_3repE0EEENS1_30default_config_static_selectorELNS0_4arch9wavefront6targetE0EEEvSP_,comdat
	.globl	_ZN7rocprim17ROCPRIM_400000_NS6detail17trampoline_kernelINS0_14default_configENS1_32segmented_reduce_config_selectorIdEEZNS1_21segmented_reduce_implIS3_PKdPdPKidN6hipcub16HIPCUB_304000_NS6detail27convert_result_type_wrapperIS8_S9_N2at6native12_GLOBAL__N_110CustomProdEEEEE10hipError_tPvRmT0_T1_jT2_SQ_T4_T3_P12ihipStream_tbEUlT_E_NS1_11comp_targetILNS1_3genE4ELNS1_11target_archE910ELNS1_3gpuE8ELNS1_3repE0EEENS1_30default_config_static_selectorELNS0_4arch9wavefront6targetE0EEEvSP_ ; -- Begin function _ZN7rocprim17ROCPRIM_400000_NS6detail17trampoline_kernelINS0_14default_configENS1_32segmented_reduce_config_selectorIdEEZNS1_21segmented_reduce_implIS3_PKdPdPKidN6hipcub16HIPCUB_304000_NS6detail27convert_result_type_wrapperIS8_S9_N2at6native12_GLOBAL__N_110CustomProdEEEEE10hipError_tPvRmT0_T1_jT2_SQ_T4_T3_P12ihipStream_tbEUlT_E_NS1_11comp_targetILNS1_3genE4ELNS1_11target_archE910ELNS1_3gpuE8ELNS1_3repE0EEENS1_30default_config_static_selectorELNS0_4arch9wavefront6targetE0EEEvSP_
	.p2align	8
	.type	_ZN7rocprim17ROCPRIM_400000_NS6detail17trampoline_kernelINS0_14default_configENS1_32segmented_reduce_config_selectorIdEEZNS1_21segmented_reduce_implIS3_PKdPdPKidN6hipcub16HIPCUB_304000_NS6detail27convert_result_type_wrapperIS8_S9_N2at6native12_GLOBAL__N_110CustomProdEEEEE10hipError_tPvRmT0_T1_jT2_SQ_T4_T3_P12ihipStream_tbEUlT_E_NS1_11comp_targetILNS1_3genE4ELNS1_11target_archE910ELNS1_3gpuE8ELNS1_3repE0EEENS1_30default_config_static_selectorELNS0_4arch9wavefront6targetE0EEEvSP_,@function
_ZN7rocprim17ROCPRIM_400000_NS6detail17trampoline_kernelINS0_14default_configENS1_32segmented_reduce_config_selectorIdEEZNS1_21segmented_reduce_implIS3_PKdPdPKidN6hipcub16HIPCUB_304000_NS6detail27convert_result_type_wrapperIS8_S9_N2at6native12_GLOBAL__N_110CustomProdEEEEE10hipError_tPvRmT0_T1_jT2_SQ_T4_T3_P12ihipStream_tbEUlT_E_NS1_11comp_targetILNS1_3genE4ELNS1_11target_archE910ELNS1_3gpuE8ELNS1_3repE0EEENS1_30default_config_static_selectorELNS0_4arch9wavefront6targetE0EEEvSP_: ; @_ZN7rocprim17ROCPRIM_400000_NS6detail17trampoline_kernelINS0_14default_configENS1_32segmented_reduce_config_selectorIdEEZNS1_21segmented_reduce_implIS3_PKdPdPKidN6hipcub16HIPCUB_304000_NS6detail27convert_result_type_wrapperIS8_S9_N2at6native12_GLOBAL__N_110CustomProdEEEEE10hipError_tPvRmT0_T1_jT2_SQ_T4_T3_P12ihipStream_tbEUlT_E_NS1_11comp_targetILNS1_3genE4ELNS1_11target_archE910ELNS1_3gpuE8ELNS1_3repE0EEENS1_30default_config_static_selectorELNS0_4arch9wavefront6targetE0EEEvSP_
; %bb.0:
	.section	.rodata,"a",@progbits
	.p2align	6, 0x0
	.amdhsa_kernel _ZN7rocprim17ROCPRIM_400000_NS6detail17trampoline_kernelINS0_14default_configENS1_32segmented_reduce_config_selectorIdEEZNS1_21segmented_reduce_implIS3_PKdPdPKidN6hipcub16HIPCUB_304000_NS6detail27convert_result_type_wrapperIS8_S9_N2at6native12_GLOBAL__N_110CustomProdEEEEE10hipError_tPvRmT0_T1_jT2_SQ_T4_T3_P12ihipStream_tbEUlT_E_NS1_11comp_targetILNS1_3genE4ELNS1_11target_archE910ELNS1_3gpuE8ELNS1_3repE0EEENS1_30default_config_static_selectorELNS0_4arch9wavefront6targetE0EEEvSP_
		.amdhsa_group_segment_fixed_size 0
		.amdhsa_private_segment_fixed_size 0
		.amdhsa_kernarg_size 56
		.amdhsa_user_sgpr_count 15
		.amdhsa_user_sgpr_dispatch_ptr 0
		.amdhsa_user_sgpr_queue_ptr 0
		.amdhsa_user_sgpr_kernarg_segment_ptr 1
		.amdhsa_user_sgpr_dispatch_id 0
		.amdhsa_user_sgpr_private_segment_size 0
		.amdhsa_wavefront_size32 1
		.amdhsa_uses_dynamic_stack 0
		.amdhsa_enable_private_segment 0
		.amdhsa_system_sgpr_workgroup_id_x 1
		.amdhsa_system_sgpr_workgroup_id_y 0
		.amdhsa_system_sgpr_workgroup_id_z 0
		.amdhsa_system_sgpr_workgroup_info 0
		.amdhsa_system_vgpr_workitem_id 0
		.amdhsa_next_free_vgpr 1
		.amdhsa_next_free_sgpr 1
		.amdhsa_reserve_vcc 0
		.amdhsa_float_round_mode_32 0
		.amdhsa_float_round_mode_16_64 0
		.amdhsa_float_denorm_mode_32 3
		.amdhsa_float_denorm_mode_16_64 3
		.amdhsa_dx10_clamp 1
		.amdhsa_ieee_mode 1
		.amdhsa_fp16_overflow 0
		.amdhsa_workgroup_processor_mode 1
		.amdhsa_memory_ordered 1
		.amdhsa_forward_progress 0
		.amdhsa_shared_vgpr_count 0
		.amdhsa_exception_fp_ieee_invalid_op 0
		.amdhsa_exception_fp_denorm_src 0
		.amdhsa_exception_fp_ieee_div_zero 0
		.amdhsa_exception_fp_ieee_overflow 0
		.amdhsa_exception_fp_ieee_underflow 0
		.amdhsa_exception_fp_ieee_inexact 0
		.amdhsa_exception_int_div_zero 0
	.end_amdhsa_kernel
	.section	.text._ZN7rocprim17ROCPRIM_400000_NS6detail17trampoline_kernelINS0_14default_configENS1_32segmented_reduce_config_selectorIdEEZNS1_21segmented_reduce_implIS3_PKdPdPKidN6hipcub16HIPCUB_304000_NS6detail27convert_result_type_wrapperIS8_S9_N2at6native12_GLOBAL__N_110CustomProdEEEEE10hipError_tPvRmT0_T1_jT2_SQ_T4_T3_P12ihipStream_tbEUlT_E_NS1_11comp_targetILNS1_3genE4ELNS1_11target_archE910ELNS1_3gpuE8ELNS1_3repE0EEENS1_30default_config_static_selectorELNS0_4arch9wavefront6targetE0EEEvSP_,"axG",@progbits,_ZN7rocprim17ROCPRIM_400000_NS6detail17trampoline_kernelINS0_14default_configENS1_32segmented_reduce_config_selectorIdEEZNS1_21segmented_reduce_implIS3_PKdPdPKidN6hipcub16HIPCUB_304000_NS6detail27convert_result_type_wrapperIS8_S9_N2at6native12_GLOBAL__N_110CustomProdEEEEE10hipError_tPvRmT0_T1_jT2_SQ_T4_T3_P12ihipStream_tbEUlT_E_NS1_11comp_targetILNS1_3genE4ELNS1_11target_archE910ELNS1_3gpuE8ELNS1_3repE0EEENS1_30default_config_static_selectorELNS0_4arch9wavefront6targetE0EEEvSP_,comdat
.Lfunc_end37:
	.size	_ZN7rocprim17ROCPRIM_400000_NS6detail17trampoline_kernelINS0_14default_configENS1_32segmented_reduce_config_selectorIdEEZNS1_21segmented_reduce_implIS3_PKdPdPKidN6hipcub16HIPCUB_304000_NS6detail27convert_result_type_wrapperIS8_S9_N2at6native12_GLOBAL__N_110CustomProdEEEEE10hipError_tPvRmT0_T1_jT2_SQ_T4_T3_P12ihipStream_tbEUlT_E_NS1_11comp_targetILNS1_3genE4ELNS1_11target_archE910ELNS1_3gpuE8ELNS1_3repE0EEENS1_30default_config_static_selectorELNS0_4arch9wavefront6targetE0EEEvSP_, .Lfunc_end37-_ZN7rocprim17ROCPRIM_400000_NS6detail17trampoline_kernelINS0_14default_configENS1_32segmented_reduce_config_selectorIdEEZNS1_21segmented_reduce_implIS3_PKdPdPKidN6hipcub16HIPCUB_304000_NS6detail27convert_result_type_wrapperIS8_S9_N2at6native12_GLOBAL__N_110CustomProdEEEEE10hipError_tPvRmT0_T1_jT2_SQ_T4_T3_P12ihipStream_tbEUlT_E_NS1_11comp_targetILNS1_3genE4ELNS1_11target_archE910ELNS1_3gpuE8ELNS1_3repE0EEENS1_30default_config_static_selectorELNS0_4arch9wavefront6targetE0EEEvSP_
                                        ; -- End function
	.section	.AMDGPU.csdata,"",@progbits
; Kernel info:
; codeLenInByte = 0
; NumSgprs: 0
; NumVgprs: 0
; ScratchSize: 0
; MemoryBound: 0
; FloatMode: 240
; IeeeMode: 1
; LDSByteSize: 0 bytes/workgroup (compile time only)
; SGPRBlocks: 0
; VGPRBlocks: 0
; NumSGPRsForWavesPerEU: 1
; NumVGPRsForWavesPerEU: 1
; Occupancy: 16
; WaveLimiterHint : 0
; COMPUTE_PGM_RSRC2:SCRATCH_EN: 0
; COMPUTE_PGM_RSRC2:USER_SGPR: 15
; COMPUTE_PGM_RSRC2:TRAP_HANDLER: 0
; COMPUTE_PGM_RSRC2:TGID_X_EN: 1
; COMPUTE_PGM_RSRC2:TGID_Y_EN: 0
; COMPUTE_PGM_RSRC2:TGID_Z_EN: 0
; COMPUTE_PGM_RSRC2:TIDIG_COMP_CNT: 0
	.section	.text._ZN7rocprim17ROCPRIM_400000_NS6detail17trampoline_kernelINS0_14default_configENS1_32segmented_reduce_config_selectorIdEEZNS1_21segmented_reduce_implIS3_PKdPdPKidN6hipcub16HIPCUB_304000_NS6detail27convert_result_type_wrapperIS8_S9_N2at6native12_GLOBAL__N_110CustomProdEEEEE10hipError_tPvRmT0_T1_jT2_SQ_T4_T3_P12ihipStream_tbEUlT_E_NS1_11comp_targetILNS1_3genE3ELNS1_11target_archE908ELNS1_3gpuE7ELNS1_3repE0EEENS1_30default_config_static_selectorELNS0_4arch9wavefront6targetE0EEEvSP_,"axG",@progbits,_ZN7rocprim17ROCPRIM_400000_NS6detail17trampoline_kernelINS0_14default_configENS1_32segmented_reduce_config_selectorIdEEZNS1_21segmented_reduce_implIS3_PKdPdPKidN6hipcub16HIPCUB_304000_NS6detail27convert_result_type_wrapperIS8_S9_N2at6native12_GLOBAL__N_110CustomProdEEEEE10hipError_tPvRmT0_T1_jT2_SQ_T4_T3_P12ihipStream_tbEUlT_E_NS1_11comp_targetILNS1_3genE3ELNS1_11target_archE908ELNS1_3gpuE7ELNS1_3repE0EEENS1_30default_config_static_selectorELNS0_4arch9wavefront6targetE0EEEvSP_,comdat
	.globl	_ZN7rocprim17ROCPRIM_400000_NS6detail17trampoline_kernelINS0_14default_configENS1_32segmented_reduce_config_selectorIdEEZNS1_21segmented_reduce_implIS3_PKdPdPKidN6hipcub16HIPCUB_304000_NS6detail27convert_result_type_wrapperIS8_S9_N2at6native12_GLOBAL__N_110CustomProdEEEEE10hipError_tPvRmT0_T1_jT2_SQ_T4_T3_P12ihipStream_tbEUlT_E_NS1_11comp_targetILNS1_3genE3ELNS1_11target_archE908ELNS1_3gpuE7ELNS1_3repE0EEENS1_30default_config_static_selectorELNS0_4arch9wavefront6targetE0EEEvSP_ ; -- Begin function _ZN7rocprim17ROCPRIM_400000_NS6detail17trampoline_kernelINS0_14default_configENS1_32segmented_reduce_config_selectorIdEEZNS1_21segmented_reduce_implIS3_PKdPdPKidN6hipcub16HIPCUB_304000_NS6detail27convert_result_type_wrapperIS8_S9_N2at6native12_GLOBAL__N_110CustomProdEEEEE10hipError_tPvRmT0_T1_jT2_SQ_T4_T3_P12ihipStream_tbEUlT_E_NS1_11comp_targetILNS1_3genE3ELNS1_11target_archE908ELNS1_3gpuE7ELNS1_3repE0EEENS1_30default_config_static_selectorELNS0_4arch9wavefront6targetE0EEEvSP_
	.p2align	8
	.type	_ZN7rocprim17ROCPRIM_400000_NS6detail17trampoline_kernelINS0_14default_configENS1_32segmented_reduce_config_selectorIdEEZNS1_21segmented_reduce_implIS3_PKdPdPKidN6hipcub16HIPCUB_304000_NS6detail27convert_result_type_wrapperIS8_S9_N2at6native12_GLOBAL__N_110CustomProdEEEEE10hipError_tPvRmT0_T1_jT2_SQ_T4_T3_P12ihipStream_tbEUlT_E_NS1_11comp_targetILNS1_3genE3ELNS1_11target_archE908ELNS1_3gpuE7ELNS1_3repE0EEENS1_30default_config_static_selectorELNS0_4arch9wavefront6targetE0EEEvSP_,@function
_ZN7rocprim17ROCPRIM_400000_NS6detail17trampoline_kernelINS0_14default_configENS1_32segmented_reduce_config_selectorIdEEZNS1_21segmented_reduce_implIS3_PKdPdPKidN6hipcub16HIPCUB_304000_NS6detail27convert_result_type_wrapperIS8_S9_N2at6native12_GLOBAL__N_110CustomProdEEEEE10hipError_tPvRmT0_T1_jT2_SQ_T4_T3_P12ihipStream_tbEUlT_E_NS1_11comp_targetILNS1_3genE3ELNS1_11target_archE908ELNS1_3gpuE7ELNS1_3repE0EEENS1_30default_config_static_selectorELNS0_4arch9wavefront6targetE0EEEvSP_: ; @_ZN7rocprim17ROCPRIM_400000_NS6detail17trampoline_kernelINS0_14default_configENS1_32segmented_reduce_config_selectorIdEEZNS1_21segmented_reduce_implIS3_PKdPdPKidN6hipcub16HIPCUB_304000_NS6detail27convert_result_type_wrapperIS8_S9_N2at6native12_GLOBAL__N_110CustomProdEEEEE10hipError_tPvRmT0_T1_jT2_SQ_T4_T3_P12ihipStream_tbEUlT_E_NS1_11comp_targetILNS1_3genE3ELNS1_11target_archE908ELNS1_3gpuE7ELNS1_3repE0EEENS1_30default_config_static_selectorELNS0_4arch9wavefront6targetE0EEEvSP_
; %bb.0:
	.section	.rodata,"a",@progbits
	.p2align	6, 0x0
	.amdhsa_kernel _ZN7rocprim17ROCPRIM_400000_NS6detail17trampoline_kernelINS0_14default_configENS1_32segmented_reduce_config_selectorIdEEZNS1_21segmented_reduce_implIS3_PKdPdPKidN6hipcub16HIPCUB_304000_NS6detail27convert_result_type_wrapperIS8_S9_N2at6native12_GLOBAL__N_110CustomProdEEEEE10hipError_tPvRmT0_T1_jT2_SQ_T4_T3_P12ihipStream_tbEUlT_E_NS1_11comp_targetILNS1_3genE3ELNS1_11target_archE908ELNS1_3gpuE7ELNS1_3repE0EEENS1_30default_config_static_selectorELNS0_4arch9wavefront6targetE0EEEvSP_
		.amdhsa_group_segment_fixed_size 0
		.amdhsa_private_segment_fixed_size 0
		.amdhsa_kernarg_size 56
		.amdhsa_user_sgpr_count 15
		.amdhsa_user_sgpr_dispatch_ptr 0
		.amdhsa_user_sgpr_queue_ptr 0
		.amdhsa_user_sgpr_kernarg_segment_ptr 1
		.amdhsa_user_sgpr_dispatch_id 0
		.amdhsa_user_sgpr_private_segment_size 0
		.amdhsa_wavefront_size32 1
		.amdhsa_uses_dynamic_stack 0
		.amdhsa_enable_private_segment 0
		.amdhsa_system_sgpr_workgroup_id_x 1
		.amdhsa_system_sgpr_workgroup_id_y 0
		.amdhsa_system_sgpr_workgroup_id_z 0
		.amdhsa_system_sgpr_workgroup_info 0
		.amdhsa_system_vgpr_workitem_id 0
		.amdhsa_next_free_vgpr 1
		.amdhsa_next_free_sgpr 1
		.amdhsa_reserve_vcc 0
		.amdhsa_float_round_mode_32 0
		.amdhsa_float_round_mode_16_64 0
		.amdhsa_float_denorm_mode_32 3
		.amdhsa_float_denorm_mode_16_64 3
		.amdhsa_dx10_clamp 1
		.amdhsa_ieee_mode 1
		.amdhsa_fp16_overflow 0
		.amdhsa_workgroup_processor_mode 1
		.amdhsa_memory_ordered 1
		.amdhsa_forward_progress 0
		.amdhsa_shared_vgpr_count 0
		.amdhsa_exception_fp_ieee_invalid_op 0
		.amdhsa_exception_fp_denorm_src 0
		.amdhsa_exception_fp_ieee_div_zero 0
		.amdhsa_exception_fp_ieee_overflow 0
		.amdhsa_exception_fp_ieee_underflow 0
		.amdhsa_exception_fp_ieee_inexact 0
		.amdhsa_exception_int_div_zero 0
	.end_amdhsa_kernel
	.section	.text._ZN7rocprim17ROCPRIM_400000_NS6detail17trampoline_kernelINS0_14default_configENS1_32segmented_reduce_config_selectorIdEEZNS1_21segmented_reduce_implIS3_PKdPdPKidN6hipcub16HIPCUB_304000_NS6detail27convert_result_type_wrapperIS8_S9_N2at6native12_GLOBAL__N_110CustomProdEEEEE10hipError_tPvRmT0_T1_jT2_SQ_T4_T3_P12ihipStream_tbEUlT_E_NS1_11comp_targetILNS1_3genE3ELNS1_11target_archE908ELNS1_3gpuE7ELNS1_3repE0EEENS1_30default_config_static_selectorELNS0_4arch9wavefront6targetE0EEEvSP_,"axG",@progbits,_ZN7rocprim17ROCPRIM_400000_NS6detail17trampoline_kernelINS0_14default_configENS1_32segmented_reduce_config_selectorIdEEZNS1_21segmented_reduce_implIS3_PKdPdPKidN6hipcub16HIPCUB_304000_NS6detail27convert_result_type_wrapperIS8_S9_N2at6native12_GLOBAL__N_110CustomProdEEEEE10hipError_tPvRmT0_T1_jT2_SQ_T4_T3_P12ihipStream_tbEUlT_E_NS1_11comp_targetILNS1_3genE3ELNS1_11target_archE908ELNS1_3gpuE7ELNS1_3repE0EEENS1_30default_config_static_selectorELNS0_4arch9wavefront6targetE0EEEvSP_,comdat
.Lfunc_end38:
	.size	_ZN7rocprim17ROCPRIM_400000_NS6detail17trampoline_kernelINS0_14default_configENS1_32segmented_reduce_config_selectorIdEEZNS1_21segmented_reduce_implIS3_PKdPdPKidN6hipcub16HIPCUB_304000_NS6detail27convert_result_type_wrapperIS8_S9_N2at6native12_GLOBAL__N_110CustomProdEEEEE10hipError_tPvRmT0_T1_jT2_SQ_T4_T3_P12ihipStream_tbEUlT_E_NS1_11comp_targetILNS1_3genE3ELNS1_11target_archE908ELNS1_3gpuE7ELNS1_3repE0EEENS1_30default_config_static_selectorELNS0_4arch9wavefront6targetE0EEEvSP_, .Lfunc_end38-_ZN7rocprim17ROCPRIM_400000_NS6detail17trampoline_kernelINS0_14default_configENS1_32segmented_reduce_config_selectorIdEEZNS1_21segmented_reduce_implIS3_PKdPdPKidN6hipcub16HIPCUB_304000_NS6detail27convert_result_type_wrapperIS8_S9_N2at6native12_GLOBAL__N_110CustomProdEEEEE10hipError_tPvRmT0_T1_jT2_SQ_T4_T3_P12ihipStream_tbEUlT_E_NS1_11comp_targetILNS1_3genE3ELNS1_11target_archE908ELNS1_3gpuE7ELNS1_3repE0EEENS1_30default_config_static_selectorELNS0_4arch9wavefront6targetE0EEEvSP_
                                        ; -- End function
	.section	.AMDGPU.csdata,"",@progbits
; Kernel info:
; codeLenInByte = 0
; NumSgprs: 0
; NumVgprs: 0
; ScratchSize: 0
; MemoryBound: 0
; FloatMode: 240
; IeeeMode: 1
; LDSByteSize: 0 bytes/workgroup (compile time only)
; SGPRBlocks: 0
; VGPRBlocks: 0
; NumSGPRsForWavesPerEU: 1
; NumVGPRsForWavesPerEU: 1
; Occupancy: 16
; WaveLimiterHint : 0
; COMPUTE_PGM_RSRC2:SCRATCH_EN: 0
; COMPUTE_PGM_RSRC2:USER_SGPR: 15
; COMPUTE_PGM_RSRC2:TRAP_HANDLER: 0
; COMPUTE_PGM_RSRC2:TGID_X_EN: 1
; COMPUTE_PGM_RSRC2:TGID_Y_EN: 0
; COMPUTE_PGM_RSRC2:TGID_Z_EN: 0
; COMPUTE_PGM_RSRC2:TIDIG_COMP_CNT: 0
	.section	.text._ZN7rocprim17ROCPRIM_400000_NS6detail17trampoline_kernelINS0_14default_configENS1_32segmented_reduce_config_selectorIdEEZNS1_21segmented_reduce_implIS3_PKdPdPKidN6hipcub16HIPCUB_304000_NS6detail27convert_result_type_wrapperIS8_S9_N2at6native12_GLOBAL__N_110CustomProdEEEEE10hipError_tPvRmT0_T1_jT2_SQ_T4_T3_P12ihipStream_tbEUlT_E_NS1_11comp_targetILNS1_3genE2ELNS1_11target_archE906ELNS1_3gpuE6ELNS1_3repE0EEENS1_30default_config_static_selectorELNS0_4arch9wavefront6targetE0EEEvSP_,"axG",@progbits,_ZN7rocprim17ROCPRIM_400000_NS6detail17trampoline_kernelINS0_14default_configENS1_32segmented_reduce_config_selectorIdEEZNS1_21segmented_reduce_implIS3_PKdPdPKidN6hipcub16HIPCUB_304000_NS6detail27convert_result_type_wrapperIS8_S9_N2at6native12_GLOBAL__N_110CustomProdEEEEE10hipError_tPvRmT0_T1_jT2_SQ_T4_T3_P12ihipStream_tbEUlT_E_NS1_11comp_targetILNS1_3genE2ELNS1_11target_archE906ELNS1_3gpuE6ELNS1_3repE0EEENS1_30default_config_static_selectorELNS0_4arch9wavefront6targetE0EEEvSP_,comdat
	.globl	_ZN7rocprim17ROCPRIM_400000_NS6detail17trampoline_kernelINS0_14default_configENS1_32segmented_reduce_config_selectorIdEEZNS1_21segmented_reduce_implIS3_PKdPdPKidN6hipcub16HIPCUB_304000_NS6detail27convert_result_type_wrapperIS8_S9_N2at6native12_GLOBAL__N_110CustomProdEEEEE10hipError_tPvRmT0_T1_jT2_SQ_T4_T3_P12ihipStream_tbEUlT_E_NS1_11comp_targetILNS1_3genE2ELNS1_11target_archE906ELNS1_3gpuE6ELNS1_3repE0EEENS1_30default_config_static_selectorELNS0_4arch9wavefront6targetE0EEEvSP_ ; -- Begin function _ZN7rocprim17ROCPRIM_400000_NS6detail17trampoline_kernelINS0_14default_configENS1_32segmented_reduce_config_selectorIdEEZNS1_21segmented_reduce_implIS3_PKdPdPKidN6hipcub16HIPCUB_304000_NS6detail27convert_result_type_wrapperIS8_S9_N2at6native12_GLOBAL__N_110CustomProdEEEEE10hipError_tPvRmT0_T1_jT2_SQ_T4_T3_P12ihipStream_tbEUlT_E_NS1_11comp_targetILNS1_3genE2ELNS1_11target_archE906ELNS1_3gpuE6ELNS1_3repE0EEENS1_30default_config_static_selectorELNS0_4arch9wavefront6targetE0EEEvSP_
	.p2align	8
	.type	_ZN7rocprim17ROCPRIM_400000_NS6detail17trampoline_kernelINS0_14default_configENS1_32segmented_reduce_config_selectorIdEEZNS1_21segmented_reduce_implIS3_PKdPdPKidN6hipcub16HIPCUB_304000_NS6detail27convert_result_type_wrapperIS8_S9_N2at6native12_GLOBAL__N_110CustomProdEEEEE10hipError_tPvRmT0_T1_jT2_SQ_T4_T3_P12ihipStream_tbEUlT_E_NS1_11comp_targetILNS1_3genE2ELNS1_11target_archE906ELNS1_3gpuE6ELNS1_3repE0EEENS1_30default_config_static_selectorELNS0_4arch9wavefront6targetE0EEEvSP_,@function
_ZN7rocprim17ROCPRIM_400000_NS6detail17trampoline_kernelINS0_14default_configENS1_32segmented_reduce_config_selectorIdEEZNS1_21segmented_reduce_implIS3_PKdPdPKidN6hipcub16HIPCUB_304000_NS6detail27convert_result_type_wrapperIS8_S9_N2at6native12_GLOBAL__N_110CustomProdEEEEE10hipError_tPvRmT0_T1_jT2_SQ_T4_T3_P12ihipStream_tbEUlT_E_NS1_11comp_targetILNS1_3genE2ELNS1_11target_archE906ELNS1_3gpuE6ELNS1_3repE0EEENS1_30default_config_static_selectorELNS0_4arch9wavefront6targetE0EEEvSP_: ; @_ZN7rocprim17ROCPRIM_400000_NS6detail17trampoline_kernelINS0_14default_configENS1_32segmented_reduce_config_selectorIdEEZNS1_21segmented_reduce_implIS3_PKdPdPKidN6hipcub16HIPCUB_304000_NS6detail27convert_result_type_wrapperIS8_S9_N2at6native12_GLOBAL__N_110CustomProdEEEEE10hipError_tPvRmT0_T1_jT2_SQ_T4_T3_P12ihipStream_tbEUlT_E_NS1_11comp_targetILNS1_3genE2ELNS1_11target_archE906ELNS1_3gpuE6ELNS1_3repE0EEENS1_30default_config_static_selectorELNS0_4arch9wavefront6targetE0EEEvSP_
; %bb.0:
	.section	.rodata,"a",@progbits
	.p2align	6, 0x0
	.amdhsa_kernel _ZN7rocprim17ROCPRIM_400000_NS6detail17trampoline_kernelINS0_14default_configENS1_32segmented_reduce_config_selectorIdEEZNS1_21segmented_reduce_implIS3_PKdPdPKidN6hipcub16HIPCUB_304000_NS6detail27convert_result_type_wrapperIS8_S9_N2at6native12_GLOBAL__N_110CustomProdEEEEE10hipError_tPvRmT0_T1_jT2_SQ_T4_T3_P12ihipStream_tbEUlT_E_NS1_11comp_targetILNS1_3genE2ELNS1_11target_archE906ELNS1_3gpuE6ELNS1_3repE0EEENS1_30default_config_static_selectorELNS0_4arch9wavefront6targetE0EEEvSP_
		.amdhsa_group_segment_fixed_size 0
		.amdhsa_private_segment_fixed_size 0
		.amdhsa_kernarg_size 56
		.amdhsa_user_sgpr_count 15
		.amdhsa_user_sgpr_dispatch_ptr 0
		.amdhsa_user_sgpr_queue_ptr 0
		.amdhsa_user_sgpr_kernarg_segment_ptr 1
		.amdhsa_user_sgpr_dispatch_id 0
		.amdhsa_user_sgpr_private_segment_size 0
		.amdhsa_wavefront_size32 1
		.amdhsa_uses_dynamic_stack 0
		.amdhsa_enable_private_segment 0
		.amdhsa_system_sgpr_workgroup_id_x 1
		.amdhsa_system_sgpr_workgroup_id_y 0
		.amdhsa_system_sgpr_workgroup_id_z 0
		.amdhsa_system_sgpr_workgroup_info 0
		.amdhsa_system_vgpr_workitem_id 0
		.amdhsa_next_free_vgpr 1
		.amdhsa_next_free_sgpr 1
		.amdhsa_reserve_vcc 0
		.amdhsa_float_round_mode_32 0
		.amdhsa_float_round_mode_16_64 0
		.amdhsa_float_denorm_mode_32 3
		.amdhsa_float_denorm_mode_16_64 3
		.amdhsa_dx10_clamp 1
		.amdhsa_ieee_mode 1
		.amdhsa_fp16_overflow 0
		.amdhsa_workgroup_processor_mode 1
		.amdhsa_memory_ordered 1
		.amdhsa_forward_progress 0
		.amdhsa_shared_vgpr_count 0
		.amdhsa_exception_fp_ieee_invalid_op 0
		.amdhsa_exception_fp_denorm_src 0
		.amdhsa_exception_fp_ieee_div_zero 0
		.amdhsa_exception_fp_ieee_overflow 0
		.amdhsa_exception_fp_ieee_underflow 0
		.amdhsa_exception_fp_ieee_inexact 0
		.amdhsa_exception_int_div_zero 0
	.end_amdhsa_kernel
	.section	.text._ZN7rocprim17ROCPRIM_400000_NS6detail17trampoline_kernelINS0_14default_configENS1_32segmented_reduce_config_selectorIdEEZNS1_21segmented_reduce_implIS3_PKdPdPKidN6hipcub16HIPCUB_304000_NS6detail27convert_result_type_wrapperIS8_S9_N2at6native12_GLOBAL__N_110CustomProdEEEEE10hipError_tPvRmT0_T1_jT2_SQ_T4_T3_P12ihipStream_tbEUlT_E_NS1_11comp_targetILNS1_3genE2ELNS1_11target_archE906ELNS1_3gpuE6ELNS1_3repE0EEENS1_30default_config_static_selectorELNS0_4arch9wavefront6targetE0EEEvSP_,"axG",@progbits,_ZN7rocprim17ROCPRIM_400000_NS6detail17trampoline_kernelINS0_14default_configENS1_32segmented_reduce_config_selectorIdEEZNS1_21segmented_reduce_implIS3_PKdPdPKidN6hipcub16HIPCUB_304000_NS6detail27convert_result_type_wrapperIS8_S9_N2at6native12_GLOBAL__N_110CustomProdEEEEE10hipError_tPvRmT0_T1_jT2_SQ_T4_T3_P12ihipStream_tbEUlT_E_NS1_11comp_targetILNS1_3genE2ELNS1_11target_archE906ELNS1_3gpuE6ELNS1_3repE0EEENS1_30default_config_static_selectorELNS0_4arch9wavefront6targetE0EEEvSP_,comdat
.Lfunc_end39:
	.size	_ZN7rocprim17ROCPRIM_400000_NS6detail17trampoline_kernelINS0_14default_configENS1_32segmented_reduce_config_selectorIdEEZNS1_21segmented_reduce_implIS3_PKdPdPKidN6hipcub16HIPCUB_304000_NS6detail27convert_result_type_wrapperIS8_S9_N2at6native12_GLOBAL__N_110CustomProdEEEEE10hipError_tPvRmT0_T1_jT2_SQ_T4_T3_P12ihipStream_tbEUlT_E_NS1_11comp_targetILNS1_3genE2ELNS1_11target_archE906ELNS1_3gpuE6ELNS1_3repE0EEENS1_30default_config_static_selectorELNS0_4arch9wavefront6targetE0EEEvSP_, .Lfunc_end39-_ZN7rocprim17ROCPRIM_400000_NS6detail17trampoline_kernelINS0_14default_configENS1_32segmented_reduce_config_selectorIdEEZNS1_21segmented_reduce_implIS3_PKdPdPKidN6hipcub16HIPCUB_304000_NS6detail27convert_result_type_wrapperIS8_S9_N2at6native12_GLOBAL__N_110CustomProdEEEEE10hipError_tPvRmT0_T1_jT2_SQ_T4_T3_P12ihipStream_tbEUlT_E_NS1_11comp_targetILNS1_3genE2ELNS1_11target_archE906ELNS1_3gpuE6ELNS1_3repE0EEENS1_30default_config_static_selectorELNS0_4arch9wavefront6targetE0EEEvSP_
                                        ; -- End function
	.section	.AMDGPU.csdata,"",@progbits
; Kernel info:
; codeLenInByte = 0
; NumSgprs: 0
; NumVgprs: 0
; ScratchSize: 0
; MemoryBound: 0
; FloatMode: 240
; IeeeMode: 1
; LDSByteSize: 0 bytes/workgroup (compile time only)
; SGPRBlocks: 0
; VGPRBlocks: 0
; NumSGPRsForWavesPerEU: 1
; NumVGPRsForWavesPerEU: 1
; Occupancy: 16
; WaveLimiterHint : 0
; COMPUTE_PGM_RSRC2:SCRATCH_EN: 0
; COMPUTE_PGM_RSRC2:USER_SGPR: 15
; COMPUTE_PGM_RSRC2:TRAP_HANDLER: 0
; COMPUTE_PGM_RSRC2:TGID_X_EN: 1
; COMPUTE_PGM_RSRC2:TGID_Y_EN: 0
; COMPUTE_PGM_RSRC2:TGID_Z_EN: 0
; COMPUTE_PGM_RSRC2:TIDIG_COMP_CNT: 0
	.section	.text._ZN7rocprim17ROCPRIM_400000_NS6detail17trampoline_kernelINS0_14default_configENS1_32segmented_reduce_config_selectorIdEEZNS1_21segmented_reduce_implIS3_PKdPdPKidN6hipcub16HIPCUB_304000_NS6detail27convert_result_type_wrapperIS8_S9_N2at6native12_GLOBAL__N_110CustomProdEEEEE10hipError_tPvRmT0_T1_jT2_SQ_T4_T3_P12ihipStream_tbEUlT_E_NS1_11comp_targetILNS1_3genE9ELNS1_11target_archE1100ELNS1_3gpuE3ELNS1_3repE0EEENS1_30default_config_static_selectorELNS0_4arch9wavefront6targetE0EEEvSP_,"axG",@progbits,_ZN7rocprim17ROCPRIM_400000_NS6detail17trampoline_kernelINS0_14default_configENS1_32segmented_reduce_config_selectorIdEEZNS1_21segmented_reduce_implIS3_PKdPdPKidN6hipcub16HIPCUB_304000_NS6detail27convert_result_type_wrapperIS8_S9_N2at6native12_GLOBAL__N_110CustomProdEEEEE10hipError_tPvRmT0_T1_jT2_SQ_T4_T3_P12ihipStream_tbEUlT_E_NS1_11comp_targetILNS1_3genE9ELNS1_11target_archE1100ELNS1_3gpuE3ELNS1_3repE0EEENS1_30default_config_static_selectorELNS0_4arch9wavefront6targetE0EEEvSP_,comdat
	.globl	_ZN7rocprim17ROCPRIM_400000_NS6detail17trampoline_kernelINS0_14default_configENS1_32segmented_reduce_config_selectorIdEEZNS1_21segmented_reduce_implIS3_PKdPdPKidN6hipcub16HIPCUB_304000_NS6detail27convert_result_type_wrapperIS8_S9_N2at6native12_GLOBAL__N_110CustomProdEEEEE10hipError_tPvRmT0_T1_jT2_SQ_T4_T3_P12ihipStream_tbEUlT_E_NS1_11comp_targetILNS1_3genE9ELNS1_11target_archE1100ELNS1_3gpuE3ELNS1_3repE0EEENS1_30default_config_static_selectorELNS0_4arch9wavefront6targetE0EEEvSP_ ; -- Begin function _ZN7rocprim17ROCPRIM_400000_NS6detail17trampoline_kernelINS0_14default_configENS1_32segmented_reduce_config_selectorIdEEZNS1_21segmented_reduce_implIS3_PKdPdPKidN6hipcub16HIPCUB_304000_NS6detail27convert_result_type_wrapperIS8_S9_N2at6native12_GLOBAL__N_110CustomProdEEEEE10hipError_tPvRmT0_T1_jT2_SQ_T4_T3_P12ihipStream_tbEUlT_E_NS1_11comp_targetILNS1_3genE9ELNS1_11target_archE1100ELNS1_3gpuE3ELNS1_3repE0EEENS1_30default_config_static_selectorELNS0_4arch9wavefront6targetE0EEEvSP_
	.p2align	8
	.type	_ZN7rocprim17ROCPRIM_400000_NS6detail17trampoline_kernelINS0_14default_configENS1_32segmented_reduce_config_selectorIdEEZNS1_21segmented_reduce_implIS3_PKdPdPKidN6hipcub16HIPCUB_304000_NS6detail27convert_result_type_wrapperIS8_S9_N2at6native12_GLOBAL__N_110CustomProdEEEEE10hipError_tPvRmT0_T1_jT2_SQ_T4_T3_P12ihipStream_tbEUlT_E_NS1_11comp_targetILNS1_3genE9ELNS1_11target_archE1100ELNS1_3gpuE3ELNS1_3repE0EEENS1_30default_config_static_selectorELNS0_4arch9wavefront6targetE0EEEvSP_,@function
_ZN7rocprim17ROCPRIM_400000_NS6detail17trampoline_kernelINS0_14default_configENS1_32segmented_reduce_config_selectorIdEEZNS1_21segmented_reduce_implIS3_PKdPdPKidN6hipcub16HIPCUB_304000_NS6detail27convert_result_type_wrapperIS8_S9_N2at6native12_GLOBAL__N_110CustomProdEEEEE10hipError_tPvRmT0_T1_jT2_SQ_T4_T3_P12ihipStream_tbEUlT_E_NS1_11comp_targetILNS1_3genE9ELNS1_11target_archE1100ELNS1_3gpuE3ELNS1_3repE0EEENS1_30default_config_static_selectorELNS0_4arch9wavefront6targetE0EEEvSP_: ; @_ZN7rocprim17ROCPRIM_400000_NS6detail17trampoline_kernelINS0_14default_configENS1_32segmented_reduce_config_selectorIdEEZNS1_21segmented_reduce_implIS3_PKdPdPKidN6hipcub16HIPCUB_304000_NS6detail27convert_result_type_wrapperIS8_S9_N2at6native12_GLOBAL__N_110CustomProdEEEEE10hipError_tPvRmT0_T1_jT2_SQ_T4_T3_P12ihipStream_tbEUlT_E_NS1_11comp_targetILNS1_3genE9ELNS1_11target_archE1100ELNS1_3gpuE3ELNS1_3repE0EEENS1_30default_config_static_selectorELNS0_4arch9wavefront6targetE0EEEvSP_
; %bb.0:
	s_clause 0x1
	s_load_b256 s[16:23], s[0:1], 0x0
	s_load_b64 s[2:3], s[0:1], 0x20
	s_mov_b32 s24, s15
	s_mov_b32 s25, 0
	s_load_b64 s[26:27], s[0:1], 0x30
	v_cmp_eq_u32_e32 vcc_lo, 0, v0
	s_waitcnt lgkmcnt(0)
	s_lshl_b64 s[4:5], s[20:21], 2
	s_delay_alu instid0(SALU_CYCLE_1) | instskip(SKIP_4) | instid1(SALU_CYCLE_1)
	s_add_u32 s6, s22, s4
	s_addc_u32 s7, s23, s5
	s_add_u32 s4, s2, s4
	s_addc_u32 s5, s3, s5
	s_lshl_b64 s[0:1], s[24:25], 2
	s_add_u32 s2, s6, s0
	s_addc_u32 s3, s7, s1
	s_add_u32 s0, s4, s0
	s_addc_u32 s1, s5, s1
	s_load_b32 s22, s[2:3], 0x0
	s_load_b32 s30, s[0:1], 0x0
	s_waitcnt lgkmcnt(0)
	s_cmp_gt_i32 s30, s22
	s_cbranch_scc1 .LBB40_3
; %bb.1:
	s_and_b32 s15, vcc_lo, exec_lo
	s_cbranch_execz .LBB40_4
; %bb.2:
	v_dual_mov_b32 v3, s26 :: v_dual_mov_b32 v4, s27
	s_and_saveexec_b32 s0, s15
	s_cbranch_execnz .LBB40_83
	s_branch .LBB40_84
.LBB40_3:
	s_mov_b32 s15, s25
.LBB40_4:
	s_add_i32 s0, s22, 0x1000
	s_delay_alu instid0(SALU_CYCLE_1)
	s_cmp_le_i32 s0, s30
	s_cbranch_scc0 .LBB40_45
; %bb.5:
	s_ashr_i32 s23, s22, 31
	v_lshlrev_b32_e32 v35, 3, v0
	s_lshl_b64 s[2:3], s[22:23], 3
	s_delay_alu instid0(SALU_CYCLE_1) | instskip(SKIP_1) | instid1(VALU_DEP_1)
	s_add_u32 s2, s16, s2
	s_addc_u32 s3, s17, s3
	v_add_co_u32 v36, s1, s2, v35
	s_clause 0x1
	global_load_b64 v[3:4], v35, s[2:3]
	global_load_b64 v[1:2], v35, s[2:3] offset:2048
	v_add_co_ci_u32_e64 v37, null, s3, 0, s1
	v_add_co_u32 v5, vcc_lo, v36, 0x2000
	s_add_i32 s1, s22, 0x2000
	s_delay_alu instid0(VALU_DEP_2)
	v_add_co_ci_u32_e32 v6, vcc_lo, 0, v37, vcc_lo
	v_add_co_u32 v7, vcc_lo, 0x1000, v36
	v_add_co_ci_u32_e32 v8, vcc_lo, 0, v37, vcc_lo
	s_clause 0x2
	global_load_b64 v[11:12], v[5:6], off offset:-4096
	global_load_b64 v[7:8], v[7:8], off offset:2048
	global_load_b64 v[9:10], v[5:6], off
	v_add_co_u32 v5, vcc_lo, 0x2000, v36
	v_add_co_ci_u32_e32 v6, vcc_lo, 0, v37, vcc_lo
	v_add_co_u32 v15, vcc_lo, v36, 0x4000
	v_add_co_ci_u32_e32 v16, vcc_lo, 0, v37, vcc_lo
	global_load_b64 v[5:6], v[5:6], off offset:2048
	v_add_co_u32 v13, vcc_lo, 0x3000, v36
	global_load_b64 v[17:18], v[15:16], off offset:-4096
	v_add_co_ci_u32_e32 v14, vcc_lo, 0, v37, vcc_lo
	s_clause 0x1
	global_load_b64 v[13:14], v[13:14], off offset:2048
	global_load_b64 v[15:16], v[15:16], off
	v_add_co_u32 v19, vcc_lo, 0x4000, v36
	v_add_co_ci_u32_e32 v20, vcc_lo, 0, v37, vcc_lo
	v_add_co_u32 v27, vcc_lo, v36, 0x6000
	v_add_co_ci_u32_e32 v28, vcc_lo, 0, v37, vcc_lo
	global_load_b64 v[21:22], v[19:20], off offset:2048
	v_add_co_u32 v33, vcc_lo, 0x7000, v36
	global_load_b64 v[25:26], v[27:28], off offset:-4096
	v_add_co_ci_u32_e32 v34, vcc_lo, 0, v37, vcc_lo
	v_add_co_u32 v29, vcc_lo, 0x5000, v36
	v_add_co_ci_u32_e32 v30, vcc_lo, 0, v37, vcc_lo
	s_cmp_ge_i32 s1, s30
	s_clause 0x1
	global_load_b64 v[31:32], v[29:30], off offset:2048
	global_load_b64 v[29:30], v[27:28], off
	v_add_co_u32 v27, vcc_lo, 0x6000, v36
	v_add_co_ci_u32_e32 v28, vcc_lo, 0, v37, vcc_lo
	s_clause 0x1
	global_load_b64 v[19:20], v[33:34], off offset:2048
	global_load_b64 v[27:28], v[27:28], off offset:2048
	s_waitcnt vmcnt(13)
	v_mul_f64 v[23:24], v[3:4], v[1:2]
	s_waitcnt vmcnt(12)
	s_delay_alu instid0(VALU_DEP_1) | instskip(SKIP_1) | instid1(VALU_DEP_1)
	v_mul_f64 v[23:24], v[23:24], v[11:12]
	s_waitcnt vmcnt(11)
	v_mul_f64 v[23:24], v[23:24], v[7:8]
	s_waitcnt vmcnt(10)
	s_delay_alu instid0(VALU_DEP_1) | instskip(SKIP_1) | instid1(VALU_DEP_1)
	v_mul_f64 v[23:24], v[23:24], v[9:10]
	s_waitcnt vmcnt(9)
	v_mul_f64 v[36:37], v[23:24], v[5:6]
	global_load_b64 v[23:24], v[33:34], off
	s_waitcnt vmcnt(9)
	v_mul_f64 v[33:34], v[36:37], v[17:18]
	s_waitcnt vmcnt(8)
	s_delay_alu instid0(VALU_DEP_1) | instskip(SKIP_1) | instid1(VALU_DEP_1)
	v_mul_f64 v[33:34], v[33:34], v[13:14]
	s_waitcnt vmcnt(7)
	v_mul_f64 v[33:34], v[33:34], v[15:16]
	s_waitcnt vmcnt(6)
	s_delay_alu instid0(VALU_DEP_1) | instskip(SKIP_1) | instid1(VALU_DEP_1)
	v_mul_f64 v[33:34], v[33:34], v[21:22]
	;; [unrolled: 5-line block ×4, first 2 shown]
	s_waitcnt vmcnt(0)
	v_mul_f64 v[33:34], v[33:34], v[23:24]
	s_delay_alu instid0(VALU_DEP_1)
	v_mul_f64 v[33:34], v[33:34], v[19:20]
	s_cbranch_scc1 .LBB40_8
; %bb.6:
	v_add_co_u32 v36, s1, s16, v35
	s_delay_alu instid0(VALU_DEP_1)
	v_add_co_ci_u32_e64 v37, null, s17, 0, s1
.LBB40_7:                               ; =>This Inner Loop Header: Depth=1
	s_ashr_i32 s1, s0, 31
	s_delay_alu instid0(SALU_CYCLE_1) | instskip(SKIP_4) | instid1(VALU_DEP_2)
	s_lshl_b64 s[2:3], s[0:1], 3
	s_add_i32 s1, s0, 0x2000
	v_add_co_u32 v27, vcc_lo, v36, s2
	v_add_co_ci_u32_e32 v28, vcc_lo, s3, v37, vcc_lo
	s_addk_i32 s0, 0x1000
	v_add_co_u32 v5, vcc_lo, v27, 0x2000
	s_clause 0x1
	global_load_b64 v[3:4], v[27:28], off
	global_load_b64 v[1:2], v[27:28], off offset:2048
	v_add_co_ci_u32_e32 v6, vcc_lo, 0, v28, vcc_lo
	v_add_co_u32 v7, vcc_lo, 0x1000, v27
	v_add_co_ci_u32_e32 v8, vcc_lo, 0, v28, vcc_lo
	s_clause 0x2
	global_load_b64 v[11:12], v[5:6], off offset:-4096
	global_load_b64 v[7:8], v[7:8], off offset:2048
	global_load_b64 v[9:10], v[5:6], off
	v_add_co_u32 v5, vcc_lo, 0x2000, v27
	v_add_co_ci_u32_e32 v6, vcc_lo, 0, v28, vcc_lo
	v_add_co_u32 v15, vcc_lo, v27, 0x4000
	v_add_co_ci_u32_e32 v16, vcc_lo, 0, v28, vcc_lo
	global_load_b64 v[5:6], v[5:6], off offset:2048
	v_add_co_u32 v13, vcc_lo, 0x3000, v27
	global_load_b64 v[17:18], v[15:16], off offset:-4096
	v_add_co_ci_u32_e32 v14, vcc_lo, 0, v28, vcc_lo
	s_clause 0x1
	global_load_b64 v[13:14], v[13:14], off offset:2048
	global_load_b64 v[15:16], v[15:16], off
	v_add_co_u32 v21, vcc_lo, 0x4000, v27
	v_add_co_ci_u32_e32 v22, vcc_lo, 0, v28, vcc_lo
	s_cmp_lt_i32 s1, s30
	global_load_b64 v[21:22], v[21:22], off offset:2048
	s_waitcnt vmcnt(9)
	v_mul_f64 v[19:20], v[33:34], v[3:4]
	v_add_co_u32 v33, vcc_lo, v27, 0x6000
	v_add_co_ci_u32_e32 v34, vcc_lo, 0, v28, vcc_lo
	global_load_b64 v[25:26], v[33:34], off offset:-4096
	s_waitcnt vmcnt(9)
	v_mul_f64 v[29:30], v[19:20], v[1:2]
	v_add_co_u32 v19, vcc_lo, 0x7000, v27
	v_add_co_ci_u32_e32 v20, vcc_lo, 0, v28, vcc_lo
	v_add_co_u32 v31, vcc_lo, 0x5000, v27
	v_add_co_ci_u32_e32 v32, vcc_lo, 0, v28, vcc_lo
	s_clause 0x1
	global_load_b64 v[23:24], v[19:20], off
	global_load_b64 v[19:20], v[19:20], off offset:2048
	v_add_co_u32 v27, vcc_lo, 0x6000, v27
	global_load_b64 v[31:32], v[31:32], off offset:2048
	v_add_co_ci_u32_e32 v28, vcc_lo, 0, v28, vcc_lo
	s_waitcnt vmcnt(11)
	v_mul_f64 v[29:30], v[29:30], v[11:12]
	s_waitcnt vmcnt(10)
	s_delay_alu instid0(VALU_DEP_1)
	v_mul_f64 v[38:39], v[29:30], v[7:8]
	s_clause 0x1
	global_load_b64 v[29:30], v[33:34], off
	global_load_b64 v[27:28], v[27:28], off offset:2048
	s_waitcnt vmcnt(11)
	v_mul_f64 v[33:34], v[38:39], v[9:10]
	s_waitcnt vmcnt(10)
	s_delay_alu instid0(VALU_DEP_1) | instskip(SKIP_1) | instid1(VALU_DEP_1)
	v_mul_f64 v[33:34], v[33:34], v[5:6]
	s_waitcnt vmcnt(9)
	v_mul_f64 v[33:34], v[33:34], v[17:18]
	s_waitcnt vmcnt(8)
	s_delay_alu instid0(VALU_DEP_1) | instskip(SKIP_1) | instid1(VALU_DEP_1)
	v_mul_f64 v[33:34], v[33:34], v[13:14]
	;; [unrolled: 5-line block ×4, first 2 shown]
	s_waitcnt vmcnt(1)
	v_mul_f64 v[33:34], v[33:34], v[29:30]
	s_waitcnt vmcnt(0)
	s_delay_alu instid0(VALU_DEP_1) | instskip(NEXT) | instid1(VALU_DEP_1)
	v_mul_f64 v[33:34], v[33:34], v[27:28]
	v_mul_f64 v[33:34], v[33:34], v[23:24]
	s_delay_alu instid0(VALU_DEP_1)
	v_mul_f64 v[33:34], v[33:34], v[19:20]
	s_cbranch_scc1 .LBB40_7
.LBB40_8:
	s_ashr_i32 s1, s0, 31
	s_sub_i32 s14, s30, s0
	s_lshl_b64 s[0:1], s[0:1], 3
	v_cmp_gt_u32_e32 vcc_lo, s14, v0
	s_add_u32 s28, s16, s0
	s_addc_u32 s29, s17, s1
	s_and_saveexec_b32 s0, vcc_lo
	s_cbranch_execz .LBB40_10
; %bb.9:
	global_load_b64 v[3:4], v35, s[28:29]
.LBB40_10:
	s_or_b32 exec_lo, exec_lo, s0
	v_or_b32_e32 v36, 0x100, v0
	s_delay_alu instid0(VALU_DEP_1) | instskip(NEXT) | instid1(VALU_DEP_1)
	v_cmp_gt_u32_e64 s0, s14, v36
	s_and_saveexec_b32 s1, s0
	s_cbranch_execz .LBB40_12
; %bb.11:
	global_load_b64 v[1:2], v35, s[28:29] offset:2048
.LBB40_12:
	s_or_b32 exec_lo, exec_lo, s1
	v_or_b32_e32 v35, 0x200, v0
	s_delay_alu instid0(VALU_DEP_1) | instskip(NEXT) | instid1(VALU_DEP_1)
	v_cmp_gt_u32_e64 s1, s14, v35
	s_and_saveexec_b32 s2, s1
	s_cbranch_execz .LBB40_14
; %bb.13:
	v_lshlrev_b32_e32 v11, 3, v35
	global_load_b64 v[11:12], v11, s[28:29]
.LBB40_14:
	s_or_b32 exec_lo, exec_lo, s2
	v_or_b32_e32 v35, 0x300, v0
	s_delay_alu instid0(VALU_DEP_1) | instskip(NEXT) | instid1(VALU_DEP_1)
	v_cmp_gt_u32_e64 s2, s14, v35
	s_and_saveexec_b32 s3, s2
	s_cbranch_execz .LBB40_16
; %bb.15:
	v_lshlrev_b32_e32 v7, 3, v35
	global_load_b64 v[7:8], v7, s[28:29]
.LBB40_16:
	;; [unrolled: 10-line block ×14, first 2 shown]
	s_or_b32 exec_lo, exec_lo, s23
	s_waitcnt vmcnt(0)
	v_mul_f64 v[3:4], v[33:34], v[3:4]
	s_delay_alu instid0(VALU_DEP_1) | instskip(NEXT) | instid1(VALU_DEP_1)
	v_dual_cndmask_b32 v4, v34, v4 :: v_dual_cndmask_b32 v3, v33, v3
	v_mul_f64 v[1:2], v[1:2], v[3:4]
	s_delay_alu instid0(VALU_DEP_1) | instskip(NEXT) | instid1(VALU_DEP_2)
	v_cndmask_b32_e64 v2, v4, v2, s0
	v_cndmask_b32_e64 v1, v3, v1, s0
	s_mov_b32 s0, exec_lo
	s_delay_alu instid0(VALU_DEP_1) | instskip(NEXT) | instid1(VALU_DEP_1)
	v_mul_f64 v[3:4], v[11:12], v[1:2]
	v_cndmask_b32_e64 v2, v2, v4, s1
	s_delay_alu instid0(VALU_DEP_2) | instskip(NEXT) | instid1(VALU_DEP_1)
	v_cndmask_b32_e64 v1, v1, v3, s1
	v_mul_f64 v[3:4], v[7:8], v[1:2]
	s_delay_alu instid0(VALU_DEP_1) | instskip(NEXT) | instid1(VALU_DEP_2)
	v_cndmask_b32_e64 v2, v2, v4, s2
	v_cndmask_b32_e64 v1, v1, v3, s2
	s_delay_alu instid0(VALU_DEP_1) | instskip(NEXT) | instid1(VALU_DEP_1)
	v_mul_f64 v[3:4], v[9:10], v[1:2]
	v_cndmask_b32_e64 v2, v2, v4, s3
	s_delay_alu instid0(VALU_DEP_2) | instskip(NEXT) | instid1(VALU_DEP_1)
	v_cndmask_b32_e64 v1, v1, v3, s3
	v_mul_f64 v[3:4], v[5:6], v[1:2]
	s_delay_alu instid0(VALU_DEP_1) | instskip(NEXT) | instid1(VALU_DEP_2)
	v_cndmask_b32_e64 v2, v2, v4, s4
	v_cndmask_b32_e64 v1, v1, v3, s4
	;; [unrolled: 9-line block ×7, first 2 shown]
	s_delay_alu instid0(VALU_DEP_2) | instskip(NEXT) | instid1(VALU_DEP_2)
	v_mov_b32_dpp v3, v1 quad_perm:[1,0,3,2] row_mask:0xf bank_mask:0xf
	v_mov_b32_dpp v4, v2 quad_perm:[1,0,3,2] row_mask:0xf bank_mask:0xf
	s_delay_alu instid0(VALU_DEP_1) | instskip(NEXT) | instid1(VALU_DEP_1)
	v_mul_f64 v[1:2], v[1:2], v[3:4]
	v_mov_b32_dpp v3, v1 quad_perm:[2,3,0,1] row_mask:0xf bank_mask:0xf
	s_delay_alu instid0(VALU_DEP_2) | instskip(NEXT) | instid1(VALU_DEP_1)
	v_mov_b32_dpp v4, v2 quad_perm:[2,3,0,1] row_mask:0xf bank_mask:0xf
	v_mul_f64 v[1:2], v[1:2], v[3:4]
	s_delay_alu instid0(VALU_DEP_1) | instskip(NEXT) | instid1(VALU_DEP_2)
	v_mov_b32_dpp v3, v1 row_ror:4 row_mask:0xf bank_mask:0xf
	v_mov_b32_dpp v4, v2 row_ror:4 row_mask:0xf bank_mask:0xf
	s_delay_alu instid0(VALU_DEP_1) | instskip(NEXT) | instid1(VALU_DEP_1)
	v_mul_f64 v[1:2], v[1:2], v[3:4]
	v_mov_b32_dpp v3, v1 row_ror:8 row_mask:0xf bank_mask:0xf
	s_delay_alu instid0(VALU_DEP_2) | instskip(NEXT) | instid1(VALU_DEP_1)
	v_mov_b32_dpp v4, v2 row_ror:8 row_mask:0xf bank_mask:0xf
	v_mul_f64 v[1:2], v[1:2], v[3:4]
	ds_swizzle_b32 v3, v1 offset:swizzle(BROADCAST,32,15)
	ds_swizzle_b32 v4, v2 offset:swizzle(BROADCAST,32,15)
	s_waitcnt lgkmcnt(0)
	v_mul_f64 v[1:2], v[1:2], v[3:4]
	v_mov_b32_e32 v3, 0
	ds_bpermute_b32 v1, v3, v1 offset:124
	ds_bpermute_b32 v2, v3, v2 offset:124
	v_mbcnt_lo_u32_b32 v3, -1, 0
	s_delay_alu instid0(VALU_DEP_1)
	v_cmpx_eq_u32_e32 0, v3
	s_cbranch_execz .LBB40_42
; %bb.41:
	v_lshrrev_b32_e32 v4, 2, v0
	s_delay_alu instid0(VALU_DEP_1)
	v_and_b32_e32 v4, 56, v4
	s_waitcnt lgkmcnt(0)
	ds_store_b64 v4, v[1:2]
.LBB40_42:
	s_or_b32 exec_lo, exec_lo, s0
	s_delay_alu instid0(SALU_CYCLE_1)
	s_mov_b32 s0, exec_lo
	s_waitcnt lgkmcnt(0)
	s_barrier
	buffer_gl0_inv
	v_cmpx_gt_u32_e32 32, v0
	s_cbranch_execz .LBB40_44
; %bb.43:
	v_and_b32_e32 v6, 7, v3
	s_delay_alu instid0(VALU_DEP_1) | instskip(SKIP_4) | instid1(VALU_DEP_2)
	v_lshlrev_b32_e32 v1, 3, v6
	v_cmp_ne_u32_e32 vcc_lo, 7, v6
	ds_load_b64 v[1:2], v1
	v_add_co_ci_u32_e32 v4, vcc_lo, 0, v3, vcc_lo
	v_cmp_gt_u32_e32 vcc_lo, 6, v6
	v_lshlrev_b32_e32 v5, 2, v4
	s_waitcnt lgkmcnt(0)
	ds_bpermute_b32 v4, v5, v1
	ds_bpermute_b32 v5, v5, v2
	s_waitcnt lgkmcnt(0)
	v_mul_f64 v[1:2], v[1:2], v[4:5]
	v_cndmask_b32_e64 v4, 0, 1, vcc_lo
	v_cmp_gt_u32_e32 vcc_lo, 4, v6
	s_delay_alu instid0(VALU_DEP_2) | instskip(NEXT) | instid1(VALU_DEP_1)
	v_lshlrev_b32_e32 v4, 1, v4
	v_add_lshl_u32 v5, v4, v3, 2
	ds_bpermute_b32 v4, v5, v1
	ds_bpermute_b32 v5, v5, v2
	s_waitcnt lgkmcnt(0)
	v_mul_f64 v[1:2], v[1:2], v[4:5]
	v_cndmask_b32_e64 v4, 0, 1, vcc_lo
	s_delay_alu instid0(VALU_DEP_1) | instskip(NEXT) | instid1(VALU_DEP_1)
	v_lshlrev_b32_e32 v4, 2, v4
	v_add_lshl_u32 v4, v4, v3, 2
	ds_bpermute_b32 v3, v4, v1
	ds_bpermute_b32 v4, v4, v2
	s_waitcnt lgkmcnt(0)
	v_mul_f64 v[1:2], v[1:2], v[3:4]
.LBB40_44:
	s_or_b32 exec_lo, exec_lo, s0
	s_branch .LBB40_80
.LBB40_45:
                                        ; implicit-def: $vgpr1_vgpr2
	s_cbranch_execz .LBB40_80
; %bb.46:
	s_sub_i32 s0, s30, s22
	s_mov_b32 s1, exec_lo
                                        ; implicit-def: $vgpr3_vgpr4
	v_cmpx_gt_u32_e64 s0, v0
	s_cbranch_execz .LBB40_52
; %bb.47:
	v_add_nc_u32_e32 v1, s22, v0
	s_mov_b32 s2, exec_lo
	s_delay_alu instid0(VALU_DEP_1) | instskip(NEXT) | instid1(VALU_DEP_1)
	v_ashrrev_i32_e32 v2, 31, v1
	v_lshlrev_b64 v[2:3], 3, v[1:2]
	v_add_nc_u32_e32 v1, 0x100, v1
	s_delay_alu instid0(VALU_DEP_2) | instskip(NEXT) | instid1(VALU_DEP_3)
	v_add_co_u32 v2, vcc_lo, s16, v2
	v_add_co_ci_u32_e32 v3, vcc_lo, s17, v3, vcc_lo
	global_load_b64 v[3:4], v[2:3], off
	v_cmpx_gt_i32_e64 s30, v1
	s_cbranch_execz .LBB40_51
; %bb.48:
	s_mov_b32 s3, 0
.LBB40_49:                              ; =>This Inner Loop Header: Depth=1
	v_ashrrev_i32_e32 v2, 31, v1
	s_delay_alu instid0(VALU_DEP_1) | instskip(SKIP_1) | instid1(VALU_DEP_2)
	v_lshlrev_b64 v[5:6], 3, v[1:2]
	v_add_nc_u32_e32 v1, 0x100, v1
	v_add_co_u32 v5, vcc_lo, s16, v5
	s_delay_alu instid0(VALU_DEP_3) | instskip(NEXT) | instid1(VALU_DEP_3)
	v_add_co_ci_u32_e32 v6, vcc_lo, s17, v6, vcc_lo
	v_cmp_le_i32_e32 vcc_lo, s30, v1
	global_load_b64 v[5:6], v[5:6], off
	s_or_b32 s3, vcc_lo, s3
	s_waitcnt vmcnt(0)
	v_mul_f64 v[3:4], v[3:4], v[5:6]
	s_and_not1_b32 exec_lo, exec_lo, s3
	s_cbranch_execnz .LBB40_49
; %bb.50:
	s_or_b32 exec_lo, exec_lo, s3
.LBB40_51:
	s_delay_alu instid0(SALU_CYCLE_1)
	s_or_b32 exec_lo, exec_lo, s2
.LBB40_52:
	s_delay_alu instid0(SALU_CYCLE_1)
	s_or_b32 exec_lo, exec_lo, s1
	v_mbcnt_lo_u32_b32 v7, -1, 0
	s_cmpk_lt_u32 s0, 0x100
	s_cbranch_scc0 .LBB40_74
; %bb.53:
	s_delay_alu instid0(VALU_DEP_1) | instskip(SKIP_1) | instid1(VALU_DEP_3)
	v_cmp_ne_u32_e32 vcc_lo, 31, v7
	s_waitcnt vmcnt(0)
	v_dual_mov_b32 v9, v4 :: v_dual_mov_b32 v10, v3
	v_add_co_ci_u32_e32 v1, vcc_lo, 0, v7, vcc_lo
	s_delay_alu instid0(VALU_DEP_1) | instskip(SKIP_3) | instid1(VALU_DEP_1)
	v_lshlrev_b32_e32 v1, 2, v1
	ds_bpermute_b32 v5, v1, v3
	ds_bpermute_b32 v6, v1, v4
	v_and_b32_e32 v1, 0xe0, v0
	v_sub_nc_u32_e64 v8, s0, v1 clamp
	v_add_nc_u32_e32 v1, 1, v7
	s_delay_alu instid0(VALU_DEP_1)
	v_cmp_lt_u32_e32 vcc_lo, v1, v8
	v_dual_mov_b32 v1, v3 :: v_dual_mov_b32 v2, v4
	s_and_saveexec_b32 s1, vcc_lo
	s_cbranch_execz .LBB40_55
; %bb.54:
	s_waitcnt lgkmcnt(0)
	v_mul_f64 v[1:2], v[3:4], v[5:6]
	s_delay_alu instid0(VALU_DEP_1)
	v_dual_mov_b32 v9, v2 :: v_dual_mov_b32 v10, v1
.LBB40_55:
	s_or_b32 exec_lo, exec_lo, s1
	v_cmp_gt_u32_e32 vcc_lo, 30, v7
	v_add_nc_u32_e32 v11, 2, v7
	s_mov_b32 s1, exec_lo
	s_waitcnt lgkmcnt(1)
	v_cndmask_b32_e64 v5, 0, 1, vcc_lo
	s_delay_alu instid0(VALU_DEP_1) | instskip(SKIP_1) | instid1(VALU_DEP_1)
	v_lshlrev_b32_e32 v5, 1, v5
	s_waitcnt lgkmcnt(0)
	v_add_lshl_u32 v6, v5, v7, 2
	ds_bpermute_b32 v5, v6, v10
	ds_bpermute_b32 v6, v6, v9
	v_cmpx_lt_u32_e64 v11, v8
	s_cbranch_execz .LBB40_57
; %bb.56:
	s_waitcnt lgkmcnt(0)
	v_mul_f64 v[1:2], v[1:2], v[5:6]
	s_delay_alu instid0(VALU_DEP_1)
	v_dual_mov_b32 v9, v2 :: v_dual_mov_b32 v10, v1
.LBB40_57:
	s_or_b32 exec_lo, exec_lo, s1
	v_cmp_gt_u32_e32 vcc_lo, 28, v7
	v_add_nc_u32_e32 v11, 4, v7
	s_mov_b32 s1, exec_lo
	s_waitcnt lgkmcnt(1)
	v_cndmask_b32_e64 v5, 0, 1, vcc_lo
	s_delay_alu instid0(VALU_DEP_1) | instskip(SKIP_1) | instid1(VALU_DEP_1)
	v_lshlrev_b32_e32 v5, 2, v5
	s_waitcnt lgkmcnt(0)
	v_add_lshl_u32 v6, v5, v7, 2
	ds_bpermute_b32 v5, v6, v10
	ds_bpermute_b32 v6, v6, v9
	v_cmpx_lt_u32_e64 v11, v8
	;; [unrolled: 20-line block ×3, first 2 shown]
	s_cbranch_execz .LBB40_61
; %bb.60:
	s_waitcnt lgkmcnt(0)
	v_mul_f64 v[1:2], v[1:2], v[5:6]
	s_delay_alu instid0(VALU_DEP_1)
	v_dual_mov_b32 v9, v2 :: v_dual_mov_b32 v10, v1
.LBB40_61:
	s_or_b32 exec_lo, exec_lo, s1
	v_cmp_gt_u32_e32 vcc_lo, 16, v7
	s_mov_b32 s1, exec_lo
	s_waitcnt lgkmcnt(1)
	v_cndmask_b32_e64 v5, 0, 1, vcc_lo
	s_delay_alu instid0(VALU_DEP_1) | instskip(SKIP_1) | instid1(VALU_DEP_1)
	v_lshlrev_b32_e32 v5, 4, v5
	s_waitcnt lgkmcnt(0)
	v_add_lshl_u32 v6, v5, v7, 2
	ds_bpermute_b32 v5, v6, v10
	ds_bpermute_b32 v6, v6, v9
	v_add_nc_u32_e32 v9, 16, v7
	s_delay_alu instid0(VALU_DEP_1)
	v_cmpx_lt_u32_e64 v9, v8
	s_cbranch_execz .LBB40_63
; %bb.62:
	s_waitcnt lgkmcnt(0)
	v_mul_f64 v[1:2], v[1:2], v[5:6]
.LBB40_63:
	s_or_b32 exec_lo, exec_lo, s1
	s_delay_alu instid0(SALU_CYCLE_1)
	s_mov_b32 s1, exec_lo
	v_cmpx_eq_u32_e32 0, v7
	s_cbranch_execz .LBB40_65
; %bb.64:
	s_waitcnt lgkmcnt(1)
	v_lshrrev_b32_e32 v5, 2, v0
	s_delay_alu instid0(VALU_DEP_1)
	v_and_b32_e32 v5, 56, v5
	ds_store_b64 v5, v[1:2]
.LBB40_65:
	s_or_b32 exec_lo, exec_lo, s1
	s_delay_alu instid0(SALU_CYCLE_1)
	s_mov_b32 s1, exec_lo
	s_waitcnt lgkmcnt(0)
	s_barrier
	buffer_gl0_inv
	v_cmpx_gt_u32_e32 8, v0
	s_cbranch_execz .LBB40_73
; %bb.66:
	v_lshlrev_b32_e32 v1, 3, v7
	v_and_b32_e32 v8, 7, v7
	s_add_i32 s0, s0, 31
	s_mov_b32 s2, exec_lo
	s_lshr_b32 s0, s0, 5
	ds_load_b64 v[1:2], v1
	v_cmp_ne_u32_e32 vcc_lo, 7, v8
	v_add_nc_u32_e32 v9, 1, v8
	v_add_co_ci_u32_e32 v5, vcc_lo, 0, v7, vcc_lo
	s_delay_alu instid0(VALU_DEP_1)
	v_lshlrev_b32_e32 v6, 2, v5
	s_waitcnt lgkmcnt(0)
	ds_bpermute_b32 v5, v6, v1
	ds_bpermute_b32 v6, v6, v2
	v_cmpx_gt_u32_e64 s0, v9
	s_cbranch_execz .LBB40_68
; %bb.67:
	s_waitcnt lgkmcnt(0)
	v_mul_f64 v[1:2], v[1:2], v[5:6]
.LBB40_68:
	s_or_b32 exec_lo, exec_lo, s2
	v_cmp_gt_u32_e32 vcc_lo, 6, v8
	v_add_nc_u32_e32 v9, 2, v8
	s_mov_b32 s2, exec_lo
	s_waitcnt lgkmcnt(1)
	v_cndmask_b32_e64 v5, 0, 1, vcc_lo
	s_delay_alu instid0(VALU_DEP_1) | instskip(SKIP_1) | instid1(VALU_DEP_1)
	v_lshlrev_b32_e32 v5, 1, v5
	s_waitcnt lgkmcnt(0)
	v_add_lshl_u32 v6, v5, v7, 2
	ds_bpermute_b32 v5, v6, v1
	ds_bpermute_b32 v6, v6, v2
	v_cmpx_gt_u32_e64 s0, v9
	s_cbranch_execz .LBB40_70
; %bb.69:
	s_waitcnt lgkmcnt(0)
	v_mul_f64 v[1:2], v[1:2], v[5:6]
.LBB40_70:
	s_or_b32 exec_lo, exec_lo, s2
	v_cmp_gt_u32_e32 vcc_lo, 4, v8
	v_add_nc_u32_e32 v8, 4, v8
	s_waitcnt lgkmcnt(1)
	v_cndmask_b32_e64 v5, 0, 1, vcc_lo
	s_delay_alu instid0(VALU_DEP_2) | instskip(NEXT) | instid1(VALU_DEP_2)
	v_cmp_gt_u32_e32 vcc_lo, s0, v8
	v_lshlrev_b32_e32 v5, 2, v5
	s_waitcnt lgkmcnt(0)
	s_delay_alu instid0(VALU_DEP_1)
	v_add_lshl_u32 v6, v5, v7, 2
	ds_bpermute_b32 v5, v6, v1
	ds_bpermute_b32 v6, v6, v2
	s_and_saveexec_b32 s0, vcc_lo
	s_cbranch_execz .LBB40_72
; %bb.71:
	s_waitcnt lgkmcnt(0)
	v_mul_f64 v[1:2], v[1:2], v[5:6]
.LBB40_72:
	s_or_b32 exec_lo, exec_lo, s0
.LBB40_73:
	s_delay_alu instid0(SALU_CYCLE_1)
	s_or_b32 exec_lo, exec_lo, s1
	s_branch .LBB40_80
.LBB40_74:
                                        ; implicit-def: $vgpr1_vgpr2
	s_cbranch_execz .LBB40_80
; %bb.75:
	s_waitcnt vmcnt(0)
	s_delay_alu instid0(VALU_DEP_2) | instskip(NEXT) | instid1(VALU_DEP_3)
	v_mov_b32_dpp v1, v3 quad_perm:[1,0,3,2] row_mask:0xf bank_mask:0xf
	v_mov_b32_dpp v2, v4 quad_perm:[1,0,3,2] row_mask:0xf bank_mask:0xf
	s_mov_b32 s0, exec_lo
	s_delay_alu instid0(VALU_DEP_1) | instskip(NEXT) | instid1(VALU_DEP_1)
	v_mul_f64 v[1:2], v[3:4], v[1:2]
	v_mov_b32_dpp v3, v1 quad_perm:[2,3,0,1] row_mask:0xf bank_mask:0xf
	s_delay_alu instid0(VALU_DEP_2) | instskip(NEXT) | instid1(VALU_DEP_1)
	v_mov_b32_dpp v4, v2 quad_perm:[2,3,0,1] row_mask:0xf bank_mask:0xf
	v_mul_f64 v[1:2], v[1:2], v[3:4]
	s_delay_alu instid0(VALU_DEP_1) | instskip(NEXT) | instid1(VALU_DEP_2)
	v_mov_b32_dpp v3, v1 row_ror:4 row_mask:0xf bank_mask:0xf
	v_mov_b32_dpp v4, v2 row_ror:4 row_mask:0xf bank_mask:0xf
	s_delay_alu instid0(VALU_DEP_1) | instskip(NEXT) | instid1(VALU_DEP_1)
	v_mul_f64 v[1:2], v[1:2], v[3:4]
	v_mov_b32_dpp v3, v1 row_ror:8 row_mask:0xf bank_mask:0xf
	s_delay_alu instid0(VALU_DEP_2) | instskip(NEXT) | instid1(VALU_DEP_1)
	v_mov_b32_dpp v4, v2 row_ror:8 row_mask:0xf bank_mask:0xf
	v_mul_f64 v[1:2], v[1:2], v[3:4]
	ds_swizzle_b32 v3, v1 offset:swizzle(BROADCAST,32,15)
	ds_swizzle_b32 v4, v2 offset:swizzle(BROADCAST,32,15)
	s_waitcnt lgkmcnt(0)
	v_mul_f64 v[1:2], v[1:2], v[3:4]
	v_mov_b32_e32 v3, 0
	ds_bpermute_b32 v1, v3, v1 offset:124
	ds_bpermute_b32 v2, v3, v2 offset:124
	v_cmpx_eq_u32_e32 0, v7
	s_cbranch_execz .LBB40_77
; %bb.76:
	v_lshrrev_b32_e32 v3, 2, v0
	s_delay_alu instid0(VALU_DEP_1)
	v_and_b32_e32 v3, 56, v3
	s_waitcnt lgkmcnt(0)
	ds_store_b64 v3, v[1:2]
.LBB40_77:
	s_or_b32 exec_lo, exec_lo, s0
	s_delay_alu instid0(SALU_CYCLE_1)
	s_mov_b32 s0, exec_lo
	s_waitcnt lgkmcnt(0)
	s_barrier
	buffer_gl0_inv
	v_cmpx_gt_u32_e32 32, v0
	s_cbranch_execz .LBB40_79
; %bb.78:
	v_and_b32_e32 v5, 7, v7
	s_delay_alu instid0(VALU_DEP_1) | instskip(SKIP_4) | instid1(VALU_DEP_2)
	v_lshlrev_b32_e32 v1, 3, v5
	v_cmp_ne_u32_e32 vcc_lo, 7, v5
	ds_load_b64 v[1:2], v1
	v_add_co_ci_u32_e32 v3, vcc_lo, 0, v7, vcc_lo
	v_cmp_gt_u32_e32 vcc_lo, 6, v5
	v_lshlrev_b32_e32 v4, 2, v3
	s_waitcnt lgkmcnt(0)
	ds_bpermute_b32 v3, v4, v1
	ds_bpermute_b32 v4, v4, v2
	s_waitcnt lgkmcnt(0)
	v_mul_f64 v[1:2], v[1:2], v[3:4]
	v_cndmask_b32_e64 v3, 0, 1, vcc_lo
	v_cmp_gt_u32_e32 vcc_lo, 4, v5
	s_delay_alu instid0(VALU_DEP_2) | instskip(NEXT) | instid1(VALU_DEP_1)
	v_lshlrev_b32_e32 v3, 1, v3
	v_add_lshl_u32 v4, v3, v7, 2
	ds_bpermute_b32 v3, v4, v1
	ds_bpermute_b32 v4, v4, v2
	s_waitcnt lgkmcnt(0)
	v_mul_f64 v[1:2], v[1:2], v[3:4]
	v_cndmask_b32_e64 v3, 0, 1, vcc_lo
	s_delay_alu instid0(VALU_DEP_1) | instskip(NEXT) | instid1(VALU_DEP_1)
	v_lshlrev_b32_e32 v3, 2, v3
	v_add_lshl_u32 v4, v3, v7, 2
	ds_bpermute_b32 v3, v4, v1
	ds_bpermute_b32 v4, v4, v2
	s_waitcnt lgkmcnt(0)
	v_mul_f64 v[1:2], v[1:2], v[3:4]
.LBB40_79:
	s_or_b32 exec_lo, exec_lo, s0
.LBB40_80:
	s_delay_alu instid0(SALU_CYCLE_1)
	s_mov_b32 s0, exec_lo
                                        ; implicit-def: $vgpr3_vgpr4
	v_cmpx_eq_u32_e32 0, v0
	s_cbranch_execz .LBB40_82
; %bb.81:
	s_waitcnt vmcnt(0)
	s_delay_alu instid0(VALU_DEP_2)
	v_mul_f64 v[3:4], s[26:27], v[1:2]
	s_or_b32 s15, s15, exec_lo
.LBB40_82:
	s_or_b32 exec_lo, exec_lo, s0
	s_and_saveexec_b32 s0, s15
	s_cbranch_execz .LBB40_84
.LBB40_83:
	s_lshl_b64 s[0:1], s[20:21], 3
	v_mov_b32_e32 v0, 0
	s_add_u32 s2, s18, s0
	s_addc_u32 s3, s19, s1
	s_lshl_b64 s[0:1], s[24:25], 3
	s_delay_alu instid0(SALU_CYCLE_1)
	s_add_u32 s0, s2, s0
	s_addc_u32 s1, s3, s1
	s_waitcnt vmcnt(0)
	global_store_b64 v0, v[3:4], s[0:1]
.LBB40_84:
	s_nop 0
	s_sendmsg sendmsg(MSG_DEALLOC_VGPRS)
	s_endpgm
	.section	.rodata,"a",@progbits
	.p2align	6, 0x0
	.amdhsa_kernel _ZN7rocprim17ROCPRIM_400000_NS6detail17trampoline_kernelINS0_14default_configENS1_32segmented_reduce_config_selectorIdEEZNS1_21segmented_reduce_implIS3_PKdPdPKidN6hipcub16HIPCUB_304000_NS6detail27convert_result_type_wrapperIS8_S9_N2at6native12_GLOBAL__N_110CustomProdEEEEE10hipError_tPvRmT0_T1_jT2_SQ_T4_T3_P12ihipStream_tbEUlT_E_NS1_11comp_targetILNS1_3genE9ELNS1_11target_archE1100ELNS1_3gpuE3ELNS1_3repE0EEENS1_30default_config_static_selectorELNS0_4arch9wavefront6targetE0EEEvSP_
		.amdhsa_group_segment_fixed_size 64
		.amdhsa_private_segment_fixed_size 0
		.amdhsa_kernarg_size 56
		.amdhsa_user_sgpr_count 15
		.amdhsa_user_sgpr_dispatch_ptr 0
		.amdhsa_user_sgpr_queue_ptr 0
		.amdhsa_user_sgpr_kernarg_segment_ptr 1
		.amdhsa_user_sgpr_dispatch_id 0
		.amdhsa_user_sgpr_private_segment_size 0
		.amdhsa_wavefront_size32 1
		.amdhsa_uses_dynamic_stack 0
		.amdhsa_enable_private_segment 0
		.amdhsa_system_sgpr_workgroup_id_x 1
		.amdhsa_system_sgpr_workgroup_id_y 0
		.amdhsa_system_sgpr_workgroup_id_z 0
		.amdhsa_system_sgpr_workgroup_info 0
		.amdhsa_system_vgpr_workitem_id 0
		.amdhsa_next_free_vgpr 40
		.amdhsa_next_free_sgpr 31
		.amdhsa_reserve_vcc 1
		.amdhsa_float_round_mode_32 0
		.amdhsa_float_round_mode_16_64 0
		.amdhsa_float_denorm_mode_32 3
		.amdhsa_float_denorm_mode_16_64 3
		.amdhsa_dx10_clamp 1
		.amdhsa_ieee_mode 1
		.amdhsa_fp16_overflow 0
		.amdhsa_workgroup_processor_mode 1
		.amdhsa_memory_ordered 1
		.amdhsa_forward_progress 0
		.amdhsa_shared_vgpr_count 0
		.amdhsa_exception_fp_ieee_invalid_op 0
		.amdhsa_exception_fp_denorm_src 0
		.amdhsa_exception_fp_ieee_div_zero 0
		.amdhsa_exception_fp_ieee_overflow 0
		.amdhsa_exception_fp_ieee_underflow 0
		.amdhsa_exception_fp_ieee_inexact 0
		.amdhsa_exception_int_div_zero 0
	.end_amdhsa_kernel
	.section	.text._ZN7rocprim17ROCPRIM_400000_NS6detail17trampoline_kernelINS0_14default_configENS1_32segmented_reduce_config_selectorIdEEZNS1_21segmented_reduce_implIS3_PKdPdPKidN6hipcub16HIPCUB_304000_NS6detail27convert_result_type_wrapperIS8_S9_N2at6native12_GLOBAL__N_110CustomProdEEEEE10hipError_tPvRmT0_T1_jT2_SQ_T4_T3_P12ihipStream_tbEUlT_E_NS1_11comp_targetILNS1_3genE9ELNS1_11target_archE1100ELNS1_3gpuE3ELNS1_3repE0EEENS1_30default_config_static_selectorELNS0_4arch9wavefront6targetE0EEEvSP_,"axG",@progbits,_ZN7rocprim17ROCPRIM_400000_NS6detail17trampoline_kernelINS0_14default_configENS1_32segmented_reduce_config_selectorIdEEZNS1_21segmented_reduce_implIS3_PKdPdPKidN6hipcub16HIPCUB_304000_NS6detail27convert_result_type_wrapperIS8_S9_N2at6native12_GLOBAL__N_110CustomProdEEEEE10hipError_tPvRmT0_T1_jT2_SQ_T4_T3_P12ihipStream_tbEUlT_E_NS1_11comp_targetILNS1_3genE9ELNS1_11target_archE1100ELNS1_3gpuE3ELNS1_3repE0EEENS1_30default_config_static_selectorELNS0_4arch9wavefront6targetE0EEEvSP_,comdat
.Lfunc_end40:
	.size	_ZN7rocprim17ROCPRIM_400000_NS6detail17trampoline_kernelINS0_14default_configENS1_32segmented_reduce_config_selectorIdEEZNS1_21segmented_reduce_implIS3_PKdPdPKidN6hipcub16HIPCUB_304000_NS6detail27convert_result_type_wrapperIS8_S9_N2at6native12_GLOBAL__N_110CustomProdEEEEE10hipError_tPvRmT0_T1_jT2_SQ_T4_T3_P12ihipStream_tbEUlT_E_NS1_11comp_targetILNS1_3genE9ELNS1_11target_archE1100ELNS1_3gpuE3ELNS1_3repE0EEENS1_30default_config_static_selectorELNS0_4arch9wavefront6targetE0EEEvSP_, .Lfunc_end40-_ZN7rocprim17ROCPRIM_400000_NS6detail17trampoline_kernelINS0_14default_configENS1_32segmented_reduce_config_selectorIdEEZNS1_21segmented_reduce_implIS3_PKdPdPKidN6hipcub16HIPCUB_304000_NS6detail27convert_result_type_wrapperIS8_S9_N2at6native12_GLOBAL__N_110CustomProdEEEEE10hipError_tPvRmT0_T1_jT2_SQ_T4_T3_P12ihipStream_tbEUlT_E_NS1_11comp_targetILNS1_3genE9ELNS1_11target_archE1100ELNS1_3gpuE3ELNS1_3repE0EEENS1_30default_config_static_selectorELNS0_4arch9wavefront6targetE0EEEvSP_
                                        ; -- End function
	.section	.AMDGPU.csdata,"",@progbits
; Kernel info:
; codeLenInByte = 4544
; NumSgprs: 33
; NumVgprs: 40
; ScratchSize: 0
; MemoryBound: 0
; FloatMode: 240
; IeeeMode: 1
; LDSByteSize: 64 bytes/workgroup (compile time only)
; SGPRBlocks: 4
; VGPRBlocks: 4
; NumSGPRsForWavesPerEU: 33
; NumVGPRsForWavesPerEU: 40
; Occupancy: 16
; WaveLimiterHint : 1
; COMPUTE_PGM_RSRC2:SCRATCH_EN: 0
; COMPUTE_PGM_RSRC2:USER_SGPR: 15
; COMPUTE_PGM_RSRC2:TRAP_HANDLER: 0
; COMPUTE_PGM_RSRC2:TGID_X_EN: 1
; COMPUTE_PGM_RSRC2:TGID_Y_EN: 0
; COMPUTE_PGM_RSRC2:TGID_Z_EN: 0
; COMPUTE_PGM_RSRC2:TIDIG_COMP_CNT: 0
	.section	.text._ZN7rocprim17ROCPRIM_400000_NS6detail17trampoline_kernelINS0_14default_configENS1_32segmented_reduce_config_selectorIdEEZNS1_21segmented_reduce_implIS3_PKdPdPKidN6hipcub16HIPCUB_304000_NS6detail27convert_result_type_wrapperIS8_S9_N2at6native12_GLOBAL__N_110CustomProdEEEEE10hipError_tPvRmT0_T1_jT2_SQ_T4_T3_P12ihipStream_tbEUlT_E_NS1_11comp_targetILNS1_3genE8ELNS1_11target_archE1030ELNS1_3gpuE2ELNS1_3repE0EEENS1_30default_config_static_selectorELNS0_4arch9wavefront6targetE0EEEvSP_,"axG",@progbits,_ZN7rocprim17ROCPRIM_400000_NS6detail17trampoline_kernelINS0_14default_configENS1_32segmented_reduce_config_selectorIdEEZNS1_21segmented_reduce_implIS3_PKdPdPKidN6hipcub16HIPCUB_304000_NS6detail27convert_result_type_wrapperIS8_S9_N2at6native12_GLOBAL__N_110CustomProdEEEEE10hipError_tPvRmT0_T1_jT2_SQ_T4_T3_P12ihipStream_tbEUlT_E_NS1_11comp_targetILNS1_3genE8ELNS1_11target_archE1030ELNS1_3gpuE2ELNS1_3repE0EEENS1_30default_config_static_selectorELNS0_4arch9wavefront6targetE0EEEvSP_,comdat
	.globl	_ZN7rocprim17ROCPRIM_400000_NS6detail17trampoline_kernelINS0_14default_configENS1_32segmented_reduce_config_selectorIdEEZNS1_21segmented_reduce_implIS3_PKdPdPKidN6hipcub16HIPCUB_304000_NS6detail27convert_result_type_wrapperIS8_S9_N2at6native12_GLOBAL__N_110CustomProdEEEEE10hipError_tPvRmT0_T1_jT2_SQ_T4_T3_P12ihipStream_tbEUlT_E_NS1_11comp_targetILNS1_3genE8ELNS1_11target_archE1030ELNS1_3gpuE2ELNS1_3repE0EEENS1_30default_config_static_selectorELNS0_4arch9wavefront6targetE0EEEvSP_ ; -- Begin function _ZN7rocprim17ROCPRIM_400000_NS6detail17trampoline_kernelINS0_14default_configENS1_32segmented_reduce_config_selectorIdEEZNS1_21segmented_reduce_implIS3_PKdPdPKidN6hipcub16HIPCUB_304000_NS6detail27convert_result_type_wrapperIS8_S9_N2at6native12_GLOBAL__N_110CustomProdEEEEE10hipError_tPvRmT0_T1_jT2_SQ_T4_T3_P12ihipStream_tbEUlT_E_NS1_11comp_targetILNS1_3genE8ELNS1_11target_archE1030ELNS1_3gpuE2ELNS1_3repE0EEENS1_30default_config_static_selectorELNS0_4arch9wavefront6targetE0EEEvSP_
	.p2align	8
	.type	_ZN7rocprim17ROCPRIM_400000_NS6detail17trampoline_kernelINS0_14default_configENS1_32segmented_reduce_config_selectorIdEEZNS1_21segmented_reduce_implIS3_PKdPdPKidN6hipcub16HIPCUB_304000_NS6detail27convert_result_type_wrapperIS8_S9_N2at6native12_GLOBAL__N_110CustomProdEEEEE10hipError_tPvRmT0_T1_jT2_SQ_T4_T3_P12ihipStream_tbEUlT_E_NS1_11comp_targetILNS1_3genE8ELNS1_11target_archE1030ELNS1_3gpuE2ELNS1_3repE0EEENS1_30default_config_static_selectorELNS0_4arch9wavefront6targetE0EEEvSP_,@function
_ZN7rocprim17ROCPRIM_400000_NS6detail17trampoline_kernelINS0_14default_configENS1_32segmented_reduce_config_selectorIdEEZNS1_21segmented_reduce_implIS3_PKdPdPKidN6hipcub16HIPCUB_304000_NS6detail27convert_result_type_wrapperIS8_S9_N2at6native12_GLOBAL__N_110CustomProdEEEEE10hipError_tPvRmT0_T1_jT2_SQ_T4_T3_P12ihipStream_tbEUlT_E_NS1_11comp_targetILNS1_3genE8ELNS1_11target_archE1030ELNS1_3gpuE2ELNS1_3repE0EEENS1_30default_config_static_selectorELNS0_4arch9wavefront6targetE0EEEvSP_: ; @_ZN7rocprim17ROCPRIM_400000_NS6detail17trampoline_kernelINS0_14default_configENS1_32segmented_reduce_config_selectorIdEEZNS1_21segmented_reduce_implIS3_PKdPdPKidN6hipcub16HIPCUB_304000_NS6detail27convert_result_type_wrapperIS8_S9_N2at6native12_GLOBAL__N_110CustomProdEEEEE10hipError_tPvRmT0_T1_jT2_SQ_T4_T3_P12ihipStream_tbEUlT_E_NS1_11comp_targetILNS1_3genE8ELNS1_11target_archE1030ELNS1_3gpuE2ELNS1_3repE0EEENS1_30default_config_static_selectorELNS0_4arch9wavefront6targetE0EEEvSP_
; %bb.0:
	.section	.rodata,"a",@progbits
	.p2align	6, 0x0
	.amdhsa_kernel _ZN7rocprim17ROCPRIM_400000_NS6detail17trampoline_kernelINS0_14default_configENS1_32segmented_reduce_config_selectorIdEEZNS1_21segmented_reduce_implIS3_PKdPdPKidN6hipcub16HIPCUB_304000_NS6detail27convert_result_type_wrapperIS8_S9_N2at6native12_GLOBAL__N_110CustomProdEEEEE10hipError_tPvRmT0_T1_jT2_SQ_T4_T3_P12ihipStream_tbEUlT_E_NS1_11comp_targetILNS1_3genE8ELNS1_11target_archE1030ELNS1_3gpuE2ELNS1_3repE0EEENS1_30default_config_static_selectorELNS0_4arch9wavefront6targetE0EEEvSP_
		.amdhsa_group_segment_fixed_size 0
		.amdhsa_private_segment_fixed_size 0
		.amdhsa_kernarg_size 56
		.amdhsa_user_sgpr_count 15
		.amdhsa_user_sgpr_dispatch_ptr 0
		.amdhsa_user_sgpr_queue_ptr 0
		.amdhsa_user_sgpr_kernarg_segment_ptr 1
		.amdhsa_user_sgpr_dispatch_id 0
		.amdhsa_user_sgpr_private_segment_size 0
		.amdhsa_wavefront_size32 1
		.amdhsa_uses_dynamic_stack 0
		.amdhsa_enable_private_segment 0
		.amdhsa_system_sgpr_workgroup_id_x 1
		.amdhsa_system_sgpr_workgroup_id_y 0
		.amdhsa_system_sgpr_workgroup_id_z 0
		.amdhsa_system_sgpr_workgroup_info 0
		.amdhsa_system_vgpr_workitem_id 0
		.amdhsa_next_free_vgpr 1
		.amdhsa_next_free_sgpr 1
		.amdhsa_reserve_vcc 0
		.amdhsa_float_round_mode_32 0
		.amdhsa_float_round_mode_16_64 0
		.amdhsa_float_denorm_mode_32 3
		.amdhsa_float_denorm_mode_16_64 3
		.amdhsa_dx10_clamp 1
		.amdhsa_ieee_mode 1
		.amdhsa_fp16_overflow 0
		.amdhsa_workgroup_processor_mode 1
		.amdhsa_memory_ordered 1
		.amdhsa_forward_progress 0
		.amdhsa_shared_vgpr_count 0
		.amdhsa_exception_fp_ieee_invalid_op 0
		.amdhsa_exception_fp_denorm_src 0
		.amdhsa_exception_fp_ieee_div_zero 0
		.amdhsa_exception_fp_ieee_overflow 0
		.amdhsa_exception_fp_ieee_underflow 0
		.amdhsa_exception_fp_ieee_inexact 0
		.amdhsa_exception_int_div_zero 0
	.end_amdhsa_kernel
	.section	.text._ZN7rocprim17ROCPRIM_400000_NS6detail17trampoline_kernelINS0_14default_configENS1_32segmented_reduce_config_selectorIdEEZNS1_21segmented_reduce_implIS3_PKdPdPKidN6hipcub16HIPCUB_304000_NS6detail27convert_result_type_wrapperIS8_S9_N2at6native12_GLOBAL__N_110CustomProdEEEEE10hipError_tPvRmT0_T1_jT2_SQ_T4_T3_P12ihipStream_tbEUlT_E_NS1_11comp_targetILNS1_3genE8ELNS1_11target_archE1030ELNS1_3gpuE2ELNS1_3repE0EEENS1_30default_config_static_selectorELNS0_4arch9wavefront6targetE0EEEvSP_,"axG",@progbits,_ZN7rocprim17ROCPRIM_400000_NS6detail17trampoline_kernelINS0_14default_configENS1_32segmented_reduce_config_selectorIdEEZNS1_21segmented_reduce_implIS3_PKdPdPKidN6hipcub16HIPCUB_304000_NS6detail27convert_result_type_wrapperIS8_S9_N2at6native12_GLOBAL__N_110CustomProdEEEEE10hipError_tPvRmT0_T1_jT2_SQ_T4_T3_P12ihipStream_tbEUlT_E_NS1_11comp_targetILNS1_3genE8ELNS1_11target_archE1030ELNS1_3gpuE2ELNS1_3repE0EEENS1_30default_config_static_selectorELNS0_4arch9wavefront6targetE0EEEvSP_,comdat
.Lfunc_end41:
	.size	_ZN7rocprim17ROCPRIM_400000_NS6detail17trampoline_kernelINS0_14default_configENS1_32segmented_reduce_config_selectorIdEEZNS1_21segmented_reduce_implIS3_PKdPdPKidN6hipcub16HIPCUB_304000_NS6detail27convert_result_type_wrapperIS8_S9_N2at6native12_GLOBAL__N_110CustomProdEEEEE10hipError_tPvRmT0_T1_jT2_SQ_T4_T3_P12ihipStream_tbEUlT_E_NS1_11comp_targetILNS1_3genE8ELNS1_11target_archE1030ELNS1_3gpuE2ELNS1_3repE0EEENS1_30default_config_static_selectorELNS0_4arch9wavefront6targetE0EEEvSP_, .Lfunc_end41-_ZN7rocprim17ROCPRIM_400000_NS6detail17trampoline_kernelINS0_14default_configENS1_32segmented_reduce_config_selectorIdEEZNS1_21segmented_reduce_implIS3_PKdPdPKidN6hipcub16HIPCUB_304000_NS6detail27convert_result_type_wrapperIS8_S9_N2at6native12_GLOBAL__N_110CustomProdEEEEE10hipError_tPvRmT0_T1_jT2_SQ_T4_T3_P12ihipStream_tbEUlT_E_NS1_11comp_targetILNS1_3genE8ELNS1_11target_archE1030ELNS1_3gpuE2ELNS1_3repE0EEENS1_30default_config_static_selectorELNS0_4arch9wavefront6targetE0EEEvSP_
                                        ; -- End function
	.section	.AMDGPU.csdata,"",@progbits
; Kernel info:
; codeLenInByte = 0
; NumSgprs: 0
; NumVgprs: 0
; ScratchSize: 0
; MemoryBound: 0
; FloatMode: 240
; IeeeMode: 1
; LDSByteSize: 0 bytes/workgroup (compile time only)
; SGPRBlocks: 0
; VGPRBlocks: 0
; NumSGPRsForWavesPerEU: 1
; NumVGPRsForWavesPerEU: 1
; Occupancy: 16
; WaveLimiterHint : 0
; COMPUTE_PGM_RSRC2:SCRATCH_EN: 0
; COMPUTE_PGM_RSRC2:USER_SGPR: 15
; COMPUTE_PGM_RSRC2:TRAP_HANDLER: 0
; COMPUTE_PGM_RSRC2:TGID_X_EN: 1
; COMPUTE_PGM_RSRC2:TGID_Y_EN: 0
; COMPUTE_PGM_RSRC2:TGID_Z_EN: 0
; COMPUTE_PGM_RSRC2:TIDIG_COMP_CNT: 0
	.section	.text._ZN2at6native12_GLOBAL__N_129segment_reduce_forward_kernelIfiEEvNS0_13ReductionTypeEPT_PKS4_PKT0_SA_llbS4_lllllll,"axG",@progbits,_ZN2at6native12_GLOBAL__N_129segment_reduce_forward_kernelIfiEEvNS0_13ReductionTypeEPT_PKS4_PKT0_SA_llbS4_lllllll,comdat
	.globl	_ZN2at6native12_GLOBAL__N_129segment_reduce_forward_kernelIfiEEvNS0_13ReductionTypeEPT_PKS4_PKT0_SA_llbS4_lllllll ; -- Begin function _ZN2at6native12_GLOBAL__N_129segment_reduce_forward_kernelIfiEEvNS0_13ReductionTypeEPT_PKS4_PKT0_SA_llbS4_lllllll
	.p2align	8
	.type	_ZN2at6native12_GLOBAL__N_129segment_reduce_forward_kernelIfiEEvNS0_13ReductionTypeEPT_PKS4_PKT0_SA_llbS4_lllllll,@function
_ZN2at6native12_GLOBAL__N_129segment_reduce_forward_kernelIfiEEvNS0_13ReductionTypeEPT_PKS4_PKT0_SA_llbS4_lllllll: ; @_ZN2at6native12_GLOBAL__N_129segment_reduce_forward_kernelIfiEEvNS0_13ReductionTypeEPT_PKS4_PKT0_SA_llbS4_lllllll
; %bb.0:
	s_clause 0x2
	s_load_b128 s[28:31], s[0:1], 0x28
	s_load_b32 s2, s[0:1], 0x84
	s_load_b256 s[20:27], s[0:1], 0x40
	v_mov_b32_e32 v4, 0
	s_delay_alu instid0(VALU_DEP_1)
	v_mov_b32_e32 v1, v4
	s_waitcnt lgkmcnt(0)
	s_and_b32 s2, s2, 0xffff
	s_mul_i32 s3, s20, s29
	s_mul_hi_u32 s4, s20, s28
	s_mul_i32 s5, s21, s28
	s_mul_i32 s6, s20, s28
	v_mad_u64_u32 v[2:3], null, s2, s15, v[0:1]
	s_add_i32 s2, s4, s3
	s_mul_i32 s3, s6, s23
	s_mul_hi_u32 s4, s6, s22
	s_add_i32 s2, s2, s5
	s_add_i32 s3, s4, s3
	s_mul_i32 s2, s2, s22
	s_delay_alu instid0(SALU_CYCLE_1) | instskip(SKIP_1) | instid1(SALU_CYCLE_1)
	s_add_i32 s3, s3, s2
	s_mul_i32 s2, s6, s22
	v_cmp_gt_i64_e32 vcc_lo, s[2:3], v[2:3]
	s_and_saveexec_b32 s2, vcc_lo
	s_cbranch_execz .LBB42_35
; %bb.1:
	v_or_b32_e32 v5, s23, v3
	s_delay_alu instid0(VALU_DEP_1) | instskip(SKIP_1) | instid1(SALU_CYCLE_1)
	v_cmp_ne_u64_e32 vcc_lo, 0, v[4:5]
                                        ; implicit-def: $vgpr4_vgpr5
	s_and_saveexec_b32 s2, vcc_lo
	s_xor_b32 s3, exec_lo, s2
	s_cbranch_execz .LBB42_3
; %bb.2:
	s_ashr_i32 s4, s23, 31
	s_delay_alu instid0(SALU_CYCLE_1) | instskip(SKIP_2) | instid1(SALU_CYCLE_1)
	s_add_u32 s6, s22, s4
	s_mov_b32 s5, s4
	s_addc_u32 s7, s23, s4
	s_xor_b64 s[6:7], s[6:7], s[4:5]
	s_delay_alu instid0(SALU_CYCLE_1) | instskip(SKIP_3) | instid1(VALU_DEP_1)
	v_cvt_f32_u32_e32 v0, s6
	v_cvt_f32_u32_e32 v1, s7
	s_sub_u32 s2, 0, s6
	s_subb_u32 s5, 0, s7
	v_fmamk_f32 v0, v1, 0x4f800000, v0
	s_delay_alu instid0(VALU_DEP_1) | instskip(SKIP_2) | instid1(VALU_DEP_1)
	v_rcp_f32_e32 v0, v0
	s_waitcnt_depctr 0xfff
	v_mul_f32_e32 v0, 0x5f7ffffc, v0
	v_mul_f32_e32 v1, 0x2f800000, v0
	s_delay_alu instid0(VALU_DEP_1) | instskip(NEXT) | instid1(VALU_DEP_1)
	v_trunc_f32_e32 v1, v1
	v_fmamk_f32 v0, v1, 0xcf800000, v0
	v_cvt_u32_f32_e32 v1, v1
	s_delay_alu instid0(VALU_DEP_2) | instskip(NEXT) | instid1(VALU_DEP_2)
	v_cvt_u32_f32_e32 v0, v0
	v_mul_lo_u32 v4, s2, v1
	s_delay_alu instid0(VALU_DEP_2) | instskip(SKIP_1) | instid1(VALU_DEP_2)
	v_mul_hi_u32 v5, s2, v0
	v_mul_lo_u32 v6, s5, v0
	v_add_nc_u32_e32 v4, v5, v4
	v_mul_lo_u32 v5, s2, v0
	s_delay_alu instid0(VALU_DEP_2) | instskip(NEXT) | instid1(VALU_DEP_2)
	v_add_nc_u32_e32 v4, v4, v6
	v_mul_hi_u32 v6, v0, v5
	s_delay_alu instid0(VALU_DEP_2)
	v_mul_lo_u32 v7, v0, v4
	v_mul_hi_u32 v8, v0, v4
	v_mul_hi_u32 v9, v1, v5
	v_mul_lo_u32 v5, v1, v5
	v_mul_hi_u32 v10, v1, v4
	v_mul_lo_u32 v4, v1, v4
	v_add_co_u32 v6, vcc_lo, v6, v7
	v_add_co_ci_u32_e32 v7, vcc_lo, 0, v8, vcc_lo
	s_delay_alu instid0(VALU_DEP_2) | instskip(NEXT) | instid1(VALU_DEP_2)
	v_add_co_u32 v5, vcc_lo, v6, v5
	v_add_co_ci_u32_e32 v5, vcc_lo, v7, v9, vcc_lo
	v_add_co_ci_u32_e32 v6, vcc_lo, 0, v10, vcc_lo
	v_ashrrev_i32_e32 v9, 31, v3
	s_delay_alu instid0(VALU_DEP_3) | instskip(NEXT) | instid1(VALU_DEP_3)
	v_add_co_u32 v4, vcc_lo, v5, v4
	v_add_co_ci_u32_e32 v5, vcc_lo, 0, v6, vcc_lo
	s_delay_alu instid0(VALU_DEP_2) | instskip(NEXT) | instid1(VALU_DEP_2)
	v_add_co_u32 v0, vcc_lo, v0, v4
	v_add_co_ci_u32_e32 v1, vcc_lo, v1, v5, vcc_lo
	s_delay_alu instid0(VALU_DEP_2) | instskip(SKIP_1) | instid1(VALU_DEP_3)
	v_mul_hi_u32 v4, s2, v0
	v_mul_lo_u32 v6, s5, v0
	v_mul_lo_u32 v5, s2, v1
	s_delay_alu instid0(VALU_DEP_1) | instskip(SKIP_1) | instid1(VALU_DEP_2)
	v_add_nc_u32_e32 v4, v4, v5
	v_mul_lo_u32 v5, s2, v0
	v_add_nc_u32_e32 v4, v4, v6
	s_delay_alu instid0(VALU_DEP_2) | instskip(NEXT) | instid1(VALU_DEP_2)
	v_mul_hi_u32 v6, v0, v5
	v_mul_lo_u32 v7, v0, v4
	v_mul_hi_u32 v8, v0, v4
	v_mul_hi_u32 v10, v1, v5
	v_mul_lo_u32 v5, v1, v5
	v_mul_hi_u32 v11, v1, v4
	v_mul_lo_u32 v4, v1, v4
	v_add_co_u32 v6, vcc_lo, v6, v7
	v_add_co_ci_u32_e32 v7, vcc_lo, 0, v8, vcc_lo
	s_delay_alu instid0(VALU_DEP_2) | instskip(NEXT) | instid1(VALU_DEP_2)
	v_add_co_u32 v5, vcc_lo, v6, v5
	v_add_co_ci_u32_e32 v5, vcc_lo, v7, v10, vcc_lo
	v_add_co_ci_u32_e32 v6, vcc_lo, 0, v11, vcc_lo
	v_add_co_u32 v7, vcc_lo, v2, v9
	v_add_co_ci_u32_e32 v8, vcc_lo, v3, v9, vcc_lo
	s_delay_alu instid0(VALU_DEP_4) | instskip(NEXT) | instid1(VALU_DEP_4)
	v_add_co_u32 v4, vcc_lo, v5, v4
	v_add_co_ci_u32_e32 v5, vcc_lo, 0, v6, vcc_lo
	s_delay_alu instid0(VALU_DEP_4) | instskip(NEXT) | instid1(VALU_DEP_3)
	v_xor_b32_e32 v10, v7, v9
	v_add_co_u32 v6, vcc_lo, v0, v4
	s_delay_alu instid0(VALU_DEP_3) | instskip(SKIP_1) | instid1(VALU_DEP_3)
	v_add_co_ci_u32_e32 v11, vcc_lo, v1, v5, vcc_lo
	v_xor_b32_e32 v8, v8, v9
	v_mul_hi_u32 v12, v10, v6
	s_delay_alu instid0(VALU_DEP_3) | instskip(NEXT) | instid1(VALU_DEP_3)
	v_mad_u64_u32 v[0:1], null, v10, v11, 0
	v_mad_u64_u32 v[4:5], null, v8, v6, 0
	;; [unrolled: 1-line block ×3, first 2 shown]
	s_delay_alu instid0(VALU_DEP_3) | instskip(NEXT) | instid1(VALU_DEP_4)
	v_add_co_u32 v0, vcc_lo, v12, v0
	v_add_co_ci_u32_e32 v1, vcc_lo, 0, v1, vcc_lo
	s_delay_alu instid0(VALU_DEP_2) | instskip(NEXT) | instid1(VALU_DEP_2)
	v_add_co_u32 v0, vcc_lo, v0, v4
	v_add_co_ci_u32_e32 v0, vcc_lo, v1, v5, vcc_lo
	v_add_co_ci_u32_e32 v1, vcc_lo, 0, v7, vcc_lo
	s_delay_alu instid0(VALU_DEP_2) | instskip(NEXT) | instid1(VALU_DEP_2)
	v_add_co_u32 v4, vcc_lo, v0, v6
	v_add_co_ci_u32_e32 v5, vcc_lo, 0, v1, vcc_lo
	s_delay_alu instid0(VALU_DEP_2) | instskip(SKIP_1) | instid1(VALU_DEP_3)
	v_mul_lo_u32 v6, s7, v4
	v_mad_u64_u32 v[0:1], null, s6, v4, 0
	v_mul_lo_u32 v7, s6, v5
	s_delay_alu instid0(VALU_DEP_2) | instskip(NEXT) | instid1(VALU_DEP_2)
	v_sub_co_u32 v0, vcc_lo, v10, v0
	v_add3_u32 v1, v1, v7, v6
	s_delay_alu instid0(VALU_DEP_1) | instskip(NEXT) | instid1(VALU_DEP_1)
	v_sub_nc_u32_e32 v6, v8, v1
	v_subrev_co_ci_u32_e64 v6, s2, s7, v6, vcc_lo
	v_add_co_u32 v7, s2, v4, 2
	s_delay_alu instid0(VALU_DEP_1) | instskip(SKIP_3) | instid1(VALU_DEP_3)
	v_add_co_ci_u32_e64 v10, s2, 0, v5, s2
	v_sub_co_u32 v11, s2, v0, s6
	v_sub_co_ci_u32_e32 v1, vcc_lo, v8, v1, vcc_lo
	v_subrev_co_ci_u32_e64 v6, s2, 0, v6, s2
	v_cmp_le_u32_e32 vcc_lo, s6, v11
	s_delay_alu instid0(VALU_DEP_3) | instskip(SKIP_1) | instid1(VALU_DEP_4)
	v_cmp_eq_u32_e64 s2, s7, v1
	v_cndmask_b32_e64 v8, 0, -1, vcc_lo
	v_cmp_le_u32_e32 vcc_lo, s7, v6
	v_cndmask_b32_e64 v11, 0, -1, vcc_lo
	v_cmp_le_u32_e32 vcc_lo, s6, v0
	;; [unrolled: 2-line block ×3, first 2 shown]
	v_cndmask_b32_e64 v12, 0, -1, vcc_lo
	v_cmp_eq_u32_e32 vcc_lo, s7, v6
	s_delay_alu instid0(VALU_DEP_2) | instskip(SKIP_3) | instid1(VALU_DEP_3)
	v_cndmask_b32_e64 v0, v12, v0, s2
	v_cndmask_b32_e32 v6, v11, v8, vcc_lo
	v_add_co_u32 v8, vcc_lo, v4, 1
	v_add_co_ci_u32_e32 v11, vcc_lo, 0, v5, vcc_lo
	v_cmp_ne_u32_e32 vcc_lo, 0, v6
	s_delay_alu instid0(VALU_DEP_2) | instskip(SKIP_2) | instid1(VALU_DEP_3)
	v_dual_cndmask_b32 v1, v11, v10 :: v_dual_cndmask_b32 v6, v8, v7
	v_cmp_ne_u32_e32 vcc_lo, 0, v0
	v_xor_b32_e32 v0, s4, v9
	v_dual_cndmask_b32 v4, v4, v6 :: v_dual_cndmask_b32 v1, v5, v1
	s_delay_alu instid0(VALU_DEP_1) | instskip(NEXT) | instid1(VALU_DEP_2)
	v_xor_b32_e32 v4, v4, v0
	v_xor_b32_e32 v1, v1, v0
	s_delay_alu instid0(VALU_DEP_2) | instskip(NEXT) | instid1(VALU_DEP_2)
	v_sub_co_u32 v4, vcc_lo, v4, v0
	v_sub_co_ci_u32_e32 v5, vcc_lo, v1, v0, vcc_lo
.LBB42_3:
	s_or_saveexec_b32 s2, s3
	s_clause 0x1
	s_load_b256 s[4:11], s[0:1], 0x8
	s_load_b256 s[12:19], s[0:1], 0x60
	s_xor_b32 exec_lo, exec_lo, s2
	s_cbranch_execz .LBB42_5
; %bb.4:
	v_cvt_f32_u32_e32 v0, s22
	s_sub_i32 s3, 0, s22
	s_delay_alu instid0(VALU_DEP_1) | instskip(SKIP_2) | instid1(VALU_DEP_1)
	v_rcp_iflag_f32_e32 v0, v0
	s_waitcnt_depctr 0xfff
	v_mul_f32_e32 v0, 0x4f7ffffe, v0
	v_cvt_u32_f32_e32 v0, v0
	s_delay_alu instid0(VALU_DEP_1) | instskip(NEXT) | instid1(VALU_DEP_1)
	v_mul_lo_u32 v1, s3, v0
	v_mul_hi_u32 v1, v0, v1
	s_delay_alu instid0(VALU_DEP_1) | instskip(NEXT) | instid1(VALU_DEP_1)
	v_add_nc_u32_e32 v0, v0, v1
	v_mul_hi_u32 v0, v2, v0
	s_delay_alu instid0(VALU_DEP_1) | instskip(SKIP_1) | instid1(VALU_DEP_2)
	v_mul_lo_u32 v1, v0, s22
	v_add_nc_u32_e32 v4, 1, v0
	v_sub_nc_u32_e32 v1, v2, v1
	s_delay_alu instid0(VALU_DEP_1) | instskip(SKIP_1) | instid1(VALU_DEP_2)
	v_subrev_nc_u32_e32 v5, s22, v1
	v_cmp_le_u32_e32 vcc_lo, s22, v1
	v_cndmask_b32_e32 v1, v1, v5, vcc_lo
	v_dual_mov_b32 v5, 0 :: v_dual_cndmask_b32 v0, v0, v4
	s_delay_alu instid0(VALU_DEP_2) | instskip(NEXT) | instid1(VALU_DEP_2)
	v_cmp_le_u32_e32 vcc_lo, s22, v1
	v_add_nc_u32_e32 v4, 1, v0
	s_delay_alu instid0(VALU_DEP_1)
	v_cndmask_b32_e32 v4, v0, v4, vcc_lo
.LBB42_5:
	s_or_b32 exec_lo, exec_lo, s2
	v_or_b32_e32 v1, s29, v5
	v_mov_b32_e32 v0, 0
	s_delay_alu instid0(VALU_DEP_1) | instskip(SKIP_1) | instid1(SALU_CYCLE_1)
	v_cmp_ne_u64_e32 vcc_lo, 0, v[0:1]
                                        ; implicit-def: $vgpr0_vgpr1
	s_and_saveexec_b32 s2, vcc_lo
	s_xor_b32 s3, exec_lo, s2
	s_cbranch_execz .LBB42_7
; %bb.6:
	s_waitcnt lgkmcnt(0)
	s_ashr_i32 s18, s29, 31
	s_delay_alu instid0(SALU_CYCLE_1) | instskip(SKIP_2) | instid1(SALU_CYCLE_1)
	s_add_u32 s20, s28, s18
	s_mov_b32 s19, s18
	s_addc_u32 s21, s29, s18
	s_xor_b64 s[20:21], s[20:21], s[18:19]
	s_delay_alu instid0(SALU_CYCLE_1) | instskip(SKIP_3) | instid1(VALU_DEP_1)
	v_cvt_f32_u32_e32 v0, s20
	v_cvt_f32_u32_e32 v1, s21
	s_sub_u32 s2, 0, s20
	s_subb_u32 s19, 0, s21
	v_fmamk_f32 v0, v1, 0x4f800000, v0
	s_delay_alu instid0(VALU_DEP_1) | instskip(SKIP_2) | instid1(VALU_DEP_1)
	v_rcp_f32_e32 v0, v0
	s_waitcnt_depctr 0xfff
	v_mul_f32_e32 v0, 0x5f7ffffc, v0
	v_mul_f32_e32 v1, 0x2f800000, v0
	s_delay_alu instid0(VALU_DEP_1) | instskip(NEXT) | instid1(VALU_DEP_1)
	v_trunc_f32_e32 v1, v1
	v_fmamk_f32 v0, v1, 0xcf800000, v0
	v_cvt_u32_f32_e32 v1, v1
	s_delay_alu instid0(VALU_DEP_2) | instskip(NEXT) | instid1(VALU_DEP_2)
	v_cvt_u32_f32_e32 v0, v0
	v_mul_lo_u32 v6, s2, v1
	s_delay_alu instid0(VALU_DEP_2) | instskip(SKIP_1) | instid1(VALU_DEP_2)
	v_mul_hi_u32 v7, s2, v0
	v_mul_lo_u32 v8, s19, v0
	v_add_nc_u32_e32 v6, v7, v6
	v_mul_lo_u32 v7, s2, v0
	s_delay_alu instid0(VALU_DEP_2) | instskip(NEXT) | instid1(VALU_DEP_2)
	v_add_nc_u32_e32 v6, v6, v8
	v_mul_hi_u32 v8, v0, v7
	s_delay_alu instid0(VALU_DEP_2)
	v_mul_lo_u32 v9, v0, v6
	v_mul_hi_u32 v10, v0, v6
	v_mul_hi_u32 v11, v1, v7
	v_mul_lo_u32 v7, v1, v7
	v_mul_hi_u32 v12, v1, v6
	v_mul_lo_u32 v6, v1, v6
	v_add_co_u32 v8, vcc_lo, v8, v9
	v_add_co_ci_u32_e32 v9, vcc_lo, 0, v10, vcc_lo
	s_delay_alu instid0(VALU_DEP_2) | instskip(NEXT) | instid1(VALU_DEP_2)
	v_add_co_u32 v7, vcc_lo, v8, v7
	v_add_co_ci_u32_e32 v7, vcc_lo, v9, v11, vcc_lo
	v_add_co_ci_u32_e32 v8, vcc_lo, 0, v12, vcc_lo
	v_ashrrev_i32_e32 v11, 31, v5
	s_delay_alu instid0(VALU_DEP_3) | instskip(NEXT) | instid1(VALU_DEP_3)
	v_add_co_u32 v6, vcc_lo, v7, v6
	v_add_co_ci_u32_e32 v7, vcc_lo, 0, v8, vcc_lo
	s_delay_alu instid0(VALU_DEP_2) | instskip(NEXT) | instid1(VALU_DEP_2)
	v_add_co_u32 v0, vcc_lo, v0, v6
	v_add_co_ci_u32_e32 v1, vcc_lo, v1, v7, vcc_lo
	s_delay_alu instid0(VALU_DEP_2) | instskip(SKIP_1) | instid1(VALU_DEP_3)
	v_mul_hi_u32 v6, s2, v0
	v_mul_lo_u32 v8, s19, v0
	v_mul_lo_u32 v7, s2, v1
	s_delay_alu instid0(VALU_DEP_1) | instskip(SKIP_1) | instid1(VALU_DEP_2)
	v_add_nc_u32_e32 v6, v6, v7
	v_mul_lo_u32 v7, s2, v0
	v_add_nc_u32_e32 v6, v6, v8
	s_delay_alu instid0(VALU_DEP_2) | instskip(NEXT) | instid1(VALU_DEP_2)
	v_mul_hi_u32 v8, v0, v7
	v_mul_lo_u32 v9, v0, v6
	v_mul_hi_u32 v10, v0, v6
	v_mul_hi_u32 v12, v1, v7
	v_mul_lo_u32 v7, v1, v7
	v_mul_hi_u32 v13, v1, v6
	v_mul_lo_u32 v6, v1, v6
	v_add_co_u32 v8, vcc_lo, v8, v9
	v_add_co_ci_u32_e32 v9, vcc_lo, 0, v10, vcc_lo
	s_delay_alu instid0(VALU_DEP_2) | instskip(NEXT) | instid1(VALU_DEP_2)
	v_add_co_u32 v7, vcc_lo, v8, v7
	v_add_co_ci_u32_e32 v7, vcc_lo, v9, v12, vcc_lo
	v_add_co_ci_u32_e32 v8, vcc_lo, 0, v13, vcc_lo
	v_add_co_u32 v9, vcc_lo, v4, v11
	v_add_co_ci_u32_e32 v10, vcc_lo, v5, v11, vcc_lo
	s_delay_alu instid0(VALU_DEP_4) | instskip(NEXT) | instid1(VALU_DEP_4)
	v_add_co_u32 v6, vcc_lo, v7, v6
	v_add_co_ci_u32_e32 v7, vcc_lo, 0, v8, vcc_lo
	s_delay_alu instid0(VALU_DEP_4) | instskip(NEXT) | instid1(VALU_DEP_3)
	v_xor_b32_e32 v12, v9, v11
	v_add_co_u32 v8, vcc_lo, v0, v6
	s_delay_alu instid0(VALU_DEP_3) | instskip(SKIP_1) | instid1(VALU_DEP_3)
	v_add_co_ci_u32_e32 v13, vcc_lo, v1, v7, vcc_lo
	v_xor_b32_e32 v10, v10, v11
	v_mul_hi_u32 v14, v12, v8
	s_delay_alu instid0(VALU_DEP_3) | instskip(NEXT) | instid1(VALU_DEP_3)
	v_mad_u64_u32 v[0:1], null, v12, v13, 0
	v_mad_u64_u32 v[6:7], null, v10, v8, 0
	v_mad_u64_u32 v[8:9], null, v10, v13, 0
	s_delay_alu instid0(VALU_DEP_3) | instskip(NEXT) | instid1(VALU_DEP_4)
	v_add_co_u32 v0, vcc_lo, v14, v0
	v_add_co_ci_u32_e32 v1, vcc_lo, 0, v1, vcc_lo
	s_delay_alu instid0(VALU_DEP_2) | instskip(NEXT) | instid1(VALU_DEP_2)
	v_add_co_u32 v0, vcc_lo, v0, v6
	v_add_co_ci_u32_e32 v0, vcc_lo, v1, v7, vcc_lo
	v_add_co_ci_u32_e32 v1, vcc_lo, 0, v9, vcc_lo
	s_delay_alu instid0(VALU_DEP_2) | instskip(NEXT) | instid1(VALU_DEP_2)
	v_add_co_u32 v6, vcc_lo, v0, v8
	v_add_co_ci_u32_e32 v7, vcc_lo, 0, v1, vcc_lo
	s_delay_alu instid0(VALU_DEP_2) | instskip(SKIP_1) | instid1(VALU_DEP_3)
	v_mul_lo_u32 v8, s21, v6
	v_mad_u64_u32 v[0:1], null, s20, v6, 0
	v_mul_lo_u32 v9, s20, v7
	s_delay_alu instid0(VALU_DEP_2) | instskip(NEXT) | instid1(VALU_DEP_2)
	v_sub_co_u32 v0, vcc_lo, v12, v0
	v_add3_u32 v1, v1, v9, v8
	s_delay_alu instid0(VALU_DEP_1) | instskip(NEXT) | instid1(VALU_DEP_1)
	v_sub_nc_u32_e32 v8, v10, v1
	v_subrev_co_ci_u32_e64 v8, s2, s21, v8, vcc_lo
	v_add_co_u32 v9, s2, v6, 2
	s_delay_alu instid0(VALU_DEP_1) | instskip(SKIP_3) | instid1(VALU_DEP_3)
	v_add_co_ci_u32_e64 v12, s2, 0, v7, s2
	v_sub_co_u32 v13, s2, v0, s20
	v_sub_co_ci_u32_e32 v1, vcc_lo, v10, v1, vcc_lo
	v_subrev_co_ci_u32_e64 v8, s2, 0, v8, s2
	v_cmp_le_u32_e32 vcc_lo, s20, v13
	s_delay_alu instid0(VALU_DEP_3) | instskip(SKIP_1) | instid1(VALU_DEP_4)
	v_cmp_eq_u32_e64 s2, s21, v1
	v_cndmask_b32_e64 v10, 0, -1, vcc_lo
	v_cmp_le_u32_e32 vcc_lo, s21, v8
	v_cndmask_b32_e64 v13, 0, -1, vcc_lo
	v_cmp_le_u32_e32 vcc_lo, s20, v0
	;; [unrolled: 2-line block ×3, first 2 shown]
	v_cndmask_b32_e64 v14, 0, -1, vcc_lo
	v_cmp_eq_u32_e32 vcc_lo, s21, v8
	s_delay_alu instid0(VALU_DEP_2) | instskip(SKIP_3) | instid1(VALU_DEP_3)
	v_cndmask_b32_e64 v0, v14, v0, s2
	v_cndmask_b32_e32 v8, v13, v10, vcc_lo
	v_add_co_u32 v10, vcc_lo, v6, 1
	v_add_co_ci_u32_e32 v13, vcc_lo, 0, v7, vcc_lo
	v_cmp_ne_u32_e32 vcc_lo, 0, v8
	s_delay_alu instid0(VALU_DEP_2) | instskip(SKIP_2) | instid1(VALU_DEP_3)
	v_dual_cndmask_b32 v1, v13, v12 :: v_dual_cndmask_b32 v8, v10, v9
	v_cmp_ne_u32_e32 vcc_lo, 0, v0
	v_xor_b32_e32 v9, s18, v11
	v_dual_cndmask_b32 v0, v7, v1 :: v_dual_cndmask_b32 v1, v6, v8
	s_delay_alu instid0(VALU_DEP_1) | instskip(NEXT) | instid1(VALU_DEP_2)
	v_xor_b32_e32 v6, v0, v9
	v_xor_b32_e32 v1, v1, v9
	s_delay_alu instid0(VALU_DEP_1) | instskip(NEXT) | instid1(VALU_DEP_3)
	v_sub_co_u32 v0, vcc_lo, v1, v9
	v_sub_co_ci_u32_e32 v1, vcc_lo, v6, v9, vcc_lo
.LBB42_7:
	s_and_not1_saveexec_b32 s2, s3
	s_cbranch_execz .LBB42_9
; %bb.8:
	v_cvt_f32_u32_e32 v0, s28
	s_sub_i32 s3, 0, s28
	s_delay_alu instid0(VALU_DEP_1) | instskip(SKIP_2) | instid1(VALU_DEP_1)
	v_rcp_iflag_f32_e32 v0, v0
	s_waitcnt_depctr 0xfff
	v_mul_f32_e32 v0, 0x4f7ffffe, v0
	v_cvt_u32_f32_e32 v0, v0
	s_delay_alu instid0(VALU_DEP_1) | instskip(NEXT) | instid1(VALU_DEP_1)
	v_mul_lo_u32 v1, s3, v0
	v_mul_hi_u32 v1, v0, v1
	s_delay_alu instid0(VALU_DEP_1) | instskip(NEXT) | instid1(VALU_DEP_1)
	v_add_nc_u32_e32 v0, v0, v1
	v_mul_hi_u32 v0, v4, v0
	s_delay_alu instid0(VALU_DEP_1) | instskip(SKIP_1) | instid1(VALU_DEP_2)
	v_mul_lo_u32 v1, v0, s28
	v_add_nc_u32_e32 v6, 1, v0
	v_sub_nc_u32_e32 v1, v4, v1
	s_delay_alu instid0(VALU_DEP_1) | instskip(SKIP_1) | instid1(VALU_DEP_2)
	v_subrev_nc_u32_e32 v7, s28, v1
	v_cmp_le_u32_e32 vcc_lo, s28, v1
	v_dual_cndmask_b32 v1, v1, v7 :: v_dual_cndmask_b32 v0, v0, v6
	s_delay_alu instid0(VALU_DEP_1) | instskip(NEXT) | instid1(VALU_DEP_2)
	v_cmp_le_u32_e32 vcc_lo, s28, v1
	v_dual_mov_b32 v1, 0 :: v_dual_add_nc_u32 v6, 1, v0
	s_delay_alu instid0(VALU_DEP_1)
	v_cndmask_b32_e32 v0, v0, v6, vcc_lo
.LBB42_9:
	s_or_b32 exec_lo, exec_lo, s2
	s_add_u32 s2, s28, 1
	s_waitcnt lgkmcnt(0)
	s_addc_u32 s18, s29, 0
	s_mul_i32 s3, s2, s17
	s_mul_hi_u32 s17, s2, s16
	s_mul_i32 s18, s18, s16
	s_add_i32 s3, s17, s3
	s_mul_i32 s2, s2, s16
	s_add_i32 s3, s3, s18
	v_mul_lo_u32 v6, v1, s28
	v_mul_lo_u32 v7, v0, s29
	v_mad_u64_u32 v[10:11], null, v0, s28, 0
	v_mul_lo_u32 v12, s3, v0
	v_mul_lo_u32 v13, s2, v1
	v_mad_u64_u32 v[8:9], null, s2, v0, 0
	v_mul_lo_u32 v16, v4, s23
	v_add3_u32 v11, v11, v7, v6
	v_sub_co_u32 v6, vcc_lo, v4, v10
	s_delay_alu instid0(VALU_DEP_4) | instskip(NEXT) | instid1(VALU_DEP_3)
	v_add3_u32 v9, v9, v13, v12
	v_sub_co_ci_u32_e32 v7, vcc_lo, v5, v11, vcc_lo
	v_mul_lo_u32 v5, v5, s22
	s_delay_alu instid0(VALU_DEP_3) | instskip(NEXT) | instid1(VALU_DEP_3)
	v_lshlrev_b64 v[8:9], 2, v[8:9]
	v_lshlrev_b64 v[12:13], 2, v[6:7]
	s_delay_alu instid0(VALU_DEP_2) | instskip(NEXT) | instid1(VALU_DEP_3)
	v_add_co_u32 v8, vcc_lo, s10, v8
	v_add_co_ci_u32_e32 v9, vcc_lo, s11, v9, vcc_lo
	s_mov_b32 s10, exec_lo
	s_delay_alu instid0(VALU_DEP_2) | instskip(NEXT) | instid1(VALU_DEP_2)
	v_add_co_u32 v8, vcc_lo, v8, v12
	v_add_co_ci_u32_e32 v9, vcc_lo, v9, v13, vcc_lo
	global_load_b64 v[14:15], v[8:9], off
	s_clause 0x1
	s_load_b64 s[2:3], s[0:1], 0x38
	s_load_b32 s1, s[0:1], 0x0
	v_mad_u64_u32 v[8:9], null, v4, s22, 0
	s_delay_alu instid0(VALU_DEP_1)
	v_add3_u32 v9, v9, v16, v5
	s_waitcnt lgkmcnt(0)
	v_mov_b32_e32 v16, s3
	s_waitcnt vmcnt(0)
	v_cmpx_lt_i32_e64 v14, v15
	s_cbranch_execz .LBB42_28
; %bb.10:
	v_mul_lo_u32 v18, v1, s26
	v_mul_lo_u32 v19, v0, s27
	v_mad_u64_u32 v[4:5], null, v0, s26, 0
	v_ashrrev_i32_e32 v17, 31, v14
	v_mov_b32_e32 v16, v14
	s_cmp_lg_u32 s1, 0
	s_cselect_b32 s11, -1, 0
	s_and_b32 s0, s1, -3
	s_delay_alu instid0(VALU_DEP_3) | instskip(SKIP_3) | instid1(VALU_DEP_2)
	v_add3_u32 v5, v5, v19, v18
	v_lshlrev_b64 v[16:17], 2, v[16:17]
	s_cmp_lg_u32 s0, 1
	s_cselect_b32 s16, -1, 0
	v_lshlrev_b64 v[4:5], 2, v[4:5]
	s_delay_alu instid0(VALU_DEP_1) | instskip(NEXT) | instid1(VALU_DEP_2)
	v_add_co_u32 v18, vcc_lo, v4, v16
	v_add_co_ci_u32_e32 v16, vcc_lo, v5, v17, vcc_lo
	v_lshlrev_b64 v[4:5], 2, v[2:3]
	s_delay_alu instid0(VALU_DEP_3) | instskip(NEXT) | instid1(VALU_DEP_3)
	v_mul_lo_u32 v20, s25, v18
	v_mul_lo_u32 v19, s24, v16
	s_delay_alu instid0(VALU_DEP_3) | instskip(SKIP_1) | instid1(VALU_DEP_2)
	v_mad_u64_u32 v[16:17], null, s24, v18, v[4:5]
	v_lshlrev_b64 v[4:5], 2, v[8:9]
	v_add3_u32 v17, v20, v17, v19
	s_delay_alu instid0(VALU_DEP_2) | instskip(NEXT) | instid1(VALU_DEP_2)
	v_sub_co_u32 v4, vcc_lo, v16, v4
	v_sub_co_ci_u32_e32 v5, vcc_lo, v17, v5, vcc_lo
	v_mov_b32_e32 v17, s3
	s_delay_alu instid0(VALU_DEP_3) | instskip(NEXT) | instid1(VALU_DEP_3)
	v_add_co_u32 v4, vcc_lo, s6, v4
	v_add_co_ci_u32_e32 v5, vcc_lo, s7, v5, vcc_lo
	s_mov_b32 s3, 0
	s_lshl_b64 s[6:7], s[24:25], 2
	s_branch .LBB42_12
.LBB42_11:                              ;   in Loop: Header=BB42_12 Depth=1
	s_delay_alu instid0(VALU_DEP_1) | instskip(SKIP_1) | instid1(VALU_DEP_1)
	v_dual_mov_b32 v17, v16 :: v_dual_add_nc_u32 v14, 1, v14
	v_add_co_u32 v4, s0, v4, s6
	v_add_co_ci_u32_e64 v5, s0, s7, v5, s0
	s_delay_alu instid0(VALU_DEP_3) | instskip(SKIP_1) | instid1(SALU_CYCLE_1)
	v_cmp_ge_i32_e32 vcc_lo, v14, v15
	s_or_b32 s3, vcc_lo, s3
	s_and_not1_b32 exec_lo, exec_lo, s3
	s_cbranch_execz .LBB42_27
.LBB42_12:                              ; =>This Inner Loop Header: Depth=1
	global_load_b32 v18, v[4:5], off
	s_and_b32 vcc_lo, exec_lo, s11
	s_cbranch_vccz .LBB42_18
; %bb.13:                               ;   in Loop: Header=BB42_12 Depth=1
	s_and_b32 vcc_lo, exec_lo, s16
	s_cbranch_vccz .LBB42_19
; %bb.14:                               ;   in Loop: Header=BB42_12 Depth=1
	s_cmp_lt_i32 s1, 4
	s_cbranch_scc1 .LBB42_20
; %bb.15:                               ;   in Loop: Header=BB42_12 Depth=1
	v_mov_b32_e32 v16, v17
	s_cmp_eq_u32 s1, 4
	s_cbranch_scc0 .LBB42_17
; %bb.16:                               ;   in Loop: Header=BB42_12 Depth=1
	s_waitcnt vmcnt(0)
	v_mul_f32_e32 v16, v18, v17
.LBB42_17:                              ;   in Loop: Header=BB42_12 Depth=1
	s_cbranch_execz .LBB42_21
	s_branch .LBB42_23
.LBB42_18:                              ;   in Loop: Header=BB42_12 Depth=1
                                        ; implicit-def: $vgpr16
	s_branch .LBB42_26
.LBB42_19:                              ;   in Loop: Header=BB42_12 Depth=1
                                        ; implicit-def: $vgpr16
	s_cbranch_execnz .LBB42_24
	s_branch .LBB42_25
.LBB42_20:                              ;   in Loop: Header=BB42_12 Depth=1
                                        ; implicit-def: $vgpr16
.LBB42_21:                              ;   in Loop: Header=BB42_12 Depth=1
	v_mov_b32_e32 v16, v17
	s_cmp_lg_u32 s1, 2
	s_cbranch_scc1 .LBB42_23
; %bb.22:                               ;   in Loop: Header=BB42_12 Depth=1
	s_waitcnt vmcnt(0)
	v_cmp_u_f32_e32 vcc_lo, v18, v18
	v_cmp_lt_f32_e64 s0, v18, v17
	s_delay_alu instid0(VALU_DEP_1)
	s_or_b32 vcc_lo, vcc_lo, s0
	v_cndmask_b32_e32 v16, v17, v18, vcc_lo
.LBB42_23:                              ;   in Loop: Header=BB42_12 Depth=1
	s_branch .LBB42_25
.LBB42_24:                              ;   in Loop: Header=BB42_12 Depth=1
	s_waitcnt vmcnt(0)
	v_add_f32_e32 v16, v18, v17
.LBB42_25:                              ;   in Loop: Header=BB42_12 Depth=1
	s_cbranch_execnz .LBB42_11
.LBB42_26:                              ;   in Loop: Header=BB42_12 Depth=1
	s_waitcnt vmcnt(0)
	v_cmp_u_f32_e32 vcc_lo, v18, v18
	v_cmp_lt_f32_e64 s0, v17, v18
	s_delay_alu instid0(VALU_DEP_1)
	s_or_b32 vcc_lo, vcc_lo, s0
	v_cndmask_b32_e32 v16, v17, v18, vcc_lo
	s_branch .LBB42_11
.LBB42_27:
	s_or_b32 exec_lo, exec_lo, s3
.LBB42_28:
	s_delay_alu instid0(SALU_CYCLE_1) | instskip(SKIP_4) | instid1(VALU_DEP_1)
	s_or_b32 exec_lo, exec_lo, s10
	v_mul_lo_u32 v11, v11, s30
	v_mul_lo_u32 v14, v10, s31
	v_mad_u64_u32 v[4:5], null, v10, s30, 0
	s_mov_b32 s0, exec_lo
	v_add3_u32 v5, v5, v14, v11
	s_delay_alu instid0(VALU_DEP_1) | instskip(NEXT) | instid1(VALU_DEP_1)
	v_lshlrev_b64 v[4:5], 2, v[4:5]
	v_add_co_u32 v4, vcc_lo, s8, v4
	s_delay_alu instid0(VALU_DEP_2) | instskip(NEXT) | instid1(VALU_DEP_2)
	v_add_co_ci_u32_e32 v5, vcc_lo, s9, v5, vcc_lo
	v_add_co_u32 v4, vcc_lo, v4, v12
	s_delay_alu instid0(VALU_DEP_2)
	v_add_co_ci_u32_e32 v5, vcc_lo, v5, v13, vcc_lo
	global_load_b32 v5, v[4:5], off
	s_waitcnt vmcnt(0)
	v_cmpx_lt_i32_e32 -1, v5
	s_xor_b32 s3, exec_lo, s0
	s_cbranch_execz .LBB42_34
; %bb.29:
	s_bitcmp1_b32 s2, 0
	v_cmp_ne_u32_e32 vcc_lo, 0, v5
	s_cselect_b32 s0, -1, 0
	s_cmp_lg_u32 s1, 1
	v_mov_b32_e32 v4, 0x7fc00000
	s_cselect_b32 s2, -1, 0
	s_delay_alu instid0(SALU_CYCLE_1) | instskip(NEXT) | instid1(SALU_CYCLE_1)
	s_or_b32 s0, s2, s0
	s_or_b32 s0, s0, vcc_lo
	s_delay_alu instid0(SALU_CYCLE_1)
	s_and_saveexec_b32 s2, s0
	s_cbranch_execz .LBB42_33
; %bb.30:
	s_cmp_eq_u32 s1, 1
	v_cmp_o_f32_e64 s0, v16, v16
	s_cselect_b32 s1, -1, 0
	s_delay_alu instid0(SALU_CYCLE_1)
	s_and_b32 s1, s1, vcc_lo
	s_delay_alu instid0(VALU_DEP_1) | instid1(SALU_CYCLE_1)
	s_and_b32 s1, s1, s0
	s_delay_alu instid0(SALU_CYCLE_1)
	s_and_saveexec_b32 s0, s1
	s_cbranch_execz .LBB42_32
; %bb.31:
	v_cvt_f32_u32_e32 v4, v5
	s_delay_alu instid0(VALU_DEP_1) | instskip(NEXT) | instid1(VALU_DEP_1)
	v_div_scale_f32 v5, null, v4, v4, v16
	v_rcp_f32_e32 v10, v5
	s_waitcnt_depctr 0xfff
	v_fma_f32 v11, -v5, v10, 1.0
	s_delay_alu instid0(VALU_DEP_1) | instskip(SKIP_1) | instid1(VALU_DEP_1)
	v_fmac_f32_e32 v10, v11, v10
	v_div_scale_f32 v11, vcc_lo, v16, v4, v16
	v_mul_f32_e32 v12, v11, v10
	s_delay_alu instid0(VALU_DEP_1) | instskip(NEXT) | instid1(VALU_DEP_1)
	v_fma_f32 v13, -v5, v12, v11
	v_fmac_f32_e32 v12, v13, v10
	s_delay_alu instid0(VALU_DEP_1) | instskip(NEXT) | instid1(VALU_DEP_1)
	v_fma_f32 v5, -v5, v12, v11
	v_div_fmas_f32 v5, v5, v10, v12
	s_delay_alu instid0(VALU_DEP_1)
	v_div_fixup_f32 v16, v5, v4, v16
.LBB42_32:
	s_or_b32 exec_lo, exec_lo, s0
	s_delay_alu instid0(VALU_DEP_1)
	v_mov_b32_e32 v4, v16
.LBB42_33:
	s_or_b32 exec_lo, exec_lo, s2
	s_mul_i32 s0, s14, s13
	s_mul_hi_u32 s1, s14, s12
	s_mul_i32 s2, s15, s12
	s_add_i32 s0, s1, s0
	s_mul_i32 s1, s14, s12
	s_add_i32 s0, s0, s2
	v_mul_lo_u32 v12, s1, v1
	v_mul_lo_u32 v5, s0, v0
	v_mad_u64_u32 v[10:11], null, s1, v0, 0
	v_mul_lo_u32 v7, v7, s12
	v_mul_lo_u32 v13, v6, s13
	v_mad_u64_u32 v[0:1], null, v6, s12, 0
	v_sub_co_u32 v2, vcc_lo, v2, v8
	v_add3_u32 v11, v11, v12, v5
	v_sub_co_ci_u32_e32 v3, vcc_lo, v3, v9, vcc_lo
	s_delay_alu instid0(VALU_DEP_4) | instskip(NEXT) | instid1(VALU_DEP_3)
	v_add3_u32 v1, v1, v13, v7
	v_lshlrev_b64 v[5:6], 2, v[10:11]
	s_delay_alu instid0(VALU_DEP_3) | instskip(NEXT) | instid1(VALU_DEP_3)
	v_lshlrev_b64 v[2:3], 2, v[2:3]
	v_lshlrev_b64 v[0:1], 2, v[0:1]
	s_delay_alu instid0(VALU_DEP_3) | instskip(NEXT) | instid1(VALU_DEP_4)
	v_add_co_u32 v5, vcc_lo, s4, v5
	v_add_co_ci_u32_e32 v6, vcc_lo, s5, v6, vcc_lo
	s_delay_alu instid0(VALU_DEP_2) | instskip(NEXT) | instid1(VALU_DEP_2)
	v_add_co_u32 v0, vcc_lo, v5, v0
	v_add_co_ci_u32_e32 v1, vcc_lo, v6, v1, vcc_lo
	s_delay_alu instid0(VALU_DEP_2) | instskip(NEXT) | instid1(VALU_DEP_2)
	v_add_co_u32 v0, vcc_lo, v0, v2
	v_add_co_ci_u32_e32 v1, vcc_lo, v1, v3, vcc_lo
	global_store_b32 v[0:1], v4, off
.LBB42_34:
	s_and_not1_saveexec_b32 s0, s3
	s_cbranch_execnz .LBB42_36
.LBB42_35:
	s_nop 0
	s_sendmsg sendmsg(MSG_DEALLOC_VGPRS)
	s_endpgm
.LBB42_36:
	s_cbranch_execnz .LBB42_38
; %bb.37:
	; divergent unreachable
	s_nop 0
	s_sendmsg sendmsg(MSG_DEALLOC_VGPRS)
	s_endpgm
.LBB42_38:
	s_trap 2
	s_sendmsg_rtn_b32 s0, sendmsg(MSG_RTN_GET_DOORBELL)
	s_mov_b32 ttmp2, m0
	s_waitcnt lgkmcnt(0)
	s_and_b32 s0, s0, 0x3ff
	s_delay_alu instid0(SALU_CYCLE_1) | instskip(NEXT) | instid1(SALU_CYCLE_1)
	s_bitset1_b32 s0, 10
	s_mov_b32 m0, s0
	s_sendmsg sendmsg(MSG_INTERRUPT)
	s_mov_b32 m0, ttmp2
.LBB42_39:                              ; =>This Inner Loop Header: Depth=1
	s_sethalt 5
	s_branch .LBB42_39
	.section	.rodata,"a",@progbits
	.p2align	6, 0x0
	.amdhsa_kernel _ZN2at6native12_GLOBAL__N_129segment_reduce_forward_kernelIfiEEvNS0_13ReductionTypeEPT_PKS4_PKT0_SA_llbS4_lllllll
		.amdhsa_group_segment_fixed_size 0
		.amdhsa_private_segment_fixed_size 0
		.amdhsa_kernarg_size 376
		.amdhsa_user_sgpr_count 15
		.amdhsa_user_sgpr_dispatch_ptr 0
		.amdhsa_user_sgpr_queue_ptr 0
		.amdhsa_user_sgpr_kernarg_segment_ptr 1
		.amdhsa_user_sgpr_dispatch_id 0
		.amdhsa_user_sgpr_private_segment_size 0
		.amdhsa_wavefront_size32 1
		.amdhsa_uses_dynamic_stack 0
		.amdhsa_enable_private_segment 0
		.amdhsa_system_sgpr_workgroup_id_x 1
		.amdhsa_system_sgpr_workgroup_id_y 0
		.amdhsa_system_sgpr_workgroup_id_z 0
		.amdhsa_system_sgpr_workgroup_info 0
		.amdhsa_system_vgpr_workitem_id 0
		.amdhsa_next_free_vgpr 21
		.amdhsa_next_free_sgpr 32
		.amdhsa_reserve_vcc 1
		.amdhsa_float_round_mode_32 0
		.amdhsa_float_round_mode_16_64 0
		.amdhsa_float_denorm_mode_32 3
		.amdhsa_float_denorm_mode_16_64 3
		.amdhsa_dx10_clamp 1
		.amdhsa_ieee_mode 1
		.amdhsa_fp16_overflow 0
		.amdhsa_workgroup_processor_mode 1
		.amdhsa_memory_ordered 1
		.amdhsa_forward_progress 0
		.amdhsa_shared_vgpr_count 0
		.amdhsa_exception_fp_ieee_invalid_op 0
		.amdhsa_exception_fp_denorm_src 0
		.amdhsa_exception_fp_ieee_div_zero 0
		.amdhsa_exception_fp_ieee_overflow 0
		.amdhsa_exception_fp_ieee_underflow 0
		.amdhsa_exception_fp_ieee_inexact 0
		.amdhsa_exception_int_div_zero 0
	.end_amdhsa_kernel
	.section	.text._ZN2at6native12_GLOBAL__N_129segment_reduce_forward_kernelIfiEEvNS0_13ReductionTypeEPT_PKS4_PKT0_SA_llbS4_lllllll,"axG",@progbits,_ZN2at6native12_GLOBAL__N_129segment_reduce_forward_kernelIfiEEvNS0_13ReductionTypeEPT_PKS4_PKT0_SA_llbS4_lllllll,comdat
.Lfunc_end42:
	.size	_ZN2at6native12_GLOBAL__N_129segment_reduce_forward_kernelIfiEEvNS0_13ReductionTypeEPT_PKS4_PKT0_SA_llbS4_lllllll, .Lfunc_end42-_ZN2at6native12_GLOBAL__N_129segment_reduce_forward_kernelIfiEEvNS0_13ReductionTypeEPT_PKS4_PKT0_SA_llbS4_lllllll
                                        ; -- End function
	.section	.AMDGPU.csdata,"",@progbits
; Kernel info:
; codeLenInByte = 3412
; NumSgprs: 34
; NumVgprs: 21
; ScratchSize: 0
; MemoryBound: 0
; FloatMode: 240
; IeeeMode: 1
; LDSByteSize: 0 bytes/workgroup (compile time only)
; SGPRBlocks: 4
; VGPRBlocks: 2
; NumSGPRsForWavesPerEU: 34
; NumVGPRsForWavesPerEU: 21
; Occupancy: 16
; WaveLimiterHint : 0
; COMPUTE_PGM_RSRC2:SCRATCH_EN: 0
; COMPUTE_PGM_RSRC2:USER_SGPR: 15
; COMPUTE_PGM_RSRC2:TRAP_HANDLER: 0
; COMPUTE_PGM_RSRC2:TGID_X_EN: 1
; COMPUTE_PGM_RSRC2:TGID_Y_EN: 0
; COMPUTE_PGM_RSRC2:TGID_Z_EN: 0
; COMPUTE_PGM_RSRC2:TIDIG_COMP_CNT: 0
	.section	.text._ZN7rocprim17ROCPRIM_400000_NS6detail17trampoline_kernelINS0_14default_configENS1_32segmented_reduce_config_selectorIfEEZNS1_21segmented_reduce_implIS3_PKfPfPKifN6hipcub16HIPCUB_304000_NS6detail27convert_result_type_wrapperIS8_S9_N2at6native12_GLOBAL__N_19CustomMaxEEEEE10hipError_tPvRmT0_T1_jT2_SQ_T4_T3_P12ihipStream_tbEUlT_E_NS1_11comp_targetILNS1_3genE0ELNS1_11target_archE4294967295ELNS1_3gpuE0ELNS1_3repE0EEENS1_30default_config_static_selectorELNS0_4arch9wavefront6targetE0EEEvSP_,"axG",@progbits,_ZN7rocprim17ROCPRIM_400000_NS6detail17trampoline_kernelINS0_14default_configENS1_32segmented_reduce_config_selectorIfEEZNS1_21segmented_reduce_implIS3_PKfPfPKifN6hipcub16HIPCUB_304000_NS6detail27convert_result_type_wrapperIS8_S9_N2at6native12_GLOBAL__N_19CustomMaxEEEEE10hipError_tPvRmT0_T1_jT2_SQ_T4_T3_P12ihipStream_tbEUlT_E_NS1_11comp_targetILNS1_3genE0ELNS1_11target_archE4294967295ELNS1_3gpuE0ELNS1_3repE0EEENS1_30default_config_static_selectorELNS0_4arch9wavefront6targetE0EEEvSP_,comdat
	.globl	_ZN7rocprim17ROCPRIM_400000_NS6detail17trampoline_kernelINS0_14default_configENS1_32segmented_reduce_config_selectorIfEEZNS1_21segmented_reduce_implIS3_PKfPfPKifN6hipcub16HIPCUB_304000_NS6detail27convert_result_type_wrapperIS8_S9_N2at6native12_GLOBAL__N_19CustomMaxEEEEE10hipError_tPvRmT0_T1_jT2_SQ_T4_T3_P12ihipStream_tbEUlT_E_NS1_11comp_targetILNS1_3genE0ELNS1_11target_archE4294967295ELNS1_3gpuE0ELNS1_3repE0EEENS1_30default_config_static_selectorELNS0_4arch9wavefront6targetE0EEEvSP_ ; -- Begin function _ZN7rocprim17ROCPRIM_400000_NS6detail17trampoline_kernelINS0_14default_configENS1_32segmented_reduce_config_selectorIfEEZNS1_21segmented_reduce_implIS3_PKfPfPKifN6hipcub16HIPCUB_304000_NS6detail27convert_result_type_wrapperIS8_S9_N2at6native12_GLOBAL__N_19CustomMaxEEEEE10hipError_tPvRmT0_T1_jT2_SQ_T4_T3_P12ihipStream_tbEUlT_E_NS1_11comp_targetILNS1_3genE0ELNS1_11target_archE4294967295ELNS1_3gpuE0ELNS1_3repE0EEENS1_30default_config_static_selectorELNS0_4arch9wavefront6targetE0EEEvSP_
	.p2align	8
	.type	_ZN7rocprim17ROCPRIM_400000_NS6detail17trampoline_kernelINS0_14default_configENS1_32segmented_reduce_config_selectorIfEEZNS1_21segmented_reduce_implIS3_PKfPfPKifN6hipcub16HIPCUB_304000_NS6detail27convert_result_type_wrapperIS8_S9_N2at6native12_GLOBAL__N_19CustomMaxEEEEE10hipError_tPvRmT0_T1_jT2_SQ_T4_T3_P12ihipStream_tbEUlT_E_NS1_11comp_targetILNS1_3genE0ELNS1_11target_archE4294967295ELNS1_3gpuE0ELNS1_3repE0EEENS1_30default_config_static_selectorELNS0_4arch9wavefront6targetE0EEEvSP_,@function
_ZN7rocprim17ROCPRIM_400000_NS6detail17trampoline_kernelINS0_14default_configENS1_32segmented_reduce_config_selectorIfEEZNS1_21segmented_reduce_implIS3_PKfPfPKifN6hipcub16HIPCUB_304000_NS6detail27convert_result_type_wrapperIS8_S9_N2at6native12_GLOBAL__N_19CustomMaxEEEEE10hipError_tPvRmT0_T1_jT2_SQ_T4_T3_P12ihipStream_tbEUlT_E_NS1_11comp_targetILNS1_3genE0ELNS1_11target_archE4294967295ELNS1_3gpuE0ELNS1_3repE0EEENS1_30default_config_static_selectorELNS0_4arch9wavefront6targetE0EEEvSP_: ; @_ZN7rocprim17ROCPRIM_400000_NS6detail17trampoline_kernelINS0_14default_configENS1_32segmented_reduce_config_selectorIfEEZNS1_21segmented_reduce_implIS3_PKfPfPKifN6hipcub16HIPCUB_304000_NS6detail27convert_result_type_wrapperIS8_S9_N2at6native12_GLOBAL__N_19CustomMaxEEEEE10hipError_tPvRmT0_T1_jT2_SQ_T4_T3_P12ihipStream_tbEUlT_E_NS1_11comp_targetILNS1_3genE0ELNS1_11target_archE4294967295ELNS1_3gpuE0ELNS1_3repE0EEENS1_30default_config_static_selectorELNS0_4arch9wavefront6targetE0EEEvSP_
; %bb.0:
	.section	.rodata,"a",@progbits
	.p2align	6, 0x0
	.amdhsa_kernel _ZN7rocprim17ROCPRIM_400000_NS6detail17trampoline_kernelINS0_14default_configENS1_32segmented_reduce_config_selectorIfEEZNS1_21segmented_reduce_implIS3_PKfPfPKifN6hipcub16HIPCUB_304000_NS6detail27convert_result_type_wrapperIS8_S9_N2at6native12_GLOBAL__N_19CustomMaxEEEEE10hipError_tPvRmT0_T1_jT2_SQ_T4_T3_P12ihipStream_tbEUlT_E_NS1_11comp_targetILNS1_3genE0ELNS1_11target_archE4294967295ELNS1_3gpuE0ELNS1_3repE0EEENS1_30default_config_static_selectorELNS0_4arch9wavefront6targetE0EEEvSP_
		.amdhsa_group_segment_fixed_size 0
		.amdhsa_private_segment_fixed_size 0
		.amdhsa_kernarg_size 48
		.amdhsa_user_sgpr_count 15
		.amdhsa_user_sgpr_dispatch_ptr 0
		.amdhsa_user_sgpr_queue_ptr 0
		.amdhsa_user_sgpr_kernarg_segment_ptr 1
		.amdhsa_user_sgpr_dispatch_id 0
		.amdhsa_user_sgpr_private_segment_size 0
		.amdhsa_wavefront_size32 1
		.amdhsa_uses_dynamic_stack 0
		.amdhsa_enable_private_segment 0
		.amdhsa_system_sgpr_workgroup_id_x 1
		.amdhsa_system_sgpr_workgroup_id_y 0
		.amdhsa_system_sgpr_workgroup_id_z 0
		.amdhsa_system_sgpr_workgroup_info 0
		.amdhsa_system_vgpr_workitem_id 0
		.amdhsa_next_free_vgpr 1
		.amdhsa_next_free_sgpr 1
		.amdhsa_reserve_vcc 0
		.amdhsa_float_round_mode_32 0
		.amdhsa_float_round_mode_16_64 0
		.amdhsa_float_denorm_mode_32 3
		.amdhsa_float_denorm_mode_16_64 3
		.amdhsa_dx10_clamp 1
		.amdhsa_ieee_mode 1
		.amdhsa_fp16_overflow 0
		.amdhsa_workgroup_processor_mode 1
		.amdhsa_memory_ordered 1
		.amdhsa_forward_progress 0
		.amdhsa_shared_vgpr_count 0
		.amdhsa_exception_fp_ieee_invalid_op 0
		.amdhsa_exception_fp_denorm_src 0
		.amdhsa_exception_fp_ieee_div_zero 0
		.amdhsa_exception_fp_ieee_overflow 0
		.amdhsa_exception_fp_ieee_underflow 0
		.amdhsa_exception_fp_ieee_inexact 0
		.amdhsa_exception_int_div_zero 0
	.end_amdhsa_kernel
	.section	.text._ZN7rocprim17ROCPRIM_400000_NS6detail17trampoline_kernelINS0_14default_configENS1_32segmented_reduce_config_selectorIfEEZNS1_21segmented_reduce_implIS3_PKfPfPKifN6hipcub16HIPCUB_304000_NS6detail27convert_result_type_wrapperIS8_S9_N2at6native12_GLOBAL__N_19CustomMaxEEEEE10hipError_tPvRmT0_T1_jT2_SQ_T4_T3_P12ihipStream_tbEUlT_E_NS1_11comp_targetILNS1_3genE0ELNS1_11target_archE4294967295ELNS1_3gpuE0ELNS1_3repE0EEENS1_30default_config_static_selectorELNS0_4arch9wavefront6targetE0EEEvSP_,"axG",@progbits,_ZN7rocprim17ROCPRIM_400000_NS6detail17trampoline_kernelINS0_14default_configENS1_32segmented_reduce_config_selectorIfEEZNS1_21segmented_reduce_implIS3_PKfPfPKifN6hipcub16HIPCUB_304000_NS6detail27convert_result_type_wrapperIS8_S9_N2at6native12_GLOBAL__N_19CustomMaxEEEEE10hipError_tPvRmT0_T1_jT2_SQ_T4_T3_P12ihipStream_tbEUlT_E_NS1_11comp_targetILNS1_3genE0ELNS1_11target_archE4294967295ELNS1_3gpuE0ELNS1_3repE0EEENS1_30default_config_static_selectorELNS0_4arch9wavefront6targetE0EEEvSP_,comdat
.Lfunc_end43:
	.size	_ZN7rocprim17ROCPRIM_400000_NS6detail17trampoline_kernelINS0_14default_configENS1_32segmented_reduce_config_selectorIfEEZNS1_21segmented_reduce_implIS3_PKfPfPKifN6hipcub16HIPCUB_304000_NS6detail27convert_result_type_wrapperIS8_S9_N2at6native12_GLOBAL__N_19CustomMaxEEEEE10hipError_tPvRmT0_T1_jT2_SQ_T4_T3_P12ihipStream_tbEUlT_E_NS1_11comp_targetILNS1_3genE0ELNS1_11target_archE4294967295ELNS1_3gpuE0ELNS1_3repE0EEENS1_30default_config_static_selectorELNS0_4arch9wavefront6targetE0EEEvSP_, .Lfunc_end43-_ZN7rocprim17ROCPRIM_400000_NS6detail17trampoline_kernelINS0_14default_configENS1_32segmented_reduce_config_selectorIfEEZNS1_21segmented_reduce_implIS3_PKfPfPKifN6hipcub16HIPCUB_304000_NS6detail27convert_result_type_wrapperIS8_S9_N2at6native12_GLOBAL__N_19CustomMaxEEEEE10hipError_tPvRmT0_T1_jT2_SQ_T4_T3_P12ihipStream_tbEUlT_E_NS1_11comp_targetILNS1_3genE0ELNS1_11target_archE4294967295ELNS1_3gpuE0ELNS1_3repE0EEENS1_30default_config_static_selectorELNS0_4arch9wavefront6targetE0EEEvSP_
                                        ; -- End function
	.section	.AMDGPU.csdata,"",@progbits
; Kernel info:
; codeLenInByte = 0
; NumSgprs: 0
; NumVgprs: 0
; ScratchSize: 0
; MemoryBound: 0
; FloatMode: 240
; IeeeMode: 1
; LDSByteSize: 0 bytes/workgroup (compile time only)
; SGPRBlocks: 0
; VGPRBlocks: 0
; NumSGPRsForWavesPerEU: 1
; NumVGPRsForWavesPerEU: 1
; Occupancy: 16
; WaveLimiterHint : 0
; COMPUTE_PGM_RSRC2:SCRATCH_EN: 0
; COMPUTE_PGM_RSRC2:USER_SGPR: 15
; COMPUTE_PGM_RSRC2:TRAP_HANDLER: 0
; COMPUTE_PGM_RSRC2:TGID_X_EN: 1
; COMPUTE_PGM_RSRC2:TGID_Y_EN: 0
; COMPUTE_PGM_RSRC2:TGID_Z_EN: 0
; COMPUTE_PGM_RSRC2:TIDIG_COMP_CNT: 0
	.section	.text._ZN7rocprim17ROCPRIM_400000_NS6detail17trampoline_kernelINS0_14default_configENS1_32segmented_reduce_config_selectorIfEEZNS1_21segmented_reduce_implIS3_PKfPfPKifN6hipcub16HIPCUB_304000_NS6detail27convert_result_type_wrapperIS8_S9_N2at6native12_GLOBAL__N_19CustomMaxEEEEE10hipError_tPvRmT0_T1_jT2_SQ_T4_T3_P12ihipStream_tbEUlT_E_NS1_11comp_targetILNS1_3genE5ELNS1_11target_archE942ELNS1_3gpuE9ELNS1_3repE0EEENS1_30default_config_static_selectorELNS0_4arch9wavefront6targetE0EEEvSP_,"axG",@progbits,_ZN7rocprim17ROCPRIM_400000_NS6detail17trampoline_kernelINS0_14default_configENS1_32segmented_reduce_config_selectorIfEEZNS1_21segmented_reduce_implIS3_PKfPfPKifN6hipcub16HIPCUB_304000_NS6detail27convert_result_type_wrapperIS8_S9_N2at6native12_GLOBAL__N_19CustomMaxEEEEE10hipError_tPvRmT0_T1_jT2_SQ_T4_T3_P12ihipStream_tbEUlT_E_NS1_11comp_targetILNS1_3genE5ELNS1_11target_archE942ELNS1_3gpuE9ELNS1_3repE0EEENS1_30default_config_static_selectorELNS0_4arch9wavefront6targetE0EEEvSP_,comdat
	.globl	_ZN7rocprim17ROCPRIM_400000_NS6detail17trampoline_kernelINS0_14default_configENS1_32segmented_reduce_config_selectorIfEEZNS1_21segmented_reduce_implIS3_PKfPfPKifN6hipcub16HIPCUB_304000_NS6detail27convert_result_type_wrapperIS8_S9_N2at6native12_GLOBAL__N_19CustomMaxEEEEE10hipError_tPvRmT0_T1_jT2_SQ_T4_T3_P12ihipStream_tbEUlT_E_NS1_11comp_targetILNS1_3genE5ELNS1_11target_archE942ELNS1_3gpuE9ELNS1_3repE0EEENS1_30default_config_static_selectorELNS0_4arch9wavefront6targetE0EEEvSP_ ; -- Begin function _ZN7rocprim17ROCPRIM_400000_NS6detail17trampoline_kernelINS0_14default_configENS1_32segmented_reduce_config_selectorIfEEZNS1_21segmented_reduce_implIS3_PKfPfPKifN6hipcub16HIPCUB_304000_NS6detail27convert_result_type_wrapperIS8_S9_N2at6native12_GLOBAL__N_19CustomMaxEEEEE10hipError_tPvRmT0_T1_jT2_SQ_T4_T3_P12ihipStream_tbEUlT_E_NS1_11comp_targetILNS1_3genE5ELNS1_11target_archE942ELNS1_3gpuE9ELNS1_3repE0EEENS1_30default_config_static_selectorELNS0_4arch9wavefront6targetE0EEEvSP_
	.p2align	8
	.type	_ZN7rocprim17ROCPRIM_400000_NS6detail17trampoline_kernelINS0_14default_configENS1_32segmented_reduce_config_selectorIfEEZNS1_21segmented_reduce_implIS3_PKfPfPKifN6hipcub16HIPCUB_304000_NS6detail27convert_result_type_wrapperIS8_S9_N2at6native12_GLOBAL__N_19CustomMaxEEEEE10hipError_tPvRmT0_T1_jT2_SQ_T4_T3_P12ihipStream_tbEUlT_E_NS1_11comp_targetILNS1_3genE5ELNS1_11target_archE942ELNS1_3gpuE9ELNS1_3repE0EEENS1_30default_config_static_selectorELNS0_4arch9wavefront6targetE0EEEvSP_,@function
_ZN7rocprim17ROCPRIM_400000_NS6detail17trampoline_kernelINS0_14default_configENS1_32segmented_reduce_config_selectorIfEEZNS1_21segmented_reduce_implIS3_PKfPfPKifN6hipcub16HIPCUB_304000_NS6detail27convert_result_type_wrapperIS8_S9_N2at6native12_GLOBAL__N_19CustomMaxEEEEE10hipError_tPvRmT0_T1_jT2_SQ_T4_T3_P12ihipStream_tbEUlT_E_NS1_11comp_targetILNS1_3genE5ELNS1_11target_archE942ELNS1_3gpuE9ELNS1_3repE0EEENS1_30default_config_static_selectorELNS0_4arch9wavefront6targetE0EEEvSP_: ; @_ZN7rocprim17ROCPRIM_400000_NS6detail17trampoline_kernelINS0_14default_configENS1_32segmented_reduce_config_selectorIfEEZNS1_21segmented_reduce_implIS3_PKfPfPKifN6hipcub16HIPCUB_304000_NS6detail27convert_result_type_wrapperIS8_S9_N2at6native12_GLOBAL__N_19CustomMaxEEEEE10hipError_tPvRmT0_T1_jT2_SQ_T4_T3_P12ihipStream_tbEUlT_E_NS1_11comp_targetILNS1_3genE5ELNS1_11target_archE942ELNS1_3gpuE9ELNS1_3repE0EEENS1_30default_config_static_selectorELNS0_4arch9wavefront6targetE0EEEvSP_
; %bb.0:
	.section	.rodata,"a",@progbits
	.p2align	6, 0x0
	.amdhsa_kernel _ZN7rocprim17ROCPRIM_400000_NS6detail17trampoline_kernelINS0_14default_configENS1_32segmented_reduce_config_selectorIfEEZNS1_21segmented_reduce_implIS3_PKfPfPKifN6hipcub16HIPCUB_304000_NS6detail27convert_result_type_wrapperIS8_S9_N2at6native12_GLOBAL__N_19CustomMaxEEEEE10hipError_tPvRmT0_T1_jT2_SQ_T4_T3_P12ihipStream_tbEUlT_E_NS1_11comp_targetILNS1_3genE5ELNS1_11target_archE942ELNS1_3gpuE9ELNS1_3repE0EEENS1_30default_config_static_selectorELNS0_4arch9wavefront6targetE0EEEvSP_
		.amdhsa_group_segment_fixed_size 0
		.amdhsa_private_segment_fixed_size 0
		.amdhsa_kernarg_size 48
		.amdhsa_user_sgpr_count 15
		.amdhsa_user_sgpr_dispatch_ptr 0
		.amdhsa_user_sgpr_queue_ptr 0
		.amdhsa_user_sgpr_kernarg_segment_ptr 1
		.amdhsa_user_sgpr_dispatch_id 0
		.amdhsa_user_sgpr_private_segment_size 0
		.amdhsa_wavefront_size32 1
		.amdhsa_uses_dynamic_stack 0
		.amdhsa_enable_private_segment 0
		.amdhsa_system_sgpr_workgroup_id_x 1
		.amdhsa_system_sgpr_workgroup_id_y 0
		.amdhsa_system_sgpr_workgroup_id_z 0
		.amdhsa_system_sgpr_workgroup_info 0
		.amdhsa_system_vgpr_workitem_id 0
		.amdhsa_next_free_vgpr 1
		.amdhsa_next_free_sgpr 1
		.amdhsa_reserve_vcc 0
		.amdhsa_float_round_mode_32 0
		.amdhsa_float_round_mode_16_64 0
		.amdhsa_float_denorm_mode_32 3
		.amdhsa_float_denorm_mode_16_64 3
		.amdhsa_dx10_clamp 1
		.amdhsa_ieee_mode 1
		.amdhsa_fp16_overflow 0
		.amdhsa_workgroup_processor_mode 1
		.amdhsa_memory_ordered 1
		.amdhsa_forward_progress 0
		.amdhsa_shared_vgpr_count 0
		.amdhsa_exception_fp_ieee_invalid_op 0
		.amdhsa_exception_fp_denorm_src 0
		.amdhsa_exception_fp_ieee_div_zero 0
		.amdhsa_exception_fp_ieee_overflow 0
		.amdhsa_exception_fp_ieee_underflow 0
		.amdhsa_exception_fp_ieee_inexact 0
		.amdhsa_exception_int_div_zero 0
	.end_amdhsa_kernel
	.section	.text._ZN7rocprim17ROCPRIM_400000_NS6detail17trampoline_kernelINS0_14default_configENS1_32segmented_reduce_config_selectorIfEEZNS1_21segmented_reduce_implIS3_PKfPfPKifN6hipcub16HIPCUB_304000_NS6detail27convert_result_type_wrapperIS8_S9_N2at6native12_GLOBAL__N_19CustomMaxEEEEE10hipError_tPvRmT0_T1_jT2_SQ_T4_T3_P12ihipStream_tbEUlT_E_NS1_11comp_targetILNS1_3genE5ELNS1_11target_archE942ELNS1_3gpuE9ELNS1_3repE0EEENS1_30default_config_static_selectorELNS0_4arch9wavefront6targetE0EEEvSP_,"axG",@progbits,_ZN7rocprim17ROCPRIM_400000_NS6detail17trampoline_kernelINS0_14default_configENS1_32segmented_reduce_config_selectorIfEEZNS1_21segmented_reduce_implIS3_PKfPfPKifN6hipcub16HIPCUB_304000_NS6detail27convert_result_type_wrapperIS8_S9_N2at6native12_GLOBAL__N_19CustomMaxEEEEE10hipError_tPvRmT0_T1_jT2_SQ_T4_T3_P12ihipStream_tbEUlT_E_NS1_11comp_targetILNS1_3genE5ELNS1_11target_archE942ELNS1_3gpuE9ELNS1_3repE0EEENS1_30default_config_static_selectorELNS0_4arch9wavefront6targetE0EEEvSP_,comdat
.Lfunc_end44:
	.size	_ZN7rocprim17ROCPRIM_400000_NS6detail17trampoline_kernelINS0_14default_configENS1_32segmented_reduce_config_selectorIfEEZNS1_21segmented_reduce_implIS3_PKfPfPKifN6hipcub16HIPCUB_304000_NS6detail27convert_result_type_wrapperIS8_S9_N2at6native12_GLOBAL__N_19CustomMaxEEEEE10hipError_tPvRmT0_T1_jT2_SQ_T4_T3_P12ihipStream_tbEUlT_E_NS1_11comp_targetILNS1_3genE5ELNS1_11target_archE942ELNS1_3gpuE9ELNS1_3repE0EEENS1_30default_config_static_selectorELNS0_4arch9wavefront6targetE0EEEvSP_, .Lfunc_end44-_ZN7rocprim17ROCPRIM_400000_NS6detail17trampoline_kernelINS0_14default_configENS1_32segmented_reduce_config_selectorIfEEZNS1_21segmented_reduce_implIS3_PKfPfPKifN6hipcub16HIPCUB_304000_NS6detail27convert_result_type_wrapperIS8_S9_N2at6native12_GLOBAL__N_19CustomMaxEEEEE10hipError_tPvRmT0_T1_jT2_SQ_T4_T3_P12ihipStream_tbEUlT_E_NS1_11comp_targetILNS1_3genE5ELNS1_11target_archE942ELNS1_3gpuE9ELNS1_3repE0EEENS1_30default_config_static_selectorELNS0_4arch9wavefront6targetE0EEEvSP_
                                        ; -- End function
	.section	.AMDGPU.csdata,"",@progbits
; Kernel info:
; codeLenInByte = 0
; NumSgprs: 0
; NumVgprs: 0
; ScratchSize: 0
; MemoryBound: 0
; FloatMode: 240
; IeeeMode: 1
; LDSByteSize: 0 bytes/workgroup (compile time only)
; SGPRBlocks: 0
; VGPRBlocks: 0
; NumSGPRsForWavesPerEU: 1
; NumVGPRsForWavesPerEU: 1
; Occupancy: 16
; WaveLimiterHint : 0
; COMPUTE_PGM_RSRC2:SCRATCH_EN: 0
; COMPUTE_PGM_RSRC2:USER_SGPR: 15
; COMPUTE_PGM_RSRC2:TRAP_HANDLER: 0
; COMPUTE_PGM_RSRC2:TGID_X_EN: 1
; COMPUTE_PGM_RSRC2:TGID_Y_EN: 0
; COMPUTE_PGM_RSRC2:TGID_Z_EN: 0
; COMPUTE_PGM_RSRC2:TIDIG_COMP_CNT: 0
	.section	.text._ZN7rocprim17ROCPRIM_400000_NS6detail17trampoline_kernelINS0_14default_configENS1_32segmented_reduce_config_selectorIfEEZNS1_21segmented_reduce_implIS3_PKfPfPKifN6hipcub16HIPCUB_304000_NS6detail27convert_result_type_wrapperIS8_S9_N2at6native12_GLOBAL__N_19CustomMaxEEEEE10hipError_tPvRmT0_T1_jT2_SQ_T4_T3_P12ihipStream_tbEUlT_E_NS1_11comp_targetILNS1_3genE10ELNS1_11target_archE1201ELNS1_3gpuE5ELNS1_3repE0EEENS1_30default_config_static_selectorELNS0_4arch9wavefront6targetE0EEEvSP_,"axG",@progbits,_ZN7rocprim17ROCPRIM_400000_NS6detail17trampoline_kernelINS0_14default_configENS1_32segmented_reduce_config_selectorIfEEZNS1_21segmented_reduce_implIS3_PKfPfPKifN6hipcub16HIPCUB_304000_NS6detail27convert_result_type_wrapperIS8_S9_N2at6native12_GLOBAL__N_19CustomMaxEEEEE10hipError_tPvRmT0_T1_jT2_SQ_T4_T3_P12ihipStream_tbEUlT_E_NS1_11comp_targetILNS1_3genE10ELNS1_11target_archE1201ELNS1_3gpuE5ELNS1_3repE0EEENS1_30default_config_static_selectorELNS0_4arch9wavefront6targetE0EEEvSP_,comdat
	.globl	_ZN7rocprim17ROCPRIM_400000_NS6detail17trampoline_kernelINS0_14default_configENS1_32segmented_reduce_config_selectorIfEEZNS1_21segmented_reduce_implIS3_PKfPfPKifN6hipcub16HIPCUB_304000_NS6detail27convert_result_type_wrapperIS8_S9_N2at6native12_GLOBAL__N_19CustomMaxEEEEE10hipError_tPvRmT0_T1_jT2_SQ_T4_T3_P12ihipStream_tbEUlT_E_NS1_11comp_targetILNS1_3genE10ELNS1_11target_archE1201ELNS1_3gpuE5ELNS1_3repE0EEENS1_30default_config_static_selectorELNS0_4arch9wavefront6targetE0EEEvSP_ ; -- Begin function _ZN7rocprim17ROCPRIM_400000_NS6detail17trampoline_kernelINS0_14default_configENS1_32segmented_reduce_config_selectorIfEEZNS1_21segmented_reduce_implIS3_PKfPfPKifN6hipcub16HIPCUB_304000_NS6detail27convert_result_type_wrapperIS8_S9_N2at6native12_GLOBAL__N_19CustomMaxEEEEE10hipError_tPvRmT0_T1_jT2_SQ_T4_T3_P12ihipStream_tbEUlT_E_NS1_11comp_targetILNS1_3genE10ELNS1_11target_archE1201ELNS1_3gpuE5ELNS1_3repE0EEENS1_30default_config_static_selectorELNS0_4arch9wavefront6targetE0EEEvSP_
	.p2align	8
	.type	_ZN7rocprim17ROCPRIM_400000_NS6detail17trampoline_kernelINS0_14default_configENS1_32segmented_reduce_config_selectorIfEEZNS1_21segmented_reduce_implIS3_PKfPfPKifN6hipcub16HIPCUB_304000_NS6detail27convert_result_type_wrapperIS8_S9_N2at6native12_GLOBAL__N_19CustomMaxEEEEE10hipError_tPvRmT0_T1_jT2_SQ_T4_T3_P12ihipStream_tbEUlT_E_NS1_11comp_targetILNS1_3genE10ELNS1_11target_archE1201ELNS1_3gpuE5ELNS1_3repE0EEENS1_30default_config_static_selectorELNS0_4arch9wavefront6targetE0EEEvSP_,@function
_ZN7rocprim17ROCPRIM_400000_NS6detail17trampoline_kernelINS0_14default_configENS1_32segmented_reduce_config_selectorIfEEZNS1_21segmented_reduce_implIS3_PKfPfPKifN6hipcub16HIPCUB_304000_NS6detail27convert_result_type_wrapperIS8_S9_N2at6native12_GLOBAL__N_19CustomMaxEEEEE10hipError_tPvRmT0_T1_jT2_SQ_T4_T3_P12ihipStream_tbEUlT_E_NS1_11comp_targetILNS1_3genE10ELNS1_11target_archE1201ELNS1_3gpuE5ELNS1_3repE0EEENS1_30default_config_static_selectorELNS0_4arch9wavefront6targetE0EEEvSP_: ; @_ZN7rocprim17ROCPRIM_400000_NS6detail17trampoline_kernelINS0_14default_configENS1_32segmented_reduce_config_selectorIfEEZNS1_21segmented_reduce_implIS3_PKfPfPKifN6hipcub16HIPCUB_304000_NS6detail27convert_result_type_wrapperIS8_S9_N2at6native12_GLOBAL__N_19CustomMaxEEEEE10hipError_tPvRmT0_T1_jT2_SQ_T4_T3_P12ihipStream_tbEUlT_E_NS1_11comp_targetILNS1_3genE10ELNS1_11target_archE1201ELNS1_3gpuE5ELNS1_3repE0EEENS1_30default_config_static_selectorELNS0_4arch9wavefront6targetE0EEEvSP_
; %bb.0:
	.section	.rodata,"a",@progbits
	.p2align	6, 0x0
	.amdhsa_kernel _ZN7rocprim17ROCPRIM_400000_NS6detail17trampoline_kernelINS0_14default_configENS1_32segmented_reduce_config_selectorIfEEZNS1_21segmented_reduce_implIS3_PKfPfPKifN6hipcub16HIPCUB_304000_NS6detail27convert_result_type_wrapperIS8_S9_N2at6native12_GLOBAL__N_19CustomMaxEEEEE10hipError_tPvRmT0_T1_jT2_SQ_T4_T3_P12ihipStream_tbEUlT_E_NS1_11comp_targetILNS1_3genE10ELNS1_11target_archE1201ELNS1_3gpuE5ELNS1_3repE0EEENS1_30default_config_static_selectorELNS0_4arch9wavefront6targetE0EEEvSP_
		.amdhsa_group_segment_fixed_size 0
		.amdhsa_private_segment_fixed_size 0
		.amdhsa_kernarg_size 48
		.amdhsa_user_sgpr_count 15
		.amdhsa_user_sgpr_dispatch_ptr 0
		.amdhsa_user_sgpr_queue_ptr 0
		.amdhsa_user_sgpr_kernarg_segment_ptr 1
		.amdhsa_user_sgpr_dispatch_id 0
		.amdhsa_user_sgpr_private_segment_size 0
		.amdhsa_wavefront_size32 1
		.amdhsa_uses_dynamic_stack 0
		.amdhsa_enable_private_segment 0
		.amdhsa_system_sgpr_workgroup_id_x 1
		.amdhsa_system_sgpr_workgroup_id_y 0
		.amdhsa_system_sgpr_workgroup_id_z 0
		.amdhsa_system_sgpr_workgroup_info 0
		.amdhsa_system_vgpr_workitem_id 0
		.amdhsa_next_free_vgpr 1
		.amdhsa_next_free_sgpr 1
		.amdhsa_reserve_vcc 0
		.amdhsa_float_round_mode_32 0
		.amdhsa_float_round_mode_16_64 0
		.amdhsa_float_denorm_mode_32 3
		.amdhsa_float_denorm_mode_16_64 3
		.amdhsa_dx10_clamp 1
		.amdhsa_ieee_mode 1
		.amdhsa_fp16_overflow 0
		.amdhsa_workgroup_processor_mode 1
		.amdhsa_memory_ordered 1
		.amdhsa_forward_progress 0
		.amdhsa_shared_vgpr_count 0
		.amdhsa_exception_fp_ieee_invalid_op 0
		.amdhsa_exception_fp_denorm_src 0
		.amdhsa_exception_fp_ieee_div_zero 0
		.amdhsa_exception_fp_ieee_overflow 0
		.amdhsa_exception_fp_ieee_underflow 0
		.amdhsa_exception_fp_ieee_inexact 0
		.amdhsa_exception_int_div_zero 0
	.end_amdhsa_kernel
	.section	.text._ZN7rocprim17ROCPRIM_400000_NS6detail17trampoline_kernelINS0_14default_configENS1_32segmented_reduce_config_selectorIfEEZNS1_21segmented_reduce_implIS3_PKfPfPKifN6hipcub16HIPCUB_304000_NS6detail27convert_result_type_wrapperIS8_S9_N2at6native12_GLOBAL__N_19CustomMaxEEEEE10hipError_tPvRmT0_T1_jT2_SQ_T4_T3_P12ihipStream_tbEUlT_E_NS1_11comp_targetILNS1_3genE10ELNS1_11target_archE1201ELNS1_3gpuE5ELNS1_3repE0EEENS1_30default_config_static_selectorELNS0_4arch9wavefront6targetE0EEEvSP_,"axG",@progbits,_ZN7rocprim17ROCPRIM_400000_NS6detail17trampoline_kernelINS0_14default_configENS1_32segmented_reduce_config_selectorIfEEZNS1_21segmented_reduce_implIS3_PKfPfPKifN6hipcub16HIPCUB_304000_NS6detail27convert_result_type_wrapperIS8_S9_N2at6native12_GLOBAL__N_19CustomMaxEEEEE10hipError_tPvRmT0_T1_jT2_SQ_T4_T3_P12ihipStream_tbEUlT_E_NS1_11comp_targetILNS1_3genE10ELNS1_11target_archE1201ELNS1_3gpuE5ELNS1_3repE0EEENS1_30default_config_static_selectorELNS0_4arch9wavefront6targetE0EEEvSP_,comdat
.Lfunc_end45:
	.size	_ZN7rocprim17ROCPRIM_400000_NS6detail17trampoline_kernelINS0_14default_configENS1_32segmented_reduce_config_selectorIfEEZNS1_21segmented_reduce_implIS3_PKfPfPKifN6hipcub16HIPCUB_304000_NS6detail27convert_result_type_wrapperIS8_S9_N2at6native12_GLOBAL__N_19CustomMaxEEEEE10hipError_tPvRmT0_T1_jT2_SQ_T4_T3_P12ihipStream_tbEUlT_E_NS1_11comp_targetILNS1_3genE10ELNS1_11target_archE1201ELNS1_3gpuE5ELNS1_3repE0EEENS1_30default_config_static_selectorELNS0_4arch9wavefront6targetE0EEEvSP_, .Lfunc_end45-_ZN7rocprim17ROCPRIM_400000_NS6detail17trampoline_kernelINS0_14default_configENS1_32segmented_reduce_config_selectorIfEEZNS1_21segmented_reduce_implIS3_PKfPfPKifN6hipcub16HIPCUB_304000_NS6detail27convert_result_type_wrapperIS8_S9_N2at6native12_GLOBAL__N_19CustomMaxEEEEE10hipError_tPvRmT0_T1_jT2_SQ_T4_T3_P12ihipStream_tbEUlT_E_NS1_11comp_targetILNS1_3genE10ELNS1_11target_archE1201ELNS1_3gpuE5ELNS1_3repE0EEENS1_30default_config_static_selectorELNS0_4arch9wavefront6targetE0EEEvSP_
                                        ; -- End function
	.section	.AMDGPU.csdata,"",@progbits
; Kernel info:
; codeLenInByte = 0
; NumSgprs: 0
; NumVgprs: 0
; ScratchSize: 0
; MemoryBound: 0
; FloatMode: 240
; IeeeMode: 1
; LDSByteSize: 0 bytes/workgroup (compile time only)
; SGPRBlocks: 0
; VGPRBlocks: 0
; NumSGPRsForWavesPerEU: 1
; NumVGPRsForWavesPerEU: 1
; Occupancy: 16
; WaveLimiterHint : 0
; COMPUTE_PGM_RSRC2:SCRATCH_EN: 0
; COMPUTE_PGM_RSRC2:USER_SGPR: 15
; COMPUTE_PGM_RSRC2:TRAP_HANDLER: 0
; COMPUTE_PGM_RSRC2:TGID_X_EN: 1
; COMPUTE_PGM_RSRC2:TGID_Y_EN: 0
; COMPUTE_PGM_RSRC2:TGID_Z_EN: 0
; COMPUTE_PGM_RSRC2:TIDIG_COMP_CNT: 0
	.section	.text._ZN7rocprim17ROCPRIM_400000_NS6detail17trampoline_kernelINS0_14default_configENS1_32segmented_reduce_config_selectorIfEEZNS1_21segmented_reduce_implIS3_PKfPfPKifN6hipcub16HIPCUB_304000_NS6detail27convert_result_type_wrapperIS8_S9_N2at6native12_GLOBAL__N_19CustomMaxEEEEE10hipError_tPvRmT0_T1_jT2_SQ_T4_T3_P12ihipStream_tbEUlT_E_NS1_11comp_targetILNS1_3genE4ELNS1_11target_archE910ELNS1_3gpuE8ELNS1_3repE0EEENS1_30default_config_static_selectorELNS0_4arch9wavefront6targetE0EEEvSP_,"axG",@progbits,_ZN7rocprim17ROCPRIM_400000_NS6detail17trampoline_kernelINS0_14default_configENS1_32segmented_reduce_config_selectorIfEEZNS1_21segmented_reduce_implIS3_PKfPfPKifN6hipcub16HIPCUB_304000_NS6detail27convert_result_type_wrapperIS8_S9_N2at6native12_GLOBAL__N_19CustomMaxEEEEE10hipError_tPvRmT0_T1_jT2_SQ_T4_T3_P12ihipStream_tbEUlT_E_NS1_11comp_targetILNS1_3genE4ELNS1_11target_archE910ELNS1_3gpuE8ELNS1_3repE0EEENS1_30default_config_static_selectorELNS0_4arch9wavefront6targetE0EEEvSP_,comdat
	.globl	_ZN7rocprim17ROCPRIM_400000_NS6detail17trampoline_kernelINS0_14default_configENS1_32segmented_reduce_config_selectorIfEEZNS1_21segmented_reduce_implIS3_PKfPfPKifN6hipcub16HIPCUB_304000_NS6detail27convert_result_type_wrapperIS8_S9_N2at6native12_GLOBAL__N_19CustomMaxEEEEE10hipError_tPvRmT0_T1_jT2_SQ_T4_T3_P12ihipStream_tbEUlT_E_NS1_11comp_targetILNS1_3genE4ELNS1_11target_archE910ELNS1_3gpuE8ELNS1_3repE0EEENS1_30default_config_static_selectorELNS0_4arch9wavefront6targetE0EEEvSP_ ; -- Begin function _ZN7rocprim17ROCPRIM_400000_NS6detail17trampoline_kernelINS0_14default_configENS1_32segmented_reduce_config_selectorIfEEZNS1_21segmented_reduce_implIS3_PKfPfPKifN6hipcub16HIPCUB_304000_NS6detail27convert_result_type_wrapperIS8_S9_N2at6native12_GLOBAL__N_19CustomMaxEEEEE10hipError_tPvRmT0_T1_jT2_SQ_T4_T3_P12ihipStream_tbEUlT_E_NS1_11comp_targetILNS1_3genE4ELNS1_11target_archE910ELNS1_3gpuE8ELNS1_3repE0EEENS1_30default_config_static_selectorELNS0_4arch9wavefront6targetE0EEEvSP_
	.p2align	8
	.type	_ZN7rocprim17ROCPRIM_400000_NS6detail17trampoline_kernelINS0_14default_configENS1_32segmented_reduce_config_selectorIfEEZNS1_21segmented_reduce_implIS3_PKfPfPKifN6hipcub16HIPCUB_304000_NS6detail27convert_result_type_wrapperIS8_S9_N2at6native12_GLOBAL__N_19CustomMaxEEEEE10hipError_tPvRmT0_T1_jT2_SQ_T4_T3_P12ihipStream_tbEUlT_E_NS1_11comp_targetILNS1_3genE4ELNS1_11target_archE910ELNS1_3gpuE8ELNS1_3repE0EEENS1_30default_config_static_selectorELNS0_4arch9wavefront6targetE0EEEvSP_,@function
_ZN7rocprim17ROCPRIM_400000_NS6detail17trampoline_kernelINS0_14default_configENS1_32segmented_reduce_config_selectorIfEEZNS1_21segmented_reduce_implIS3_PKfPfPKifN6hipcub16HIPCUB_304000_NS6detail27convert_result_type_wrapperIS8_S9_N2at6native12_GLOBAL__N_19CustomMaxEEEEE10hipError_tPvRmT0_T1_jT2_SQ_T4_T3_P12ihipStream_tbEUlT_E_NS1_11comp_targetILNS1_3genE4ELNS1_11target_archE910ELNS1_3gpuE8ELNS1_3repE0EEENS1_30default_config_static_selectorELNS0_4arch9wavefront6targetE0EEEvSP_: ; @_ZN7rocprim17ROCPRIM_400000_NS6detail17trampoline_kernelINS0_14default_configENS1_32segmented_reduce_config_selectorIfEEZNS1_21segmented_reduce_implIS3_PKfPfPKifN6hipcub16HIPCUB_304000_NS6detail27convert_result_type_wrapperIS8_S9_N2at6native12_GLOBAL__N_19CustomMaxEEEEE10hipError_tPvRmT0_T1_jT2_SQ_T4_T3_P12ihipStream_tbEUlT_E_NS1_11comp_targetILNS1_3genE4ELNS1_11target_archE910ELNS1_3gpuE8ELNS1_3repE0EEENS1_30default_config_static_selectorELNS0_4arch9wavefront6targetE0EEEvSP_
; %bb.0:
	.section	.rodata,"a",@progbits
	.p2align	6, 0x0
	.amdhsa_kernel _ZN7rocprim17ROCPRIM_400000_NS6detail17trampoline_kernelINS0_14default_configENS1_32segmented_reduce_config_selectorIfEEZNS1_21segmented_reduce_implIS3_PKfPfPKifN6hipcub16HIPCUB_304000_NS6detail27convert_result_type_wrapperIS8_S9_N2at6native12_GLOBAL__N_19CustomMaxEEEEE10hipError_tPvRmT0_T1_jT2_SQ_T4_T3_P12ihipStream_tbEUlT_E_NS1_11comp_targetILNS1_3genE4ELNS1_11target_archE910ELNS1_3gpuE8ELNS1_3repE0EEENS1_30default_config_static_selectorELNS0_4arch9wavefront6targetE0EEEvSP_
		.amdhsa_group_segment_fixed_size 0
		.amdhsa_private_segment_fixed_size 0
		.amdhsa_kernarg_size 48
		.amdhsa_user_sgpr_count 15
		.amdhsa_user_sgpr_dispatch_ptr 0
		.amdhsa_user_sgpr_queue_ptr 0
		.amdhsa_user_sgpr_kernarg_segment_ptr 1
		.amdhsa_user_sgpr_dispatch_id 0
		.amdhsa_user_sgpr_private_segment_size 0
		.amdhsa_wavefront_size32 1
		.amdhsa_uses_dynamic_stack 0
		.amdhsa_enable_private_segment 0
		.amdhsa_system_sgpr_workgroup_id_x 1
		.amdhsa_system_sgpr_workgroup_id_y 0
		.amdhsa_system_sgpr_workgroup_id_z 0
		.amdhsa_system_sgpr_workgroup_info 0
		.amdhsa_system_vgpr_workitem_id 0
		.amdhsa_next_free_vgpr 1
		.amdhsa_next_free_sgpr 1
		.amdhsa_reserve_vcc 0
		.amdhsa_float_round_mode_32 0
		.amdhsa_float_round_mode_16_64 0
		.amdhsa_float_denorm_mode_32 3
		.amdhsa_float_denorm_mode_16_64 3
		.amdhsa_dx10_clamp 1
		.amdhsa_ieee_mode 1
		.amdhsa_fp16_overflow 0
		.amdhsa_workgroup_processor_mode 1
		.amdhsa_memory_ordered 1
		.amdhsa_forward_progress 0
		.amdhsa_shared_vgpr_count 0
		.amdhsa_exception_fp_ieee_invalid_op 0
		.amdhsa_exception_fp_denorm_src 0
		.amdhsa_exception_fp_ieee_div_zero 0
		.amdhsa_exception_fp_ieee_overflow 0
		.amdhsa_exception_fp_ieee_underflow 0
		.amdhsa_exception_fp_ieee_inexact 0
		.amdhsa_exception_int_div_zero 0
	.end_amdhsa_kernel
	.section	.text._ZN7rocprim17ROCPRIM_400000_NS6detail17trampoline_kernelINS0_14default_configENS1_32segmented_reduce_config_selectorIfEEZNS1_21segmented_reduce_implIS3_PKfPfPKifN6hipcub16HIPCUB_304000_NS6detail27convert_result_type_wrapperIS8_S9_N2at6native12_GLOBAL__N_19CustomMaxEEEEE10hipError_tPvRmT0_T1_jT2_SQ_T4_T3_P12ihipStream_tbEUlT_E_NS1_11comp_targetILNS1_3genE4ELNS1_11target_archE910ELNS1_3gpuE8ELNS1_3repE0EEENS1_30default_config_static_selectorELNS0_4arch9wavefront6targetE0EEEvSP_,"axG",@progbits,_ZN7rocprim17ROCPRIM_400000_NS6detail17trampoline_kernelINS0_14default_configENS1_32segmented_reduce_config_selectorIfEEZNS1_21segmented_reduce_implIS3_PKfPfPKifN6hipcub16HIPCUB_304000_NS6detail27convert_result_type_wrapperIS8_S9_N2at6native12_GLOBAL__N_19CustomMaxEEEEE10hipError_tPvRmT0_T1_jT2_SQ_T4_T3_P12ihipStream_tbEUlT_E_NS1_11comp_targetILNS1_3genE4ELNS1_11target_archE910ELNS1_3gpuE8ELNS1_3repE0EEENS1_30default_config_static_selectorELNS0_4arch9wavefront6targetE0EEEvSP_,comdat
.Lfunc_end46:
	.size	_ZN7rocprim17ROCPRIM_400000_NS6detail17trampoline_kernelINS0_14default_configENS1_32segmented_reduce_config_selectorIfEEZNS1_21segmented_reduce_implIS3_PKfPfPKifN6hipcub16HIPCUB_304000_NS6detail27convert_result_type_wrapperIS8_S9_N2at6native12_GLOBAL__N_19CustomMaxEEEEE10hipError_tPvRmT0_T1_jT2_SQ_T4_T3_P12ihipStream_tbEUlT_E_NS1_11comp_targetILNS1_3genE4ELNS1_11target_archE910ELNS1_3gpuE8ELNS1_3repE0EEENS1_30default_config_static_selectorELNS0_4arch9wavefront6targetE0EEEvSP_, .Lfunc_end46-_ZN7rocprim17ROCPRIM_400000_NS6detail17trampoline_kernelINS0_14default_configENS1_32segmented_reduce_config_selectorIfEEZNS1_21segmented_reduce_implIS3_PKfPfPKifN6hipcub16HIPCUB_304000_NS6detail27convert_result_type_wrapperIS8_S9_N2at6native12_GLOBAL__N_19CustomMaxEEEEE10hipError_tPvRmT0_T1_jT2_SQ_T4_T3_P12ihipStream_tbEUlT_E_NS1_11comp_targetILNS1_3genE4ELNS1_11target_archE910ELNS1_3gpuE8ELNS1_3repE0EEENS1_30default_config_static_selectorELNS0_4arch9wavefront6targetE0EEEvSP_
                                        ; -- End function
	.section	.AMDGPU.csdata,"",@progbits
; Kernel info:
; codeLenInByte = 0
; NumSgprs: 0
; NumVgprs: 0
; ScratchSize: 0
; MemoryBound: 0
; FloatMode: 240
; IeeeMode: 1
; LDSByteSize: 0 bytes/workgroup (compile time only)
; SGPRBlocks: 0
; VGPRBlocks: 0
; NumSGPRsForWavesPerEU: 1
; NumVGPRsForWavesPerEU: 1
; Occupancy: 16
; WaveLimiterHint : 0
; COMPUTE_PGM_RSRC2:SCRATCH_EN: 0
; COMPUTE_PGM_RSRC2:USER_SGPR: 15
; COMPUTE_PGM_RSRC2:TRAP_HANDLER: 0
; COMPUTE_PGM_RSRC2:TGID_X_EN: 1
; COMPUTE_PGM_RSRC2:TGID_Y_EN: 0
; COMPUTE_PGM_RSRC2:TGID_Z_EN: 0
; COMPUTE_PGM_RSRC2:TIDIG_COMP_CNT: 0
	.section	.text._ZN7rocprim17ROCPRIM_400000_NS6detail17trampoline_kernelINS0_14default_configENS1_32segmented_reduce_config_selectorIfEEZNS1_21segmented_reduce_implIS3_PKfPfPKifN6hipcub16HIPCUB_304000_NS6detail27convert_result_type_wrapperIS8_S9_N2at6native12_GLOBAL__N_19CustomMaxEEEEE10hipError_tPvRmT0_T1_jT2_SQ_T4_T3_P12ihipStream_tbEUlT_E_NS1_11comp_targetILNS1_3genE3ELNS1_11target_archE908ELNS1_3gpuE7ELNS1_3repE0EEENS1_30default_config_static_selectorELNS0_4arch9wavefront6targetE0EEEvSP_,"axG",@progbits,_ZN7rocprim17ROCPRIM_400000_NS6detail17trampoline_kernelINS0_14default_configENS1_32segmented_reduce_config_selectorIfEEZNS1_21segmented_reduce_implIS3_PKfPfPKifN6hipcub16HIPCUB_304000_NS6detail27convert_result_type_wrapperIS8_S9_N2at6native12_GLOBAL__N_19CustomMaxEEEEE10hipError_tPvRmT0_T1_jT2_SQ_T4_T3_P12ihipStream_tbEUlT_E_NS1_11comp_targetILNS1_3genE3ELNS1_11target_archE908ELNS1_3gpuE7ELNS1_3repE0EEENS1_30default_config_static_selectorELNS0_4arch9wavefront6targetE0EEEvSP_,comdat
	.globl	_ZN7rocprim17ROCPRIM_400000_NS6detail17trampoline_kernelINS0_14default_configENS1_32segmented_reduce_config_selectorIfEEZNS1_21segmented_reduce_implIS3_PKfPfPKifN6hipcub16HIPCUB_304000_NS6detail27convert_result_type_wrapperIS8_S9_N2at6native12_GLOBAL__N_19CustomMaxEEEEE10hipError_tPvRmT0_T1_jT2_SQ_T4_T3_P12ihipStream_tbEUlT_E_NS1_11comp_targetILNS1_3genE3ELNS1_11target_archE908ELNS1_3gpuE7ELNS1_3repE0EEENS1_30default_config_static_selectorELNS0_4arch9wavefront6targetE0EEEvSP_ ; -- Begin function _ZN7rocprim17ROCPRIM_400000_NS6detail17trampoline_kernelINS0_14default_configENS1_32segmented_reduce_config_selectorIfEEZNS1_21segmented_reduce_implIS3_PKfPfPKifN6hipcub16HIPCUB_304000_NS6detail27convert_result_type_wrapperIS8_S9_N2at6native12_GLOBAL__N_19CustomMaxEEEEE10hipError_tPvRmT0_T1_jT2_SQ_T4_T3_P12ihipStream_tbEUlT_E_NS1_11comp_targetILNS1_3genE3ELNS1_11target_archE908ELNS1_3gpuE7ELNS1_3repE0EEENS1_30default_config_static_selectorELNS0_4arch9wavefront6targetE0EEEvSP_
	.p2align	8
	.type	_ZN7rocprim17ROCPRIM_400000_NS6detail17trampoline_kernelINS0_14default_configENS1_32segmented_reduce_config_selectorIfEEZNS1_21segmented_reduce_implIS3_PKfPfPKifN6hipcub16HIPCUB_304000_NS6detail27convert_result_type_wrapperIS8_S9_N2at6native12_GLOBAL__N_19CustomMaxEEEEE10hipError_tPvRmT0_T1_jT2_SQ_T4_T3_P12ihipStream_tbEUlT_E_NS1_11comp_targetILNS1_3genE3ELNS1_11target_archE908ELNS1_3gpuE7ELNS1_3repE0EEENS1_30default_config_static_selectorELNS0_4arch9wavefront6targetE0EEEvSP_,@function
_ZN7rocprim17ROCPRIM_400000_NS6detail17trampoline_kernelINS0_14default_configENS1_32segmented_reduce_config_selectorIfEEZNS1_21segmented_reduce_implIS3_PKfPfPKifN6hipcub16HIPCUB_304000_NS6detail27convert_result_type_wrapperIS8_S9_N2at6native12_GLOBAL__N_19CustomMaxEEEEE10hipError_tPvRmT0_T1_jT2_SQ_T4_T3_P12ihipStream_tbEUlT_E_NS1_11comp_targetILNS1_3genE3ELNS1_11target_archE908ELNS1_3gpuE7ELNS1_3repE0EEENS1_30default_config_static_selectorELNS0_4arch9wavefront6targetE0EEEvSP_: ; @_ZN7rocprim17ROCPRIM_400000_NS6detail17trampoline_kernelINS0_14default_configENS1_32segmented_reduce_config_selectorIfEEZNS1_21segmented_reduce_implIS3_PKfPfPKifN6hipcub16HIPCUB_304000_NS6detail27convert_result_type_wrapperIS8_S9_N2at6native12_GLOBAL__N_19CustomMaxEEEEE10hipError_tPvRmT0_T1_jT2_SQ_T4_T3_P12ihipStream_tbEUlT_E_NS1_11comp_targetILNS1_3genE3ELNS1_11target_archE908ELNS1_3gpuE7ELNS1_3repE0EEENS1_30default_config_static_selectorELNS0_4arch9wavefront6targetE0EEEvSP_
; %bb.0:
	.section	.rodata,"a",@progbits
	.p2align	6, 0x0
	.amdhsa_kernel _ZN7rocprim17ROCPRIM_400000_NS6detail17trampoline_kernelINS0_14default_configENS1_32segmented_reduce_config_selectorIfEEZNS1_21segmented_reduce_implIS3_PKfPfPKifN6hipcub16HIPCUB_304000_NS6detail27convert_result_type_wrapperIS8_S9_N2at6native12_GLOBAL__N_19CustomMaxEEEEE10hipError_tPvRmT0_T1_jT2_SQ_T4_T3_P12ihipStream_tbEUlT_E_NS1_11comp_targetILNS1_3genE3ELNS1_11target_archE908ELNS1_3gpuE7ELNS1_3repE0EEENS1_30default_config_static_selectorELNS0_4arch9wavefront6targetE0EEEvSP_
		.amdhsa_group_segment_fixed_size 0
		.amdhsa_private_segment_fixed_size 0
		.amdhsa_kernarg_size 48
		.amdhsa_user_sgpr_count 15
		.amdhsa_user_sgpr_dispatch_ptr 0
		.amdhsa_user_sgpr_queue_ptr 0
		.amdhsa_user_sgpr_kernarg_segment_ptr 1
		.amdhsa_user_sgpr_dispatch_id 0
		.amdhsa_user_sgpr_private_segment_size 0
		.amdhsa_wavefront_size32 1
		.amdhsa_uses_dynamic_stack 0
		.amdhsa_enable_private_segment 0
		.amdhsa_system_sgpr_workgroup_id_x 1
		.amdhsa_system_sgpr_workgroup_id_y 0
		.amdhsa_system_sgpr_workgroup_id_z 0
		.amdhsa_system_sgpr_workgroup_info 0
		.amdhsa_system_vgpr_workitem_id 0
		.amdhsa_next_free_vgpr 1
		.amdhsa_next_free_sgpr 1
		.amdhsa_reserve_vcc 0
		.amdhsa_float_round_mode_32 0
		.amdhsa_float_round_mode_16_64 0
		.amdhsa_float_denorm_mode_32 3
		.amdhsa_float_denorm_mode_16_64 3
		.amdhsa_dx10_clamp 1
		.amdhsa_ieee_mode 1
		.amdhsa_fp16_overflow 0
		.amdhsa_workgroup_processor_mode 1
		.amdhsa_memory_ordered 1
		.amdhsa_forward_progress 0
		.amdhsa_shared_vgpr_count 0
		.amdhsa_exception_fp_ieee_invalid_op 0
		.amdhsa_exception_fp_denorm_src 0
		.amdhsa_exception_fp_ieee_div_zero 0
		.amdhsa_exception_fp_ieee_overflow 0
		.amdhsa_exception_fp_ieee_underflow 0
		.amdhsa_exception_fp_ieee_inexact 0
		.amdhsa_exception_int_div_zero 0
	.end_amdhsa_kernel
	.section	.text._ZN7rocprim17ROCPRIM_400000_NS6detail17trampoline_kernelINS0_14default_configENS1_32segmented_reduce_config_selectorIfEEZNS1_21segmented_reduce_implIS3_PKfPfPKifN6hipcub16HIPCUB_304000_NS6detail27convert_result_type_wrapperIS8_S9_N2at6native12_GLOBAL__N_19CustomMaxEEEEE10hipError_tPvRmT0_T1_jT2_SQ_T4_T3_P12ihipStream_tbEUlT_E_NS1_11comp_targetILNS1_3genE3ELNS1_11target_archE908ELNS1_3gpuE7ELNS1_3repE0EEENS1_30default_config_static_selectorELNS0_4arch9wavefront6targetE0EEEvSP_,"axG",@progbits,_ZN7rocprim17ROCPRIM_400000_NS6detail17trampoline_kernelINS0_14default_configENS1_32segmented_reduce_config_selectorIfEEZNS1_21segmented_reduce_implIS3_PKfPfPKifN6hipcub16HIPCUB_304000_NS6detail27convert_result_type_wrapperIS8_S9_N2at6native12_GLOBAL__N_19CustomMaxEEEEE10hipError_tPvRmT0_T1_jT2_SQ_T4_T3_P12ihipStream_tbEUlT_E_NS1_11comp_targetILNS1_3genE3ELNS1_11target_archE908ELNS1_3gpuE7ELNS1_3repE0EEENS1_30default_config_static_selectorELNS0_4arch9wavefront6targetE0EEEvSP_,comdat
.Lfunc_end47:
	.size	_ZN7rocprim17ROCPRIM_400000_NS6detail17trampoline_kernelINS0_14default_configENS1_32segmented_reduce_config_selectorIfEEZNS1_21segmented_reduce_implIS3_PKfPfPKifN6hipcub16HIPCUB_304000_NS6detail27convert_result_type_wrapperIS8_S9_N2at6native12_GLOBAL__N_19CustomMaxEEEEE10hipError_tPvRmT0_T1_jT2_SQ_T4_T3_P12ihipStream_tbEUlT_E_NS1_11comp_targetILNS1_3genE3ELNS1_11target_archE908ELNS1_3gpuE7ELNS1_3repE0EEENS1_30default_config_static_selectorELNS0_4arch9wavefront6targetE0EEEvSP_, .Lfunc_end47-_ZN7rocprim17ROCPRIM_400000_NS6detail17trampoline_kernelINS0_14default_configENS1_32segmented_reduce_config_selectorIfEEZNS1_21segmented_reduce_implIS3_PKfPfPKifN6hipcub16HIPCUB_304000_NS6detail27convert_result_type_wrapperIS8_S9_N2at6native12_GLOBAL__N_19CustomMaxEEEEE10hipError_tPvRmT0_T1_jT2_SQ_T4_T3_P12ihipStream_tbEUlT_E_NS1_11comp_targetILNS1_3genE3ELNS1_11target_archE908ELNS1_3gpuE7ELNS1_3repE0EEENS1_30default_config_static_selectorELNS0_4arch9wavefront6targetE0EEEvSP_
                                        ; -- End function
	.section	.AMDGPU.csdata,"",@progbits
; Kernel info:
; codeLenInByte = 0
; NumSgprs: 0
; NumVgprs: 0
; ScratchSize: 0
; MemoryBound: 0
; FloatMode: 240
; IeeeMode: 1
; LDSByteSize: 0 bytes/workgroup (compile time only)
; SGPRBlocks: 0
; VGPRBlocks: 0
; NumSGPRsForWavesPerEU: 1
; NumVGPRsForWavesPerEU: 1
; Occupancy: 16
; WaveLimiterHint : 0
; COMPUTE_PGM_RSRC2:SCRATCH_EN: 0
; COMPUTE_PGM_RSRC2:USER_SGPR: 15
; COMPUTE_PGM_RSRC2:TRAP_HANDLER: 0
; COMPUTE_PGM_RSRC2:TGID_X_EN: 1
; COMPUTE_PGM_RSRC2:TGID_Y_EN: 0
; COMPUTE_PGM_RSRC2:TGID_Z_EN: 0
; COMPUTE_PGM_RSRC2:TIDIG_COMP_CNT: 0
	.section	.text._ZN7rocprim17ROCPRIM_400000_NS6detail17trampoline_kernelINS0_14default_configENS1_32segmented_reduce_config_selectorIfEEZNS1_21segmented_reduce_implIS3_PKfPfPKifN6hipcub16HIPCUB_304000_NS6detail27convert_result_type_wrapperIS8_S9_N2at6native12_GLOBAL__N_19CustomMaxEEEEE10hipError_tPvRmT0_T1_jT2_SQ_T4_T3_P12ihipStream_tbEUlT_E_NS1_11comp_targetILNS1_3genE2ELNS1_11target_archE906ELNS1_3gpuE6ELNS1_3repE0EEENS1_30default_config_static_selectorELNS0_4arch9wavefront6targetE0EEEvSP_,"axG",@progbits,_ZN7rocprim17ROCPRIM_400000_NS6detail17trampoline_kernelINS0_14default_configENS1_32segmented_reduce_config_selectorIfEEZNS1_21segmented_reduce_implIS3_PKfPfPKifN6hipcub16HIPCUB_304000_NS6detail27convert_result_type_wrapperIS8_S9_N2at6native12_GLOBAL__N_19CustomMaxEEEEE10hipError_tPvRmT0_T1_jT2_SQ_T4_T3_P12ihipStream_tbEUlT_E_NS1_11comp_targetILNS1_3genE2ELNS1_11target_archE906ELNS1_3gpuE6ELNS1_3repE0EEENS1_30default_config_static_selectorELNS0_4arch9wavefront6targetE0EEEvSP_,comdat
	.globl	_ZN7rocprim17ROCPRIM_400000_NS6detail17trampoline_kernelINS0_14default_configENS1_32segmented_reduce_config_selectorIfEEZNS1_21segmented_reduce_implIS3_PKfPfPKifN6hipcub16HIPCUB_304000_NS6detail27convert_result_type_wrapperIS8_S9_N2at6native12_GLOBAL__N_19CustomMaxEEEEE10hipError_tPvRmT0_T1_jT2_SQ_T4_T3_P12ihipStream_tbEUlT_E_NS1_11comp_targetILNS1_3genE2ELNS1_11target_archE906ELNS1_3gpuE6ELNS1_3repE0EEENS1_30default_config_static_selectorELNS0_4arch9wavefront6targetE0EEEvSP_ ; -- Begin function _ZN7rocprim17ROCPRIM_400000_NS6detail17trampoline_kernelINS0_14default_configENS1_32segmented_reduce_config_selectorIfEEZNS1_21segmented_reduce_implIS3_PKfPfPKifN6hipcub16HIPCUB_304000_NS6detail27convert_result_type_wrapperIS8_S9_N2at6native12_GLOBAL__N_19CustomMaxEEEEE10hipError_tPvRmT0_T1_jT2_SQ_T4_T3_P12ihipStream_tbEUlT_E_NS1_11comp_targetILNS1_3genE2ELNS1_11target_archE906ELNS1_3gpuE6ELNS1_3repE0EEENS1_30default_config_static_selectorELNS0_4arch9wavefront6targetE0EEEvSP_
	.p2align	8
	.type	_ZN7rocprim17ROCPRIM_400000_NS6detail17trampoline_kernelINS0_14default_configENS1_32segmented_reduce_config_selectorIfEEZNS1_21segmented_reduce_implIS3_PKfPfPKifN6hipcub16HIPCUB_304000_NS6detail27convert_result_type_wrapperIS8_S9_N2at6native12_GLOBAL__N_19CustomMaxEEEEE10hipError_tPvRmT0_T1_jT2_SQ_T4_T3_P12ihipStream_tbEUlT_E_NS1_11comp_targetILNS1_3genE2ELNS1_11target_archE906ELNS1_3gpuE6ELNS1_3repE0EEENS1_30default_config_static_selectorELNS0_4arch9wavefront6targetE0EEEvSP_,@function
_ZN7rocprim17ROCPRIM_400000_NS6detail17trampoline_kernelINS0_14default_configENS1_32segmented_reduce_config_selectorIfEEZNS1_21segmented_reduce_implIS3_PKfPfPKifN6hipcub16HIPCUB_304000_NS6detail27convert_result_type_wrapperIS8_S9_N2at6native12_GLOBAL__N_19CustomMaxEEEEE10hipError_tPvRmT0_T1_jT2_SQ_T4_T3_P12ihipStream_tbEUlT_E_NS1_11comp_targetILNS1_3genE2ELNS1_11target_archE906ELNS1_3gpuE6ELNS1_3repE0EEENS1_30default_config_static_selectorELNS0_4arch9wavefront6targetE0EEEvSP_: ; @_ZN7rocprim17ROCPRIM_400000_NS6detail17trampoline_kernelINS0_14default_configENS1_32segmented_reduce_config_selectorIfEEZNS1_21segmented_reduce_implIS3_PKfPfPKifN6hipcub16HIPCUB_304000_NS6detail27convert_result_type_wrapperIS8_S9_N2at6native12_GLOBAL__N_19CustomMaxEEEEE10hipError_tPvRmT0_T1_jT2_SQ_T4_T3_P12ihipStream_tbEUlT_E_NS1_11comp_targetILNS1_3genE2ELNS1_11target_archE906ELNS1_3gpuE6ELNS1_3repE0EEENS1_30default_config_static_selectorELNS0_4arch9wavefront6targetE0EEEvSP_
; %bb.0:
	.section	.rodata,"a",@progbits
	.p2align	6, 0x0
	.amdhsa_kernel _ZN7rocprim17ROCPRIM_400000_NS6detail17trampoline_kernelINS0_14default_configENS1_32segmented_reduce_config_selectorIfEEZNS1_21segmented_reduce_implIS3_PKfPfPKifN6hipcub16HIPCUB_304000_NS6detail27convert_result_type_wrapperIS8_S9_N2at6native12_GLOBAL__N_19CustomMaxEEEEE10hipError_tPvRmT0_T1_jT2_SQ_T4_T3_P12ihipStream_tbEUlT_E_NS1_11comp_targetILNS1_3genE2ELNS1_11target_archE906ELNS1_3gpuE6ELNS1_3repE0EEENS1_30default_config_static_selectorELNS0_4arch9wavefront6targetE0EEEvSP_
		.amdhsa_group_segment_fixed_size 0
		.amdhsa_private_segment_fixed_size 0
		.amdhsa_kernarg_size 48
		.amdhsa_user_sgpr_count 15
		.amdhsa_user_sgpr_dispatch_ptr 0
		.amdhsa_user_sgpr_queue_ptr 0
		.amdhsa_user_sgpr_kernarg_segment_ptr 1
		.amdhsa_user_sgpr_dispatch_id 0
		.amdhsa_user_sgpr_private_segment_size 0
		.amdhsa_wavefront_size32 1
		.amdhsa_uses_dynamic_stack 0
		.amdhsa_enable_private_segment 0
		.amdhsa_system_sgpr_workgroup_id_x 1
		.amdhsa_system_sgpr_workgroup_id_y 0
		.amdhsa_system_sgpr_workgroup_id_z 0
		.amdhsa_system_sgpr_workgroup_info 0
		.amdhsa_system_vgpr_workitem_id 0
		.amdhsa_next_free_vgpr 1
		.amdhsa_next_free_sgpr 1
		.amdhsa_reserve_vcc 0
		.amdhsa_float_round_mode_32 0
		.amdhsa_float_round_mode_16_64 0
		.amdhsa_float_denorm_mode_32 3
		.amdhsa_float_denorm_mode_16_64 3
		.amdhsa_dx10_clamp 1
		.amdhsa_ieee_mode 1
		.amdhsa_fp16_overflow 0
		.amdhsa_workgroup_processor_mode 1
		.amdhsa_memory_ordered 1
		.amdhsa_forward_progress 0
		.amdhsa_shared_vgpr_count 0
		.amdhsa_exception_fp_ieee_invalid_op 0
		.amdhsa_exception_fp_denorm_src 0
		.amdhsa_exception_fp_ieee_div_zero 0
		.amdhsa_exception_fp_ieee_overflow 0
		.amdhsa_exception_fp_ieee_underflow 0
		.amdhsa_exception_fp_ieee_inexact 0
		.amdhsa_exception_int_div_zero 0
	.end_amdhsa_kernel
	.section	.text._ZN7rocprim17ROCPRIM_400000_NS6detail17trampoline_kernelINS0_14default_configENS1_32segmented_reduce_config_selectorIfEEZNS1_21segmented_reduce_implIS3_PKfPfPKifN6hipcub16HIPCUB_304000_NS6detail27convert_result_type_wrapperIS8_S9_N2at6native12_GLOBAL__N_19CustomMaxEEEEE10hipError_tPvRmT0_T1_jT2_SQ_T4_T3_P12ihipStream_tbEUlT_E_NS1_11comp_targetILNS1_3genE2ELNS1_11target_archE906ELNS1_3gpuE6ELNS1_3repE0EEENS1_30default_config_static_selectorELNS0_4arch9wavefront6targetE0EEEvSP_,"axG",@progbits,_ZN7rocprim17ROCPRIM_400000_NS6detail17trampoline_kernelINS0_14default_configENS1_32segmented_reduce_config_selectorIfEEZNS1_21segmented_reduce_implIS3_PKfPfPKifN6hipcub16HIPCUB_304000_NS6detail27convert_result_type_wrapperIS8_S9_N2at6native12_GLOBAL__N_19CustomMaxEEEEE10hipError_tPvRmT0_T1_jT2_SQ_T4_T3_P12ihipStream_tbEUlT_E_NS1_11comp_targetILNS1_3genE2ELNS1_11target_archE906ELNS1_3gpuE6ELNS1_3repE0EEENS1_30default_config_static_selectorELNS0_4arch9wavefront6targetE0EEEvSP_,comdat
.Lfunc_end48:
	.size	_ZN7rocprim17ROCPRIM_400000_NS6detail17trampoline_kernelINS0_14default_configENS1_32segmented_reduce_config_selectorIfEEZNS1_21segmented_reduce_implIS3_PKfPfPKifN6hipcub16HIPCUB_304000_NS6detail27convert_result_type_wrapperIS8_S9_N2at6native12_GLOBAL__N_19CustomMaxEEEEE10hipError_tPvRmT0_T1_jT2_SQ_T4_T3_P12ihipStream_tbEUlT_E_NS1_11comp_targetILNS1_3genE2ELNS1_11target_archE906ELNS1_3gpuE6ELNS1_3repE0EEENS1_30default_config_static_selectorELNS0_4arch9wavefront6targetE0EEEvSP_, .Lfunc_end48-_ZN7rocprim17ROCPRIM_400000_NS6detail17trampoline_kernelINS0_14default_configENS1_32segmented_reduce_config_selectorIfEEZNS1_21segmented_reduce_implIS3_PKfPfPKifN6hipcub16HIPCUB_304000_NS6detail27convert_result_type_wrapperIS8_S9_N2at6native12_GLOBAL__N_19CustomMaxEEEEE10hipError_tPvRmT0_T1_jT2_SQ_T4_T3_P12ihipStream_tbEUlT_E_NS1_11comp_targetILNS1_3genE2ELNS1_11target_archE906ELNS1_3gpuE6ELNS1_3repE0EEENS1_30default_config_static_selectorELNS0_4arch9wavefront6targetE0EEEvSP_
                                        ; -- End function
	.section	.AMDGPU.csdata,"",@progbits
; Kernel info:
; codeLenInByte = 0
; NumSgprs: 0
; NumVgprs: 0
; ScratchSize: 0
; MemoryBound: 0
; FloatMode: 240
; IeeeMode: 1
; LDSByteSize: 0 bytes/workgroup (compile time only)
; SGPRBlocks: 0
; VGPRBlocks: 0
; NumSGPRsForWavesPerEU: 1
; NumVGPRsForWavesPerEU: 1
; Occupancy: 16
; WaveLimiterHint : 0
; COMPUTE_PGM_RSRC2:SCRATCH_EN: 0
; COMPUTE_PGM_RSRC2:USER_SGPR: 15
; COMPUTE_PGM_RSRC2:TRAP_HANDLER: 0
; COMPUTE_PGM_RSRC2:TGID_X_EN: 1
; COMPUTE_PGM_RSRC2:TGID_Y_EN: 0
; COMPUTE_PGM_RSRC2:TGID_Z_EN: 0
; COMPUTE_PGM_RSRC2:TIDIG_COMP_CNT: 0
	.section	.text._ZN7rocprim17ROCPRIM_400000_NS6detail17trampoline_kernelINS0_14default_configENS1_32segmented_reduce_config_selectorIfEEZNS1_21segmented_reduce_implIS3_PKfPfPKifN6hipcub16HIPCUB_304000_NS6detail27convert_result_type_wrapperIS8_S9_N2at6native12_GLOBAL__N_19CustomMaxEEEEE10hipError_tPvRmT0_T1_jT2_SQ_T4_T3_P12ihipStream_tbEUlT_E_NS1_11comp_targetILNS1_3genE9ELNS1_11target_archE1100ELNS1_3gpuE3ELNS1_3repE0EEENS1_30default_config_static_selectorELNS0_4arch9wavefront6targetE0EEEvSP_,"axG",@progbits,_ZN7rocprim17ROCPRIM_400000_NS6detail17trampoline_kernelINS0_14default_configENS1_32segmented_reduce_config_selectorIfEEZNS1_21segmented_reduce_implIS3_PKfPfPKifN6hipcub16HIPCUB_304000_NS6detail27convert_result_type_wrapperIS8_S9_N2at6native12_GLOBAL__N_19CustomMaxEEEEE10hipError_tPvRmT0_T1_jT2_SQ_T4_T3_P12ihipStream_tbEUlT_E_NS1_11comp_targetILNS1_3genE9ELNS1_11target_archE1100ELNS1_3gpuE3ELNS1_3repE0EEENS1_30default_config_static_selectorELNS0_4arch9wavefront6targetE0EEEvSP_,comdat
	.globl	_ZN7rocprim17ROCPRIM_400000_NS6detail17trampoline_kernelINS0_14default_configENS1_32segmented_reduce_config_selectorIfEEZNS1_21segmented_reduce_implIS3_PKfPfPKifN6hipcub16HIPCUB_304000_NS6detail27convert_result_type_wrapperIS8_S9_N2at6native12_GLOBAL__N_19CustomMaxEEEEE10hipError_tPvRmT0_T1_jT2_SQ_T4_T3_P12ihipStream_tbEUlT_E_NS1_11comp_targetILNS1_3genE9ELNS1_11target_archE1100ELNS1_3gpuE3ELNS1_3repE0EEENS1_30default_config_static_selectorELNS0_4arch9wavefront6targetE0EEEvSP_ ; -- Begin function _ZN7rocprim17ROCPRIM_400000_NS6detail17trampoline_kernelINS0_14default_configENS1_32segmented_reduce_config_selectorIfEEZNS1_21segmented_reduce_implIS3_PKfPfPKifN6hipcub16HIPCUB_304000_NS6detail27convert_result_type_wrapperIS8_S9_N2at6native12_GLOBAL__N_19CustomMaxEEEEE10hipError_tPvRmT0_T1_jT2_SQ_T4_T3_P12ihipStream_tbEUlT_E_NS1_11comp_targetILNS1_3genE9ELNS1_11target_archE1100ELNS1_3gpuE3ELNS1_3repE0EEENS1_30default_config_static_selectorELNS0_4arch9wavefront6targetE0EEEvSP_
	.p2align	8
	.type	_ZN7rocprim17ROCPRIM_400000_NS6detail17trampoline_kernelINS0_14default_configENS1_32segmented_reduce_config_selectorIfEEZNS1_21segmented_reduce_implIS3_PKfPfPKifN6hipcub16HIPCUB_304000_NS6detail27convert_result_type_wrapperIS8_S9_N2at6native12_GLOBAL__N_19CustomMaxEEEEE10hipError_tPvRmT0_T1_jT2_SQ_T4_T3_P12ihipStream_tbEUlT_E_NS1_11comp_targetILNS1_3genE9ELNS1_11target_archE1100ELNS1_3gpuE3ELNS1_3repE0EEENS1_30default_config_static_selectorELNS0_4arch9wavefront6targetE0EEEvSP_,@function
_ZN7rocprim17ROCPRIM_400000_NS6detail17trampoline_kernelINS0_14default_configENS1_32segmented_reduce_config_selectorIfEEZNS1_21segmented_reduce_implIS3_PKfPfPKifN6hipcub16HIPCUB_304000_NS6detail27convert_result_type_wrapperIS8_S9_N2at6native12_GLOBAL__N_19CustomMaxEEEEE10hipError_tPvRmT0_T1_jT2_SQ_T4_T3_P12ihipStream_tbEUlT_E_NS1_11comp_targetILNS1_3genE9ELNS1_11target_archE1100ELNS1_3gpuE3ELNS1_3repE0EEENS1_30default_config_static_selectorELNS0_4arch9wavefront6targetE0EEEvSP_: ; @_ZN7rocprim17ROCPRIM_400000_NS6detail17trampoline_kernelINS0_14default_configENS1_32segmented_reduce_config_selectorIfEEZNS1_21segmented_reduce_implIS3_PKfPfPKifN6hipcub16HIPCUB_304000_NS6detail27convert_result_type_wrapperIS8_S9_N2at6native12_GLOBAL__N_19CustomMaxEEEEE10hipError_tPvRmT0_T1_jT2_SQ_T4_T3_P12ihipStream_tbEUlT_E_NS1_11comp_targetILNS1_3genE9ELNS1_11target_archE1100ELNS1_3gpuE3ELNS1_3repE0EEENS1_30default_config_static_selectorELNS0_4arch9wavefront6targetE0EEEvSP_
; %bb.0:
	s_clause 0x2
	s_load_b256 s[4:11], s[0:1], 0x0
	s_load_b64 s[12:13], s[0:1], 0x20
	s_load_b32 s14, s[0:1], 0x2c
	s_mov_b32 s2, s15
	s_mov_b32 s3, 0
	v_cmp_eq_u32_e32 vcc_lo, 0, v0
	s_waitcnt lgkmcnt(0)
	s_lshl_b64 s[8:9], s[8:9], 2
	s_delay_alu instid0(SALU_CYCLE_1) | instskip(SKIP_4) | instid1(SALU_CYCLE_1)
	s_add_u32 s0, s10, s8
	s_addc_u32 s1, s11, s9
	s_add_u32 s12, s12, s8
	s_addc_u32 s13, s13, s9
	s_lshl_b64 s[10:11], s[2:3], 2
	s_add_u32 s0, s0, s10
	s_addc_u32 s1, s1, s11
	s_add_u32 s16, s12, s10
	s_addc_u32 s17, s13, s11
	s_load_b32 s12, s[0:1], 0x0
	s_load_b32 s2, s[16:17], 0x0
	s_waitcnt lgkmcnt(0)
	s_cmp_gt_i32 s2, s12
	s_cbranch_scc1 .LBB49_3
; %bb.1:
	s_and_b32 s3, vcc_lo, exec_lo
	s_cbranch_execz .LBB49_4
; %bb.2:
	v_mov_b32_e32 v1, s14
	s_and_saveexec_b32 s0, s3
	s_cbranch_execnz .LBB49_371
	s_branch .LBB49_372
.LBB49_3:
.LBB49_4:
	s_add_i32 s0, s12, 0x1000
	s_delay_alu instid0(SALU_CYCLE_1)
	s_cmp_le_i32 s0, s2
	s_cbranch_scc0 .LBB49_132
; %bb.5:
	s_ashr_i32 s13, s12, 31
	v_lshlrev_b32_e32 v18, 2, v0
	s_lshl_b64 s[16:17], s[12:13], 2
	s_delay_alu instid0(SALU_CYCLE_1) | instskip(SKIP_1) | instid1(VALU_DEP_1)
	s_add_u32 s16, s4, s16
	s_addc_u32 s17, s5, s17
	v_add_co_u32 v5, s1, s16, v18
	s_delay_alu instid0(VALU_DEP_1) | instskip(SKIP_1) | instid1(VALU_DEP_2)
	v_add_co_ci_u32_e64 v6, null, s17, 0, s1
	s_mov_b32 s1, exec_lo
	v_add_co_u32 v1, vcc_lo, 0x1000, v5
	s_delay_alu instid0(VALU_DEP_2)
	v_add_co_ci_u32_e32 v2, vcc_lo, 0, v6, vcc_lo
	v_add_co_u32 v19, vcc_lo, v5, 0x2000
	v_add_co_ci_u32_e32 v20, vcc_lo, 0, v6, vcc_lo
	v_add_co_u32 v3, vcc_lo, 0x2000, v5
	v_add_co_ci_u32_e32 v4, vcc_lo, 0, v6, vcc_lo
	global_load_b32 v9, v[19:20], off
	v_add_co_u32 v21, vcc_lo, 0x3000, v5
	v_add_co_ci_u32_e32 v22, vcc_lo, 0, v6, vcc_lo
	s_clause 0xe
	global_load_b32 v17, v18, s[16:17]
	global_load_b32 v16, v18, s[16:17] offset:1024
	global_load_b32 v15, v18, s[16:17] offset:2048
	;; [unrolled: 1-line block ×3, first 2 shown]
	global_load_b32 v12, v[1:2], off offset:1024
	global_load_b32 v11, v[1:2], off offset:2048
	;; [unrolled: 1-line block ×6, first 2 shown]
	global_load_b32 v4, v[21:22], off
	global_load_b32 v3, v[21:22], off offset:1024
	global_load_b32 v2, v[21:22], off offset:2048
	global_load_b32 v13, v[19:20], off offset:-4096
	global_load_b32 v1, v[21:22], off offset:3072
	s_waitcnt vmcnt(14)
	v_mov_b32_e32 v7, v17
	v_cmpx_o_f32_e32 v17, v17
	s_cbranch_execz .LBB49_9
; %bb.6:
	s_waitcnt vmcnt(13)
	v_mov_b32_e32 v7, v16
	s_mov_b32 s13, exec_lo
	v_cmpx_o_f32_e32 v16, v16
; %bb.7:
	v_cmp_lt_f32_e32 vcc_lo, v17, v16
	v_cndmask_b32_e32 v7, v17, v16, vcc_lo
; %bb.8:
	s_or_b32 exec_lo, exec_lo, s13
.LBB49_9:
	s_delay_alu instid0(SALU_CYCLE_1) | instskip(NEXT) | instid1(SALU_CYCLE_1)
	s_or_b32 exec_lo, exec_lo, s1
	s_mov_b32 s1, exec_lo
	s_delay_alu instid0(VALU_DEP_1)
	v_cmpx_o_f32_e32 v7, v7
	s_cbranch_execz .LBB49_13
; %bb.10:
	s_waitcnt vmcnt(12)
	v_mov_b32_e32 v19, v15
	s_mov_b32 s13, exec_lo
	v_cmpx_o_f32_e32 v15, v15
; %bb.11:
	v_cmp_lt_f32_e32 vcc_lo, v7, v15
	v_cndmask_b32_e32 v19, v7, v15, vcc_lo
; %bb.12:
	s_or_b32 exec_lo, exec_lo, s13
	s_delay_alu instid0(VALU_DEP_1)
	v_mov_b32_e32 v7, v19
.LBB49_13:
	s_or_b32 exec_lo, exec_lo, s1
	s_delay_alu instid0(SALU_CYCLE_1) | instskip(NEXT) | instid1(VALU_DEP_1)
	s_mov_b32 s1, exec_lo
	v_cmpx_o_f32_e32 v7, v7
	s_cbranch_execz .LBB49_17
; %bb.14:
	s_waitcnt vmcnt(11)
	v_mov_b32_e32 v19, v14
	s_mov_b32 s13, exec_lo
	v_cmpx_o_f32_e32 v14, v14
; %bb.15:
	v_cmp_lt_f32_e32 vcc_lo, v7, v14
	v_cndmask_b32_e32 v19, v7, v14, vcc_lo
; %bb.16:
	s_or_b32 exec_lo, exec_lo, s13
	s_delay_alu instid0(VALU_DEP_1)
	v_mov_b32_e32 v7, v19
.LBB49_17:
	s_or_b32 exec_lo, exec_lo, s1
	s_delay_alu instid0(SALU_CYCLE_1) | instskip(NEXT) | instid1(VALU_DEP_1)
	s_mov_b32 s1, exec_lo
	;; [unrolled: 18-line block ×6, first 2 shown]
	v_cmpx_o_f32_e32 v7, v7
	s_cbranch_execz .LBB49_37
; %bb.34:
	v_mov_b32_e32 v19, v9
	s_mov_b32 s13, exec_lo
	v_cmpx_o_f32_e32 v9, v9
; %bb.35:
	v_cmp_lt_f32_e32 vcc_lo, v7, v9
	v_cndmask_b32_e32 v19, v7, v9, vcc_lo
; %bb.36:
	s_or_b32 exec_lo, exec_lo, s13
	s_delay_alu instid0(VALU_DEP_1)
	v_mov_b32_e32 v7, v19
.LBB49_37:
	s_or_b32 exec_lo, exec_lo, s1
	s_delay_alu instid0(SALU_CYCLE_1) | instskip(NEXT) | instid1(VALU_DEP_1)
	s_mov_b32 s1, exec_lo
	v_cmpx_o_f32_e32 v7, v7
	s_cbranch_execz .LBB49_41
; %bb.38:
	s_waitcnt vmcnt(7)
	v_mov_b32_e32 v19, v8
	s_mov_b32 s13, exec_lo
	v_cmpx_o_f32_e32 v8, v8
; %bb.39:
	v_cmp_lt_f32_e32 vcc_lo, v7, v8
	v_cndmask_b32_e32 v19, v7, v8, vcc_lo
; %bb.40:
	s_or_b32 exec_lo, exec_lo, s13
	s_delay_alu instid0(VALU_DEP_1)
	v_mov_b32_e32 v7, v19
.LBB49_41:
	s_or_b32 exec_lo, exec_lo, s1
	s_delay_alu instid0(SALU_CYCLE_1) | instskip(NEXT) | instid1(VALU_DEP_1)
	s_mov_b32 s1, exec_lo
	v_cmpx_o_f32_e32 v7, v7
	s_cbranch_execz .LBB49_45
; %bb.42:
	s_waitcnt vmcnt(6)
	v_mov_b32_e32 v19, v6
	s_mov_b32 s13, exec_lo
	v_cmpx_o_f32_e32 v6, v6
; %bb.43:
	v_cmp_lt_f32_e32 vcc_lo, v7, v6
	v_cndmask_b32_e32 v19, v7, v6, vcc_lo
; %bb.44:
	s_or_b32 exec_lo, exec_lo, s13
	s_delay_alu instid0(VALU_DEP_1)
	v_mov_b32_e32 v7, v19
.LBB49_45:
	s_or_b32 exec_lo, exec_lo, s1
	s_delay_alu instid0(SALU_CYCLE_1) | instskip(NEXT) | instid1(VALU_DEP_1)
	s_mov_b32 s1, exec_lo
	v_cmpx_o_f32_e32 v7, v7
	s_cbranch_execz .LBB49_49
; %bb.46:
	s_waitcnt vmcnt(5)
	v_mov_b32_e32 v19, v5
	s_mov_b32 s13, exec_lo
	v_cmpx_o_f32_e32 v5, v5
; %bb.47:
	v_cmp_lt_f32_e32 vcc_lo, v7, v5
	v_cndmask_b32_e32 v19, v7, v5, vcc_lo
; %bb.48:
	s_or_b32 exec_lo, exec_lo, s13
	s_delay_alu instid0(VALU_DEP_1)
	v_mov_b32_e32 v7, v19
.LBB49_49:
	s_or_b32 exec_lo, exec_lo, s1
	s_delay_alu instid0(SALU_CYCLE_1) | instskip(NEXT) | instid1(VALU_DEP_1)
	s_mov_b32 s1, exec_lo
	v_cmpx_o_f32_e32 v7, v7
	s_cbranch_execz .LBB49_53
; %bb.50:
	s_waitcnt vmcnt(4)
	v_mov_b32_e32 v19, v4
	s_mov_b32 s13, exec_lo
	v_cmpx_o_f32_e32 v4, v4
; %bb.51:
	v_cmp_lt_f32_e32 vcc_lo, v7, v4
	v_cndmask_b32_e32 v19, v7, v4, vcc_lo
; %bb.52:
	s_or_b32 exec_lo, exec_lo, s13
	s_delay_alu instid0(VALU_DEP_1)
	v_mov_b32_e32 v7, v19
.LBB49_53:
	s_or_b32 exec_lo, exec_lo, s1
	s_delay_alu instid0(SALU_CYCLE_1) | instskip(NEXT) | instid1(VALU_DEP_1)
	s_mov_b32 s1, exec_lo
	v_cmpx_o_f32_e32 v7, v7
	s_cbranch_execz .LBB49_57
; %bb.54:
	s_waitcnt vmcnt(3)
	v_mov_b32_e32 v19, v3
	s_mov_b32 s13, exec_lo
	v_cmpx_o_f32_e32 v3, v3
; %bb.55:
	v_cmp_lt_f32_e32 vcc_lo, v7, v3
	v_cndmask_b32_e32 v19, v7, v3, vcc_lo
; %bb.56:
	s_or_b32 exec_lo, exec_lo, s13
	s_delay_alu instid0(VALU_DEP_1)
	v_mov_b32_e32 v7, v19
.LBB49_57:
	s_or_b32 exec_lo, exec_lo, s1
	s_delay_alu instid0(SALU_CYCLE_1) | instskip(NEXT) | instid1(VALU_DEP_1)
	s_mov_b32 s1, exec_lo
	v_cmpx_o_f32_e32 v7, v7
	s_cbranch_execz .LBB49_61
; %bb.58:
	s_waitcnt vmcnt(2)
	v_mov_b32_e32 v19, v2
	s_mov_b32 s13, exec_lo
	v_cmpx_o_f32_e32 v2, v2
; %bb.59:
	v_cmp_lt_f32_e32 vcc_lo, v7, v2
	v_cndmask_b32_e32 v19, v7, v2, vcc_lo
; %bb.60:
	s_or_b32 exec_lo, exec_lo, s13
	s_delay_alu instid0(VALU_DEP_1)
	v_mov_b32_e32 v7, v19
.LBB49_61:
	s_or_b32 exec_lo, exec_lo, s1
	s_delay_alu instid0(SALU_CYCLE_1) | instskip(NEXT) | instid1(VALU_DEP_1)
	s_mov_b32 s1, exec_lo
	v_cmpx_o_f32_e32 v7, v7
	s_cbranch_execz .LBB49_65
; %bb.62:
	s_waitcnt vmcnt(0)
	v_mov_b32_e32 v19, v1
	s_mov_b32 s13, exec_lo
	v_cmpx_o_f32_e32 v1, v1
; %bb.63:
	v_cmp_lt_f32_e32 vcc_lo, v7, v1
	v_cndmask_b32_e32 v19, v7, v1, vcc_lo
; %bb.64:
	s_or_b32 exec_lo, exec_lo, s13
	s_delay_alu instid0(VALU_DEP_1)
	v_mov_b32_e32 v7, v19
.LBB49_65:
	s_or_b32 exec_lo, exec_lo, s1
	s_add_i32 s1, s12, 0x2000
	s_delay_alu instid0(SALU_CYCLE_1)
	s_cmp_ge_i32 s1, s2
	s_cbranch_scc1 .LBB49_133
; %bb.66:
	v_add_co_u32 v19, s1, s4, v18
	s_delay_alu instid0(VALU_DEP_1)
	v_add_co_ci_u32_e64 v20, null, s5, 0, s1
	s_branch .LBB49_69
.LBB49_67:                              ;   in Loop: Header=BB49_69 Depth=1
	s_or_b32 exec_lo, exec_lo, s13
	s_delay_alu instid0(VALU_DEP_1)
	v_mov_b32_e32 v7, v21
.LBB49_68:                              ;   in Loop: Header=BB49_69 Depth=1
	s_or_b32 exec_lo, exec_lo, s1
	s_add_i32 s1, s0, 0x2000
	s_addk_i32 s0, 0x1000
	s_cmp_lt_i32 s1, s2
	s_cbranch_scc0 .LBB49_133
.LBB49_69:                              ; =>This Inner Loop Header: Depth=1
	s_ashr_i32 s1, s0, 31
	s_delay_alu instid0(SALU_CYCLE_1) | instskip(SKIP_4) | instid1(VALU_DEP_2)
	s_lshl_b64 s[16:17], s[0:1], 2
	s_mov_b32 s1, exec_lo
	s_waitcnt vmcnt(0)
	v_add_co_u32 v1, vcc_lo, v19, s16
	v_add_co_ci_u32_e32 v2, vcc_lo, s17, v20, vcc_lo
	v_add_co_u32 v3, vcc_lo, 0x1000, v1
	s_delay_alu instid0(VALU_DEP_2)
	v_add_co_ci_u32_e32 v4, vcc_lo, 0, v2, vcc_lo
	v_add_co_u32 v21, vcc_lo, v1, 0x2000
	v_add_co_ci_u32_e32 v22, vcc_lo, 0, v2, vcc_lo
	v_add_co_u32 v23, vcc_lo, 0x2000, v1
	;; [unrolled: 2-line block ×3, first 2 shown]
	global_load_b32 v9, v[21:22], off
	v_add_co_ci_u32_e32 v26, vcc_lo, 0, v2, vcc_lo
	s_clause 0xe
	global_load_b32 v17, v[1:2], off
	global_load_b32 v16, v[1:2], off offset:1024
	global_load_b32 v15, v[1:2], off offset:2048
	;; [unrolled: 1-line block ×9, first 2 shown]
	global_load_b32 v4, v[25:26], off
	global_load_b32 v3, v[25:26], off offset:1024
	global_load_b32 v2, v[25:26], off offset:2048
	global_load_b32 v13, v[21:22], off offset:-4096
	global_load_b32 v1, v[25:26], off offset:3072
	v_cmpx_o_f32_e32 v7, v7
	s_cbranch_execz .LBB49_73
; %bb.70:                               ;   in Loop: Header=BB49_69 Depth=1
	s_waitcnt vmcnt(14)
	v_mov_b32_e32 v21, v17
	s_mov_b32 s13, exec_lo
	v_cmpx_o_f32_e32 v17, v17
; %bb.71:                               ;   in Loop: Header=BB49_69 Depth=1
	v_cmp_lt_f32_e32 vcc_lo, v7, v17
	v_cndmask_b32_e32 v21, v7, v17, vcc_lo
; %bb.72:                               ;   in Loop: Header=BB49_69 Depth=1
	s_or_b32 exec_lo, exec_lo, s13
	s_delay_alu instid0(VALU_DEP_1)
	v_mov_b32_e32 v7, v21
.LBB49_73:                              ;   in Loop: Header=BB49_69 Depth=1
	s_or_b32 exec_lo, exec_lo, s1
	s_delay_alu instid0(SALU_CYCLE_1) | instskip(NEXT) | instid1(VALU_DEP_1)
	s_mov_b32 s1, exec_lo
	v_cmpx_o_f32_e32 v7, v7
	s_cbranch_execz .LBB49_77
; %bb.74:                               ;   in Loop: Header=BB49_69 Depth=1
	s_waitcnt vmcnt(13)
	v_mov_b32_e32 v21, v16
	s_mov_b32 s13, exec_lo
	v_cmpx_o_f32_e32 v16, v16
; %bb.75:                               ;   in Loop: Header=BB49_69 Depth=1
	v_cmp_lt_f32_e32 vcc_lo, v7, v16
	v_cndmask_b32_e32 v21, v7, v16, vcc_lo
; %bb.76:                               ;   in Loop: Header=BB49_69 Depth=1
	s_or_b32 exec_lo, exec_lo, s13
	s_delay_alu instid0(VALU_DEP_1)
	v_mov_b32_e32 v7, v21
.LBB49_77:                              ;   in Loop: Header=BB49_69 Depth=1
	s_or_b32 exec_lo, exec_lo, s1
	s_delay_alu instid0(SALU_CYCLE_1) | instskip(NEXT) | instid1(VALU_DEP_1)
	s_mov_b32 s1, exec_lo
	;; [unrolled: 18-line block ×7, first 2 shown]
	v_cmpx_o_f32_e32 v7, v7
	s_cbranch_execz .LBB49_101
; %bb.98:                               ;   in Loop: Header=BB49_69 Depth=1
	s_waitcnt vmcnt(8)
	v_mov_b32_e32 v21, v10
	s_mov_b32 s13, exec_lo
	v_cmpx_o_f32_e32 v10, v10
; %bb.99:                               ;   in Loop: Header=BB49_69 Depth=1
	v_cmp_lt_f32_e32 vcc_lo, v7, v10
	v_cndmask_b32_e32 v21, v7, v10, vcc_lo
; %bb.100:                              ;   in Loop: Header=BB49_69 Depth=1
	s_or_b32 exec_lo, exec_lo, s13
	s_delay_alu instid0(VALU_DEP_1)
	v_mov_b32_e32 v7, v21
.LBB49_101:                             ;   in Loop: Header=BB49_69 Depth=1
	s_or_b32 exec_lo, exec_lo, s1
	s_delay_alu instid0(SALU_CYCLE_1) | instskip(NEXT) | instid1(VALU_DEP_1)
	s_mov_b32 s1, exec_lo
	v_cmpx_o_f32_e32 v7, v7
	s_cbranch_execz .LBB49_105
; %bb.102:                              ;   in Loop: Header=BB49_69 Depth=1
	s_waitcnt vmcnt(15)
	v_mov_b32_e32 v21, v9
	s_mov_b32 s13, exec_lo
	v_cmpx_o_f32_e32 v9, v9
; %bb.103:                              ;   in Loop: Header=BB49_69 Depth=1
	v_cmp_lt_f32_e32 vcc_lo, v7, v9
	v_cndmask_b32_e32 v21, v7, v9, vcc_lo
; %bb.104:                              ;   in Loop: Header=BB49_69 Depth=1
	s_or_b32 exec_lo, exec_lo, s13
	s_delay_alu instid0(VALU_DEP_1)
	v_mov_b32_e32 v7, v21
.LBB49_105:                             ;   in Loop: Header=BB49_69 Depth=1
	s_or_b32 exec_lo, exec_lo, s1
	s_delay_alu instid0(SALU_CYCLE_1) | instskip(NEXT) | instid1(VALU_DEP_1)
	s_mov_b32 s1, exec_lo
	v_cmpx_o_f32_e32 v7, v7
	s_cbranch_execz .LBB49_109
; %bb.106:                              ;   in Loop: Header=BB49_69 Depth=1
	s_waitcnt vmcnt(7)
	v_mov_b32_e32 v21, v8
	s_mov_b32 s13, exec_lo
	v_cmpx_o_f32_e32 v8, v8
; %bb.107:                              ;   in Loop: Header=BB49_69 Depth=1
	v_cmp_lt_f32_e32 vcc_lo, v7, v8
	v_cndmask_b32_e32 v21, v7, v8, vcc_lo
; %bb.108:                              ;   in Loop: Header=BB49_69 Depth=1
	s_or_b32 exec_lo, exec_lo, s13
	s_delay_alu instid0(VALU_DEP_1)
	v_mov_b32_e32 v7, v21
.LBB49_109:                             ;   in Loop: Header=BB49_69 Depth=1
	;; [unrolled: 18-line block ×7, first 2 shown]
	s_or_b32 exec_lo, exec_lo, s1
	s_delay_alu instid0(SALU_CYCLE_1) | instskip(NEXT) | instid1(VALU_DEP_1)
	s_mov_b32 s1, exec_lo
	v_cmpx_o_f32_e32 v7, v7
	s_cbranch_execz .LBB49_68
; %bb.130:                              ;   in Loop: Header=BB49_69 Depth=1
	s_waitcnt vmcnt(0)
	v_mov_b32_e32 v21, v1
	s_mov_b32 s13, exec_lo
	v_cmpx_o_f32_e32 v1, v1
	s_cbranch_execz .LBB49_67
; %bb.131:                              ;   in Loop: Header=BB49_69 Depth=1
	v_cmp_lt_f32_e32 vcc_lo, v7, v1
	v_cndmask_b32_e32 v21, v7, v1, vcc_lo
	s_branch .LBB49_67
.LBB49_132:
                                        ; implicit-def: $vgpr2
	s_cbranch_execnz .LBB49_266
	s_branch .LBB49_364
.LBB49_133:
	s_ashr_i32 s1, s0, 31
	s_sub_i32 s13, s2, s0
	s_lshl_b64 s[0:1], s[0:1], 2
	s_mov_b32 s15, exec_lo
	s_add_u32 s0, s4, s0
	s_addc_u32 s1, s5, s1
	v_cmpx_gt_u32_e64 s13, v0
	s_cbranch_execz .LBB49_135
; %bb.134:
	global_load_b32 v17, v18, s[0:1]
.LBB49_135:
	s_or_b32 exec_lo, exec_lo, s15
	v_or_b32_e32 v32, 0x100, v0
	s_mov_b32 s15, exec_lo
	s_delay_alu instid0(VALU_DEP_1)
	v_cmpx_gt_u32_e64 s13, v32
	s_cbranch_execz .LBB49_137
; %bb.136:
	global_load_b32 v16, v18, s[0:1] offset:1024
.LBB49_137:
	s_or_b32 exec_lo, exec_lo, s15
	v_or_b32_e32 v31, 0x200, v0
	s_mov_b32 s15, exec_lo
	s_delay_alu instid0(VALU_DEP_1)
	v_cmpx_gt_u32_e64 s13, v31
	s_cbranch_execz .LBB49_139
; %bb.138:
	global_load_b32 v15, v18, s[0:1] offset:2048
.LBB49_139:
	s_or_b32 exec_lo, exec_lo, s15
	v_or_b32_e32 v30, 0x300, v0
	s_mov_b32 s15, exec_lo
	s_delay_alu instid0(VALU_DEP_1)
	v_cmpx_gt_u32_e64 s13, v30
	s_cbranch_execz .LBB49_141
; %bb.140:
	global_load_b32 v14, v18, s[0:1] offset:3072
.LBB49_141:
	s_or_b32 exec_lo, exec_lo, s15
	v_or_b32_e32 v29, 0x400, v0
	s_mov_b32 s15, exec_lo
	s_delay_alu instid0(VALU_DEP_1)
	v_cmpx_gt_u32_e64 s13, v29
	s_cbranch_execz .LBB49_143
; %bb.142:
	s_waitcnt vmcnt(1)
	v_lshlrev_b32_e32 v13, 2, v29
	global_load_b32 v13, v13, s[0:1]
.LBB49_143:
	s_or_b32 exec_lo, exec_lo, s15
	v_or_b32_e32 v28, 0x500, v0
	s_mov_b32 s15, exec_lo
	s_delay_alu instid0(VALU_DEP_1)
	v_cmpx_gt_u32_e64 s13, v28
	s_cbranch_execz .LBB49_145
; %bb.144:
	s_waitcnt vmcnt(10)
	v_lshlrev_b32_e32 v12, 2, v28
	global_load_b32 v12, v12, s[0:1]
.LBB49_145:
	;; [unrolled: 11-line block ×12, first 2 shown]
	s_or_b32 exec_lo, exec_lo, s15
	v_cmp_gt_u32_e32 vcc_lo, s13, v0
	v_cmp_o_f32_e64 s0, v7, v7
	s_delay_alu instid0(VALU_DEP_1) | instskip(NEXT) | instid1(SALU_CYCLE_1)
	s_and_b32 s1, vcc_lo, s0
	s_and_saveexec_b32 s0, s1
	s_cbranch_execz .LBB49_169
; %bb.166:
	s_mov_b32 s1, exec_lo
	s_waitcnt vmcnt(0)
	v_cmpx_o_f32_e32 v17, v17
; %bb.167:
	v_cmp_lt_f32_e32 vcc_lo, v7, v17
	v_cndmask_b32_e32 v17, v7, v17, vcc_lo
; %bb.168:
	s_or_b32 exec_lo, exec_lo, s1
	s_delay_alu instid0(VALU_DEP_1)
	v_mov_b32_e32 v7, v17
.LBB49_169:
	s_or_b32 exec_lo, exec_lo, s0
	v_cmp_gt_u32_e32 vcc_lo, s13, v32
	s_delay_alu instid0(VALU_DEP_2) | instskip(NEXT) | instid1(VALU_DEP_1)
	v_cmp_o_f32_e64 s0, v7, v7
	s_and_b32 s1, vcc_lo, s0
	s_delay_alu instid0(SALU_CYCLE_1)
	s_and_saveexec_b32 s0, s1
	s_cbranch_execz .LBB49_173
; %bb.170:
	s_mov_b32 s1, exec_lo
	s_waitcnt vmcnt(0)
	v_cmpx_o_f32_e32 v16, v16
; %bb.171:
	v_cmp_lt_f32_e32 vcc_lo, v7, v16
	v_cndmask_b32_e32 v16, v7, v16, vcc_lo
; %bb.172:
	s_or_b32 exec_lo, exec_lo, s1
	s_delay_alu instid0(VALU_DEP_1)
	v_mov_b32_e32 v7, v16
.LBB49_173:
	s_or_b32 exec_lo, exec_lo, s0
	v_cmp_gt_u32_e32 vcc_lo, s13, v31
	s_delay_alu instid0(VALU_DEP_2) | instskip(NEXT) | instid1(VALU_DEP_1)
	v_cmp_o_f32_e64 s0, v7, v7
	s_and_b32 s1, vcc_lo, s0
	s_delay_alu instid0(SALU_CYCLE_1)
	;; [unrolled: 20-line block ×15, first 2 shown]
	s_and_saveexec_b32 s0, s1
	s_cbranch_execz .LBB49_229
; %bb.226:
	s_mov_b32 s1, exec_lo
	s_waitcnt vmcnt(0)
	v_cmpx_o_f32_e32 v1, v1
; %bb.227:
	v_cmp_lt_f32_e32 vcc_lo, v7, v1
	v_cndmask_b32_e32 v1, v7, v1, vcc_lo
; %bb.228:
	s_or_b32 exec_lo, exec_lo, s1
	s_delay_alu instid0(VALU_DEP_1)
	v_mov_b32_e32 v7, v1
.LBB49_229:
	s_or_b32 exec_lo, exec_lo, s0
	s_waitcnt vmcnt(0)
	s_delay_alu instid0(VALU_DEP_1) | instskip(SKIP_1) | instid1(VALU_DEP_1)
	v_mov_b32_dpp v1, v7 quad_perm:[1,0,3,2] row_mask:0xf bank_mask:0xf
	s_mov_b32 s0, exec_lo
	v_cmpx_o_f32_e32 v1, v1
	s_xor_b32 s0, exec_lo, s0
	s_cbranch_execz .LBB49_233
; %bb.230:
	s_mov_b32 s1, exec_lo
	v_cmpx_o_f32_e32 v7, v7
; %bb.231:
	v_cmp_gt_f32_e32 vcc_lo, v7, v1
	v_cndmask_b32_e32 v7, v1, v7, vcc_lo
; %bb.232:
	s_or_b32 exec_lo, exec_lo, s1
	s_delay_alu instid0(VALU_DEP_1)
	v_mov_b32_e32 v1, v7
.LBB49_233:
	s_or_b32 exec_lo, exec_lo, s0
	s_delay_alu instid0(VALU_DEP_1) | instskip(SKIP_1) | instid1(VALU_DEP_1)
	v_mov_b32_dpp v2, v1 quad_perm:[2,3,0,1] row_mask:0xf bank_mask:0xf
	s_mov_b32 s0, exec_lo
	v_cmpx_o_f32_e32 v2, v2
	s_cbranch_execz .LBB49_237
; %bb.234:
	s_mov_b32 s1, exec_lo
	v_cmpx_o_f32_e32 v1, v1
; %bb.235:
	v_cmp_gt_f32_e32 vcc_lo, v1, v2
	v_cndmask_b32_e32 v1, v2, v1, vcc_lo
; %bb.236:
	s_or_b32 exec_lo, exec_lo, s1
	s_delay_alu instid0(VALU_DEP_1)
	v_mov_b32_e32 v2, v1
.LBB49_237:
	s_or_b32 exec_lo, exec_lo, s0
	s_delay_alu instid0(VALU_DEP_1) | instskip(SKIP_1) | instid1(VALU_DEP_1)
	v_mov_b32_dpp v1, v2 row_ror:4 row_mask:0xf bank_mask:0xf
	s_mov_b32 s0, exec_lo
	v_cmpx_o_f32_e32 v1, v1
	s_cbranch_execz .LBB49_241
; %bb.238:
	s_mov_b32 s1, exec_lo
	v_cmpx_o_f32_e32 v2, v2
; %bb.239:
	v_cmp_gt_f32_e32 vcc_lo, v2, v1
	v_cndmask_b32_e32 v2, v1, v2, vcc_lo
; %bb.240:
	s_or_b32 exec_lo, exec_lo, s1
	s_delay_alu instid0(VALU_DEP_1)
	v_mov_b32_e32 v1, v2
.LBB49_241:
	s_or_b32 exec_lo, exec_lo, s0
	s_delay_alu instid0(VALU_DEP_1) | instskip(SKIP_1) | instid1(VALU_DEP_1)
	v_mov_b32_dpp v2, v1 row_ror:8 row_mask:0xf bank_mask:0xf
	s_mov_b32 s0, exec_lo
	v_cmpx_o_f32_e32 v2, v2
	s_cbranch_execz .LBB49_245
; %bb.242:
	s_mov_b32 s1, exec_lo
	v_cmpx_o_f32_e32 v1, v1
; %bb.243:
	v_cmp_gt_f32_e32 vcc_lo, v1, v2
	v_cndmask_b32_e32 v1, v2, v1, vcc_lo
; %bb.244:
	s_or_b32 exec_lo, exec_lo, s1
	s_delay_alu instid0(VALU_DEP_1)
	v_mov_b32_e32 v2, v1
.LBB49_245:
	s_or_b32 exec_lo, exec_lo, s0
	ds_swizzle_b32 v1, v2 offset:swizzle(BROADCAST,32,15)
	s_mov_b32 s0, exec_lo
	s_waitcnt lgkmcnt(0)
	v_cmpx_o_f32_e32 v1, v1
	s_cbranch_execz .LBB49_249
; %bb.246:
	s_mov_b32 s1, exec_lo
	v_cmpx_o_f32_e32 v2, v2
; %bb.247:
	v_cmp_gt_f32_e32 vcc_lo, v2, v1
	v_cndmask_b32_e32 v2, v1, v2, vcc_lo
; %bb.248:
	s_or_b32 exec_lo, exec_lo, s1
	s_delay_alu instid0(VALU_DEP_1)
	v_mov_b32_e32 v1, v2
.LBB49_249:
	s_or_b32 exec_lo, exec_lo, s0
	v_mov_b32_e32 v2, 0
	s_mov_b32 s0, exec_lo
	ds_bpermute_b32 v2, v2, v1 offset:124
	v_mbcnt_lo_u32_b32 v1, -1, 0
	s_delay_alu instid0(VALU_DEP_1)
	v_cmpx_eq_u32_e32 0, v1
	s_cbranch_execz .LBB49_251
; %bb.250:
	v_lshrrev_b32_e32 v3, 3, v0
	s_delay_alu instid0(VALU_DEP_1)
	v_and_b32_e32 v3, 28, v3
	s_waitcnt lgkmcnt(0)
	ds_store_b32 v3, v2
.LBB49_251:
	s_or_b32 exec_lo, exec_lo, s0
	s_delay_alu instid0(SALU_CYCLE_1)
	s_mov_b32 s0, exec_lo
	s_waitcnt lgkmcnt(0)
	s_barrier
	buffer_gl0_inv
	v_cmpx_gt_u32_e32 32, v0
	s_cbranch_execz .LBB49_265
; %bb.252:
	v_and_b32_e32 v3, 7, v1
	s_mov_b32 s1, exec_lo
	s_delay_alu instid0(VALU_DEP_1) | instskip(SKIP_3) | instid1(VALU_DEP_1)
	v_lshlrev_b32_e32 v2, 2, v3
	v_cmp_ne_u32_e32 vcc_lo, 7, v3
	ds_load_b32 v2, v2
	v_add_co_ci_u32_e32 v4, vcc_lo, 0, v1, vcc_lo
	v_lshlrev_b32_e32 v4, 2, v4
	s_waitcnt lgkmcnt(0)
	ds_bpermute_b32 v4, v4, v2
	v_cmpx_o_f32_e32 v2, v2
	s_cbranch_execz .LBB49_256
; %bb.253:
	s_mov_b32 s13, exec_lo
	s_waitcnt lgkmcnt(0)
	v_cmpx_o_f32_e32 v4, v4
; %bb.254:
	v_cmp_lt_f32_e32 vcc_lo, v2, v4
	v_cndmask_b32_e32 v4, v2, v4, vcc_lo
; %bb.255:
	s_or_b32 exec_lo, exec_lo, s13
	s_delay_alu instid0(VALU_DEP_1)
	v_mov_b32_e32 v2, v4
.LBB49_256:
	s_or_b32 exec_lo, exec_lo, s1
	v_cmp_gt_u32_e32 vcc_lo, 6, v3
	s_mov_b32 s1, exec_lo
	s_waitcnt lgkmcnt(0)
	v_cndmask_b32_e64 v4, 0, 1, vcc_lo
	s_delay_alu instid0(VALU_DEP_1) | instskip(NEXT) | instid1(VALU_DEP_1)
	v_lshlrev_b32_e32 v4, 1, v4
	v_add_lshl_u32 v4, v4, v1, 2
	ds_bpermute_b32 v4, v4, v2
	v_cmpx_o_f32_e32 v2, v2
	s_cbranch_execz .LBB49_260
; %bb.257:
	s_mov_b32 s13, exec_lo
	s_waitcnt lgkmcnt(0)
	v_cmpx_o_f32_e32 v4, v4
; %bb.258:
	v_cmp_lt_f32_e32 vcc_lo, v2, v4
	v_cndmask_b32_e32 v4, v2, v4, vcc_lo
; %bb.259:
	s_or_b32 exec_lo, exec_lo, s13
	s_delay_alu instid0(VALU_DEP_1)
	v_mov_b32_e32 v2, v4
.LBB49_260:
	s_or_b32 exec_lo, exec_lo, s1
	v_cmp_gt_u32_e32 vcc_lo, 4, v3
	s_mov_b32 s1, exec_lo
	v_cndmask_b32_e64 v3, 0, 1, vcc_lo
	s_delay_alu instid0(VALU_DEP_1) | instskip(NEXT) | instid1(VALU_DEP_1)
	v_lshlrev_b32_e32 v3, 2, v3
	v_add_lshl_u32 v1, v3, v1, 2
	ds_bpermute_b32 v1, v1, v2
	v_cmpx_o_f32_e32 v2, v2
	s_cbranch_execz .LBB49_264
; %bb.261:
	s_mov_b32 s13, exec_lo
	s_waitcnt lgkmcnt(0)
	v_cmpx_o_f32_e32 v1, v1
; %bb.262:
	v_cmp_lt_f32_e32 vcc_lo, v2, v1
	v_cndmask_b32_e32 v1, v2, v1, vcc_lo
; %bb.263:
	s_or_b32 exec_lo, exec_lo, s13
	s_delay_alu instid0(VALU_DEP_1)
	v_mov_b32_e32 v2, v1
.LBB49_264:
	s_or_b32 exec_lo, exec_lo, s1
.LBB49_265:
	s_delay_alu instid0(SALU_CYCLE_1)
	s_or_b32 exec_lo, exec_lo, s0
	s_branch .LBB49_364
.LBB49_266:
	s_sub_i32 s1, s2, s12
	s_mov_b32 s0, exec_lo
                                        ; implicit-def: $vgpr4
	v_cmpx_gt_u32_e64 s1, v0
	s_cbranch_execz .LBB49_276
; %bb.267:
	s_waitcnt lgkmcnt(0)
	v_add_nc_u32_e32 v1, s12, v0
	s_mov_b32 s12, exec_lo
	s_delay_alu instid0(VALU_DEP_1) | instskip(NEXT) | instid1(VALU_DEP_1)
	v_ashrrev_i32_e32 v2, 31, v1
	v_lshlrev_b64 v[2:3], 2, v[1:2]
	v_add_nc_u32_e32 v1, 0x100, v1
	s_delay_alu instid0(VALU_DEP_2) | instskip(NEXT) | instid1(VALU_DEP_3)
	v_add_co_u32 v2, vcc_lo, s4, v2
	v_add_co_ci_u32_e32 v3, vcc_lo, s5, v3, vcc_lo
	global_load_b32 v4, v[2:3], off
	v_cmpx_gt_i32_e64 s2, v1
	s_cbranch_execz .LBB49_275
; %bb.268:
	s_mov_b32 s13, 0
	s_set_inst_prefetch_distance 0x1
	s_branch .LBB49_271
	.p2align	6
.LBB49_269:                             ;   in Loop: Header=BB49_271 Depth=1
	s_or_b32 exec_lo, exec_lo, s16
	s_delay_alu instid0(VALU_DEP_1)
	v_mov_b32_e32 v4, v2
.LBB49_270:                             ;   in Loop: Header=BB49_271 Depth=1
	s_or_b32 exec_lo, exec_lo, s15
	v_add_nc_u32_e32 v1, 0x100, v1
	s_delay_alu instid0(VALU_DEP_1) | instskip(SKIP_1) | instid1(SALU_CYCLE_1)
	v_cmp_le_i32_e32 vcc_lo, s2, v1
	s_or_b32 s13, vcc_lo, s13
	s_and_not1_b32 exec_lo, exec_lo, s13
	s_cbranch_execz .LBB49_274
.LBB49_271:                             ; =>This Inner Loop Header: Depth=1
	s_mov_b32 s15, exec_lo
	s_waitcnt vmcnt(0)
	v_cmpx_o_f32_e32 v4, v4
	s_cbranch_execz .LBB49_270
; %bb.272:                              ;   in Loop: Header=BB49_271 Depth=1
	v_ashrrev_i32_e32 v2, 31, v1
	s_mov_b32 s16, exec_lo
	s_delay_alu instid0(VALU_DEP_1) | instskip(NEXT) | instid1(VALU_DEP_1)
	v_lshlrev_b64 v[2:3], 2, v[1:2]
	v_add_co_u32 v2, vcc_lo, s4, v2
	s_delay_alu instid0(VALU_DEP_2)
	v_add_co_ci_u32_e32 v3, vcc_lo, s5, v3, vcc_lo
	global_load_b32 v2, v[2:3], off
	s_waitcnt vmcnt(0)
	v_cmpx_o_f32_e32 v2, v2
	s_cbranch_execz .LBB49_269
; %bb.273:                              ;   in Loop: Header=BB49_271 Depth=1
	v_cmp_lt_f32_e32 vcc_lo, v4, v2
	v_cndmask_b32_e32 v2, v4, v2, vcc_lo
	s_branch .LBB49_269
.LBB49_274:
	s_set_inst_prefetch_distance 0x2
	s_or_b32 exec_lo, exec_lo, s13
.LBB49_275:
	s_delay_alu instid0(SALU_CYCLE_1)
	s_or_b32 exec_lo, exec_lo, s12
.LBB49_276:
	s_delay_alu instid0(SALU_CYCLE_1)
	s_or_b32 exec_lo, exec_lo, s0
	v_lshrrev_b32_e32 v3, 5, v0
	s_waitcnt lgkmcnt(0)
	v_mbcnt_lo_u32_b32 v1, -1, 0
	s_cmpk_lt_u32 s1, 0x100
	s_mov_b32 s0, -1
	s_cbranch_scc0 .LBB49_326
; %bb.277:
	s_delay_alu instid0(VALU_DEP_1) | instskip(SKIP_1) | instid1(VALU_DEP_1)
	v_cmp_ne_u32_e32 vcc_lo, 31, v1
	v_add_co_ci_u32_e32 v2, vcc_lo, 0, v1, vcc_lo
	v_lshlrev_b32_e32 v2, 2, v2
	s_waitcnt vmcnt(0)
	ds_bpermute_b32 v6, v2, v4
	v_and_b32_e32 v2, 0xe0, v0
	s_delay_alu instid0(VALU_DEP_1) | instskip(SKIP_1) | instid1(VALU_DEP_1)
	v_sub_nc_u32_e64 v5, s1, v2 clamp
	v_add_nc_u32_e32 v2, 1, v1
	v_cmp_lt_u32_e32 vcc_lo, v2, v5
	v_mov_b32_e32 v2, v4
	s_and_saveexec_b32 s0, vcc_lo
	s_cbranch_execz .LBB49_283
; %bb.278:
	v_mov_b32_e32 v2, v4
	s_mov_b32 s2, exec_lo
	v_cmpx_o_f32_e32 v4, v4
	s_cbranch_execz .LBB49_282
; %bb.279:
	s_mov_b32 s4, exec_lo
	s_waitcnt lgkmcnt(0)
	v_cmpx_o_f32_e32 v6, v6
; %bb.280:
	v_cmp_lt_f32_e32 vcc_lo, v4, v6
	v_cndmask_b32_e32 v6, v4, v6, vcc_lo
; %bb.281:
	s_or_b32 exec_lo, exec_lo, s4
	s_delay_alu instid0(VALU_DEP_1)
	v_mov_b32_e32 v2, v6
.LBB49_282:
	s_or_b32 exec_lo, exec_lo, s2
.LBB49_283:
	s_delay_alu instid0(SALU_CYCLE_1)
	s_or_b32 exec_lo, exec_lo, s0
	v_cmp_gt_u32_e32 vcc_lo, 30, v1
	v_add_nc_u32_e32 v7, 2, v1
	s_mov_b32 s0, exec_lo
	s_waitcnt lgkmcnt(0)
	v_cndmask_b32_e64 v6, 0, 1, vcc_lo
	s_delay_alu instid0(VALU_DEP_1) | instskip(NEXT) | instid1(VALU_DEP_1)
	v_lshlrev_b32_e32 v6, 1, v6
	v_add_lshl_u32 v6, v6, v1, 2
	ds_bpermute_b32 v6, v6, v2
	v_cmpx_lt_u32_e64 v7, v5
	s_cbranch_execz .LBB49_289
; %bb.284:
	s_mov_b32 s2, exec_lo
	v_cmpx_o_f32_e32 v2, v2
	s_cbranch_execz .LBB49_288
; %bb.285:
	s_mov_b32 s4, exec_lo
	s_waitcnt lgkmcnt(0)
	v_cmpx_o_f32_e32 v6, v6
; %bb.286:
	v_cmp_lt_f32_e32 vcc_lo, v2, v6
	v_cndmask_b32_e32 v6, v2, v6, vcc_lo
; %bb.287:
	s_or_b32 exec_lo, exec_lo, s4
	s_delay_alu instid0(VALU_DEP_1)
	v_mov_b32_e32 v2, v6
.LBB49_288:
	s_or_b32 exec_lo, exec_lo, s2
.LBB49_289:
	s_delay_alu instid0(SALU_CYCLE_1)
	s_or_b32 exec_lo, exec_lo, s0
	v_cmp_gt_u32_e32 vcc_lo, 28, v1
	v_add_nc_u32_e32 v7, 4, v1
	s_mov_b32 s0, exec_lo
	s_waitcnt lgkmcnt(0)
	v_cndmask_b32_e64 v6, 0, 1, vcc_lo
	s_delay_alu instid0(VALU_DEP_1) | instskip(NEXT) | instid1(VALU_DEP_1)
	v_lshlrev_b32_e32 v6, 2, v6
	v_add_lshl_u32 v6, v6, v1, 2
	ds_bpermute_b32 v6, v6, v2
	v_cmpx_lt_u32_e64 v7, v5
	s_cbranch_execz .LBB49_295
; %bb.290:
	s_mov_b32 s2, exec_lo
	v_cmpx_o_f32_e32 v2, v2
	s_cbranch_execz .LBB49_294
; %bb.291:
	s_mov_b32 s4, exec_lo
	s_waitcnt lgkmcnt(0)
	v_cmpx_o_f32_e32 v6, v6
; %bb.292:
	v_cmp_lt_f32_e32 vcc_lo, v2, v6
	v_cndmask_b32_e32 v6, v2, v6, vcc_lo
; %bb.293:
	s_or_b32 exec_lo, exec_lo, s4
	s_delay_alu instid0(VALU_DEP_1)
	v_mov_b32_e32 v2, v6
.LBB49_294:
	s_or_b32 exec_lo, exec_lo, s2
.LBB49_295:
	;; [unrolled: 31-line block ×3, first 2 shown]
	s_delay_alu instid0(SALU_CYCLE_1)
	s_or_b32 exec_lo, exec_lo, s0
	v_cmp_gt_u32_e32 vcc_lo, 16, v1
	v_add_nc_u32_e32 v7, 16, v1
	v_cmp_o_f32_e64 s0, v2, v2
	s_waitcnt lgkmcnt(0)
	v_cndmask_b32_e64 v6, 0, 1, vcc_lo
	s_delay_alu instid0(VALU_DEP_3) | instskip(NEXT) | instid1(VALU_DEP_2)
	v_cmp_lt_u32_e32 vcc_lo, v7, v5
	v_lshlrev_b32_e32 v6, 4, v6
	s_and_b32 s2, vcc_lo, s0
	s_delay_alu instid0(VALU_DEP_1)
	v_add_lshl_u32 v6, v6, v1, 2
	ds_bpermute_b32 v6, v6, v2
	s_and_saveexec_b32 s0, s2
	s_cbranch_execz .LBB49_305
; %bb.302:
	s_mov_b32 s2, exec_lo
	s_waitcnt lgkmcnt(0)
	v_cmpx_o_f32_e32 v6, v6
; %bb.303:
	v_cmp_lt_f32_e32 vcc_lo, v2, v6
	v_cndmask_b32_e32 v6, v2, v6, vcc_lo
; %bb.304:
	s_or_b32 exec_lo, exec_lo, s2
	s_delay_alu instid0(VALU_DEP_1)
	v_mov_b32_e32 v2, v6
.LBB49_305:
	s_or_b32 exec_lo, exec_lo, s0
	s_delay_alu instid0(SALU_CYCLE_1)
	s_mov_b32 s0, exec_lo
	v_cmpx_eq_u32_e32 0, v1
	s_cbranch_execz .LBB49_307
; %bb.306:
	v_lshlrev_b32_e32 v5, 2, v3
	ds_store_b32 v5, v2
.LBB49_307:
	s_or_b32 exec_lo, exec_lo, s0
	s_delay_alu instid0(SALU_CYCLE_1)
	s_mov_b32 s2, exec_lo
	s_waitcnt lgkmcnt(0)
	s_barrier
	buffer_gl0_inv
	v_cmpx_gt_u32_e32 8, v0
	s_cbranch_execz .LBB49_325
; %bb.308:
	v_lshlrev_b32_e32 v2, 2, v1
	v_and_b32_e32 v5, 7, v1
	s_add_i32 s1, s1, 31
	s_delay_alu instid0(SALU_CYCLE_1)
	s_lshr_b32 s0, s1, 5
	ds_load_b32 v2, v2
	v_cmp_ne_u32_e32 vcc_lo, 7, v5
	v_add_nc_u32_e32 v7, 1, v5
	s_mov_b32 s1, exec_lo
	v_add_co_ci_u32_e32 v6, vcc_lo, 0, v1, vcc_lo
	s_delay_alu instid0(VALU_DEP_1)
	v_lshlrev_b32_e32 v6, 2, v6
	s_waitcnt lgkmcnt(0)
	ds_bpermute_b32 v6, v6, v2
	v_cmpx_gt_u32_e64 s0, v7
	s_cbranch_execz .LBB49_314
; %bb.309:
	s_mov_b32 s4, exec_lo
	v_cmpx_o_f32_e32 v2, v2
	s_cbranch_execz .LBB49_313
; %bb.310:
	s_mov_b32 s5, exec_lo
	s_waitcnt lgkmcnt(0)
	v_cmpx_o_f32_e32 v6, v6
; %bb.311:
	v_cmp_lt_f32_e32 vcc_lo, v2, v6
	v_cndmask_b32_e32 v6, v2, v6, vcc_lo
; %bb.312:
	s_or_b32 exec_lo, exec_lo, s5
	s_delay_alu instid0(VALU_DEP_1)
	v_mov_b32_e32 v2, v6
.LBB49_313:
	s_or_b32 exec_lo, exec_lo, s4
.LBB49_314:
	s_delay_alu instid0(SALU_CYCLE_1)
	s_or_b32 exec_lo, exec_lo, s1
	v_cmp_gt_u32_e32 vcc_lo, 6, v5
	v_add_nc_u32_e32 v7, 2, v5
	s_mov_b32 s1, exec_lo
	s_waitcnt lgkmcnt(0)
	v_cndmask_b32_e64 v6, 0, 1, vcc_lo
	s_delay_alu instid0(VALU_DEP_1) | instskip(NEXT) | instid1(VALU_DEP_1)
	v_lshlrev_b32_e32 v6, 1, v6
	v_add_lshl_u32 v6, v6, v1, 2
	ds_bpermute_b32 v6, v6, v2
	v_cmpx_gt_u32_e64 s0, v7
	s_cbranch_execz .LBB49_320
; %bb.315:
	s_mov_b32 s4, exec_lo
	v_cmpx_o_f32_e32 v2, v2
	s_cbranch_execz .LBB49_319
; %bb.316:
	s_mov_b32 s5, exec_lo
	s_waitcnt lgkmcnt(0)
	v_cmpx_o_f32_e32 v6, v6
; %bb.317:
	v_cmp_lt_f32_e32 vcc_lo, v2, v6
	v_cndmask_b32_e32 v6, v2, v6, vcc_lo
; %bb.318:
	s_or_b32 exec_lo, exec_lo, s5
	s_delay_alu instid0(VALU_DEP_1)
	v_mov_b32_e32 v2, v6
.LBB49_319:
	s_or_b32 exec_lo, exec_lo, s4
.LBB49_320:
	s_delay_alu instid0(SALU_CYCLE_1) | instskip(SKIP_4) | instid1(VALU_DEP_2)
	s_or_b32 exec_lo, exec_lo, s1
	v_cmp_gt_u32_e32 vcc_lo, 4, v5
	v_add_nc_u32_e32 v5, 4, v5
	s_waitcnt lgkmcnt(0)
	v_cndmask_b32_e64 v6, 0, 1, vcc_lo
	v_cmp_gt_u32_e32 vcc_lo, s0, v5
	v_cmp_o_f32_e64 s0, v2, v2
	s_delay_alu instid0(VALU_DEP_3) | instskip(NEXT) | instid1(VALU_DEP_2)
	v_lshlrev_b32_e32 v6, 2, v6
	s_and_b32 s1, vcc_lo, s0
	s_delay_alu instid0(VALU_DEP_1)
	v_add_lshl_u32 v6, v6, v1, 2
	ds_bpermute_b32 v6, v6, v2
	s_and_saveexec_b32 s0, s1
	s_cbranch_execz .LBB49_324
; %bb.321:
	s_mov_b32 s1, exec_lo
	s_waitcnt lgkmcnt(0)
	v_cmpx_o_f32_e32 v6, v6
; %bb.322:
	v_cmp_lt_f32_e32 vcc_lo, v2, v6
	v_cndmask_b32_e32 v6, v2, v6, vcc_lo
; %bb.323:
	s_or_b32 exec_lo, exec_lo, s1
	s_delay_alu instid0(VALU_DEP_1)
	v_mov_b32_e32 v2, v6
.LBB49_324:
	s_or_b32 exec_lo, exec_lo, s0
.LBB49_325:
	s_delay_alu instid0(SALU_CYCLE_1)
	s_or_b32 exec_lo, exec_lo, s2
	s_branch .LBB49_364
.LBB49_326:
                                        ; implicit-def: $vgpr2
	s_and_b32 vcc_lo, exec_lo, s0
	s_cbranch_vccz .LBB49_364
; %bb.327:
	s_waitcnt vmcnt(0)
	v_mov_b32_dpp v2, v4 quad_perm:[1,0,3,2] row_mask:0xf bank_mask:0xf
	s_mov_b32 s0, exec_lo
	s_delay_alu instid0(VALU_DEP_1)
	v_cmpx_o_f32_e32 v2, v2
	s_cbranch_execz .LBB49_331
; %bb.328:
	s_mov_b32 s1, exec_lo
	v_cmpx_o_f32_e32 v4, v4
; %bb.329:
	v_cmp_gt_f32_e32 vcc_lo, v4, v2
	v_cndmask_b32_e32 v4, v2, v4, vcc_lo
; %bb.330:
	s_or_b32 exec_lo, exec_lo, s1
	s_delay_alu instid0(VALU_DEP_1)
	v_mov_b32_e32 v2, v4
.LBB49_331:
	s_or_b32 exec_lo, exec_lo, s0
	s_delay_alu instid0(VALU_DEP_1) | instskip(SKIP_1) | instid1(VALU_DEP_1)
	v_mov_b32_dpp v4, v2 quad_perm:[2,3,0,1] row_mask:0xf bank_mask:0xf
	s_mov_b32 s0, exec_lo
	v_cmpx_o_f32_e32 v4, v4
	s_cbranch_execz .LBB49_335
; %bb.332:
	s_mov_b32 s1, exec_lo
	v_cmpx_o_f32_e32 v2, v2
; %bb.333:
	v_cmp_gt_f32_e32 vcc_lo, v2, v4
	v_cndmask_b32_e32 v2, v4, v2, vcc_lo
; %bb.334:
	s_or_b32 exec_lo, exec_lo, s1
	s_delay_alu instid0(VALU_DEP_1)
	v_mov_b32_e32 v4, v2
.LBB49_335:
	s_or_b32 exec_lo, exec_lo, s0
	s_delay_alu instid0(VALU_DEP_1) | instskip(SKIP_1) | instid1(VALU_DEP_1)
	v_mov_b32_dpp v2, v4 row_ror:4 row_mask:0xf bank_mask:0xf
	s_mov_b32 s0, exec_lo
	v_cmpx_o_f32_e32 v2, v2
	s_cbranch_execz .LBB49_339
; %bb.336:
	s_mov_b32 s1, exec_lo
	v_cmpx_o_f32_e32 v4, v4
; %bb.337:
	v_cmp_gt_f32_e32 vcc_lo, v4, v2
	v_cndmask_b32_e32 v4, v2, v4, vcc_lo
; %bb.338:
	s_or_b32 exec_lo, exec_lo, s1
	s_delay_alu instid0(VALU_DEP_1)
	v_mov_b32_e32 v2, v4
.LBB49_339:
	s_or_b32 exec_lo, exec_lo, s0
	s_delay_alu instid0(VALU_DEP_1) | instskip(SKIP_1) | instid1(VALU_DEP_1)
	v_mov_b32_dpp v4, v2 row_ror:8 row_mask:0xf bank_mask:0xf
	s_mov_b32 s0, exec_lo
	v_cmpx_o_f32_e32 v4, v4
	s_cbranch_execz .LBB49_343
; %bb.340:
	s_mov_b32 s1, exec_lo
	v_cmpx_o_f32_e32 v2, v2
; %bb.341:
	v_cmp_gt_f32_e32 vcc_lo, v2, v4
	v_cndmask_b32_e32 v2, v4, v2, vcc_lo
; %bb.342:
	s_or_b32 exec_lo, exec_lo, s1
	s_delay_alu instid0(VALU_DEP_1)
	v_mov_b32_e32 v4, v2
.LBB49_343:
	s_or_b32 exec_lo, exec_lo, s0
	ds_swizzle_b32 v2, v4 offset:swizzle(BROADCAST,32,15)
	s_mov_b32 s0, exec_lo
	s_waitcnt lgkmcnt(0)
	v_cmpx_o_f32_e32 v2, v2
	s_cbranch_execz .LBB49_347
; %bb.344:
	s_mov_b32 s1, exec_lo
	v_cmpx_o_f32_e32 v4, v4
; %bb.345:
	v_cmp_gt_f32_e32 vcc_lo, v4, v2
	v_cndmask_b32_e32 v4, v2, v4, vcc_lo
; %bb.346:
	s_or_b32 exec_lo, exec_lo, s1
	s_delay_alu instid0(VALU_DEP_1)
	v_mov_b32_e32 v2, v4
.LBB49_347:
	s_or_b32 exec_lo, exec_lo, s0
	v_mov_b32_e32 v4, 0
	s_mov_b32 s0, exec_lo
	ds_bpermute_b32 v2, v4, v2 offset:124
	v_cmpx_eq_u32_e32 0, v1
	s_cbranch_execz .LBB49_349
; %bb.348:
	v_lshlrev_b32_e32 v3, 2, v3
	s_waitcnt lgkmcnt(0)
	ds_store_b32 v3, v2
.LBB49_349:
	s_or_b32 exec_lo, exec_lo, s0
	s_delay_alu instid0(SALU_CYCLE_1)
	s_mov_b32 s0, exec_lo
	s_waitcnt lgkmcnt(0)
	s_barrier
	buffer_gl0_inv
	v_cmpx_gt_u32_e32 32, v0
	s_cbranch_execz .LBB49_363
; %bb.350:
	v_and_b32_e32 v3, 7, v1
	s_mov_b32 s1, exec_lo
	s_delay_alu instid0(VALU_DEP_1) | instskip(SKIP_3) | instid1(VALU_DEP_1)
	v_lshlrev_b32_e32 v2, 2, v3
	v_cmp_ne_u32_e32 vcc_lo, 7, v3
	ds_load_b32 v2, v2
	v_add_co_ci_u32_e32 v4, vcc_lo, 0, v1, vcc_lo
	v_lshlrev_b32_e32 v4, 2, v4
	s_waitcnt lgkmcnt(0)
	ds_bpermute_b32 v4, v4, v2
	v_cmpx_o_f32_e32 v2, v2
	s_cbranch_execz .LBB49_354
; %bb.351:
	s_mov_b32 s2, exec_lo
	s_waitcnt lgkmcnt(0)
	v_cmpx_o_f32_e32 v4, v4
; %bb.352:
	v_cmp_lt_f32_e32 vcc_lo, v2, v4
	v_cndmask_b32_e32 v4, v2, v4, vcc_lo
; %bb.353:
	s_or_b32 exec_lo, exec_lo, s2
	s_delay_alu instid0(VALU_DEP_1)
	v_mov_b32_e32 v2, v4
.LBB49_354:
	s_or_b32 exec_lo, exec_lo, s1
	v_cmp_gt_u32_e32 vcc_lo, 6, v3
	s_mov_b32 s1, exec_lo
	s_waitcnt lgkmcnt(0)
	v_cndmask_b32_e64 v4, 0, 1, vcc_lo
	s_delay_alu instid0(VALU_DEP_1) | instskip(NEXT) | instid1(VALU_DEP_1)
	v_lshlrev_b32_e32 v4, 1, v4
	v_add_lshl_u32 v4, v4, v1, 2
	ds_bpermute_b32 v4, v4, v2
	v_cmpx_o_f32_e32 v2, v2
	s_cbranch_execz .LBB49_358
; %bb.355:
	s_mov_b32 s2, exec_lo
	s_waitcnt lgkmcnt(0)
	v_cmpx_o_f32_e32 v4, v4
; %bb.356:
	v_cmp_lt_f32_e32 vcc_lo, v2, v4
	v_cndmask_b32_e32 v4, v2, v4, vcc_lo
; %bb.357:
	s_or_b32 exec_lo, exec_lo, s2
	s_delay_alu instid0(VALU_DEP_1)
	v_mov_b32_e32 v2, v4
.LBB49_358:
	s_or_b32 exec_lo, exec_lo, s1
	v_cmp_gt_u32_e32 vcc_lo, 4, v3
	s_mov_b32 s1, exec_lo
	v_cndmask_b32_e64 v3, 0, 1, vcc_lo
	s_delay_alu instid0(VALU_DEP_1) | instskip(NEXT) | instid1(VALU_DEP_1)
	v_lshlrev_b32_e32 v3, 2, v3
	v_add_lshl_u32 v1, v3, v1, 2
	ds_bpermute_b32 v1, v1, v2
	v_cmpx_o_f32_e32 v2, v2
	s_cbranch_execz .LBB49_362
; %bb.359:
	s_mov_b32 s2, exec_lo
	s_waitcnt lgkmcnt(0)
	v_cmpx_o_f32_e32 v1, v1
; %bb.360:
	v_cmp_lt_f32_e32 vcc_lo, v2, v1
	v_cndmask_b32_e32 v1, v2, v1, vcc_lo
; %bb.361:
	s_or_b32 exec_lo, exec_lo, s2
	s_delay_alu instid0(VALU_DEP_1)
	v_mov_b32_e32 v2, v1
.LBB49_362:
	s_or_b32 exec_lo, exec_lo, s1
.LBB49_363:
	s_delay_alu instid0(SALU_CYCLE_1)
	s_or_b32 exec_lo, exec_lo, s0
.LBB49_364:
	s_delay_alu instid0(SALU_CYCLE_1)
	s_mov_b32 s0, exec_lo
                                        ; implicit-def: $vgpr1
	v_cmpx_eq_u32_e32 0, v0
	s_cbranch_execz .LBB49_370
; %bb.365:
	v_cmp_u_f32_e64 s1, s14, s14
	s_waitcnt lgkmcnt(0)
	v_mov_b32_e32 v1, s14
	s_delay_alu instid0(VALU_DEP_2)
	s_and_b32 vcc_lo, exec_lo, s1
	s_cbranch_vccnz .LBB49_369
; %bb.366:
	s_mov_b32 s1, exec_lo
	v_cmpx_o_f32_e32 v2, v2
; %bb.367:
	v_cmp_lt_f32_e32 vcc_lo, s14, v2
	v_cndmask_b32_e32 v2, s14, v2, vcc_lo
; %bb.368:
	s_or_b32 exec_lo, exec_lo, s1
	s_delay_alu instid0(VALU_DEP_1)
	v_mov_b32_e32 v1, v2
.LBB49_369:
	s_or_b32 s3, s3, exec_lo
.LBB49_370:
	s_or_b32 exec_lo, exec_lo, s0
	s_and_saveexec_b32 s0, s3
	s_cbranch_execz .LBB49_372
.LBB49_371:
	s_add_u32 s0, s6, s8
	v_mov_b32_e32 v0, 0
	s_addc_u32 s1, s7, s9
	s_add_u32 s0, s0, s10
	s_addc_u32 s1, s1, s11
	s_waitcnt lgkmcnt(0)
	global_store_b32 v0, v1, s[0:1]
.LBB49_372:
	s_nop 0
	s_sendmsg sendmsg(MSG_DEALLOC_VGPRS)
	s_endpgm
	.section	.rodata,"a",@progbits
	.p2align	6, 0x0
	.amdhsa_kernel _ZN7rocprim17ROCPRIM_400000_NS6detail17trampoline_kernelINS0_14default_configENS1_32segmented_reduce_config_selectorIfEEZNS1_21segmented_reduce_implIS3_PKfPfPKifN6hipcub16HIPCUB_304000_NS6detail27convert_result_type_wrapperIS8_S9_N2at6native12_GLOBAL__N_19CustomMaxEEEEE10hipError_tPvRmT0_T1_jT2_SQ_T4_T3_P12ihipStream_tbEUlT_E_NS1_11comp_targetILNS1_3genE9ELNS1_11target_archE1100ELNS1_3gpuE3ELNS1_3repE0EEENS1_30default_config_static_selectorELNS0_4arch9wavefront6targetE0EEEvSP_
		.amdhsa_group_segment_fixed_size 32
		.amdhsa_private_segment_fixed_size 0
		.amdhsa_kernarg_size 48
		.amdhsa_user_sgpr_count 15
		.amdhsa_user_sgpr_dispatch_ptr 0
		.amdhsa_user_sgpr_queue_ptr 0
		.amdhsa_user_sgpr_kernarg_segment_ptr 1
		.amdhsa_user_sgpr_dispatch_id 0
		.amdhsa_user_sgpr_private_segment_size 0
		.amdhsa_wavefront_size32 1
		.amdhsa_uses_dynamic_stack 0
		.amdhsa_enable_private_segment 0
		.amdhsa_system_sgpr_workgroup_id_x 1
		.amdhsa_system_sgpr_workgroup_id_y 0
		.amdhsa_system_sgpr_workgroup_id_z 0
		.amdhsa_system_sgpr_workgroup_info 0
		.amdhsa_system_vgpr_workitem_id 0
		.amdhsa_next_free_vgpr 33
		.amdhsa_next_free_sgpr 18
		.amdhsa_reserve_vcc 1
		.amdhsa_float_round_mode_32 0
		.amdhsa_float_round_mode_16_64 0
		.amdhsa_float_denorm_mode_32 3
		.amdhsa_float_denorm_mode_16_64 3
		.amdhsa_dx10_clamp 1
		.amdhsa_ieee_mode 1
		.amdhsa_fp16_overflow 0
		.amdhsa_workgroup_processor_mode 1
		.amdhsa_memory_ordered 1
		.amdhsa_forward_progress 0
		.amdhsa_shared_vgpr_count 0
		.amdhsa_exception_fp_ieee_invalid_op 0
		.amdhsa_exception_fp_denorm_src 0
		.amdhsa_exception_fp_ieee_div_zero 0
		.amdhsa_exception_fp_ieee_overflow 0
		.amdhsa_exception_fp_ieee_underflow 0
		.amdhsa_exception_fp_ieee_inexact 0
		.amdhsa_exception_int_div_zero 0
	.end_amdhsa_kernel
	.section	.text._ZN7rocprim17ROCPRIM_400000_NS6detail17trampoline_kernelINS0_14default_configENS1_32segmented_reduce_config_selectorIfEEZNS1_21segmented_reduce_implIS3_PKfPfPKifN6hipcub16HIPCUB_304000_NS6detail27convert_result_type_wrapperIS8_S9_N2at6native12_GLOBAL__N_19CustomMaxEEEEE10hipError_tPvRmT0_T1_jT2_SQ_T4_T3_P12ihipStream_tbEUlT_E_NS1_11comp_targetILNS1_3genE9ELNS1_11target_archE1100ELNS1_3gpuE3ELNS1_3repE0EEENS1_30default_config_static_selectorELNS0_4arch9wavefront6targetE0EEEvSP_,"axG",@progbits,_ZN7rocprim17ROCPRIM_400000_NS6detail17trampoline_kernelINS0_14default_configENS1_32segmented_reduce_config_selectorIfEEZNS1_21segmented_reduce_implIS3_PKfPfPKifN6hipcub16HIPCUB_304000_NS6detail27convert_result_type_wrapperIS8_S9_N2at6native12_GLOBAL__N_19CustomMaxEEEEE10hipError_tPvRmT0_T1_jT2_SQ_T4_T3_P12ihipStream_tbEUlT_E_NS1_11comp_targetILNS1_3genE9ELNS1_11target_archE1100ELNS1_3gpuE3ELNS1_3repE0EEENS1_30default_config_static_selectorELNS0_4arch9wavefront6targetE0EEEvSP_,comdat
.Lfunc_end49:
	.size	_ZN7rocprim17ROCPRIM_400000_NS6detail17trampoline_kernelINS0_14default_configENS1_32segmented_reduce_config_selectorIfEEZNS1_21segmented_reduce_implIS3_PKfPfPKifN6hipcub16HIPCUB_304000_NS6detail27convert_result_type_wrapperIS8_S9_N2at6native12_GLOBAL__N_19CustomMaxEEEEE10hipError_tPvRmT0_T1_jT2_SQ_T4_T3_P12ihipStream_tbEUlT_E_NS1_11comp_targetILNS1_3genE9ELNS1_11target_archE1100ELNS1_3gpuE3ELNS1_3repE0EEENS1_30default_config_static_selectorELNS0_4arch9wavefront6targetE0EEEvSP_, .Lfunc_end49-_ZN7rocprim17ROCPRIM_400000_NS6detail17trampoline_kernelINS0_14default_configENS1_32segmented_reduce_config_selectorIfEEZNS1_21segmented_reduce_implIS3_PKfPfPKifN6hipcub16HIPCUB_304000_NS6detail27convert_result_type_wrapperIS8_S9_N2at6native12_GLOBAL__N_19CustomMaxEEEEE10hipError_tPvRmT0_T1_jT2_SQ_T4_T3_P12ihipStream_tbEUlT_E_NS1_11comp_targetILNS1_3genE9ELNS1_11target_archE1100ELNS1_3gpuE3ELNS1_3repE0EEENS1_30default_config_static_selectorELNS0_4arch9wavefront6targetE0EEEvSP_
                                        ; -- End function
	.section	.AMDGPU.csdata,"",@progbits
; Kernel info:
; codeLenInByte = 7000
; NumSgprs: 20
; NumVgprs: 33
; ScratchSize: 0
; MemoryBound: 0
; FloatMode: 240
; IeeeMode: 1
; LDSByteSize: 32 bytes/workgroup (compile time only)
; SGPRBlocks: 2
; VGPRBlocks: 4
; NumSGPRsForWavesPerEU: 20
; NumVGPRsForWavesPerEU: 33
; Occupancy: 16
; WaveLimiterHint : 1
; COMPUTE_PGM_RSRC2:SCRATCH_EN: 0
; COMPUTE_PGM_RSRC2:USER_SGPR: 15
; COMPUTE_PGM_RSRC2:TRAP_HANDLER: 0
; COMPUTE_PGM_RSRC2:TGID_X_EN: 1
; COMPUTE_PGM_RSRC2:TGID_Y_EN: 0
; COMPUTE_PGM_RSRC2:TGID_Z_EN: 0
; COMPUTE_PGM_RSRC2:TIDIG_COMP_CNT: 0
	.section	.text._ZN7rocprim17ROCPRIM_400000_NS6detail17trampoline_kernelINS0_14default_configENS1_32segmented_reduce_config_selectorIfEEZNS1_21segmented_reduce_implIS3_PKfPfPKifN6hipcub16HIPCUB_304000_NS6detail27convert_result_type_wrapperIS8_S9_N2at6native12_GLOBAL__N_19CustomMaxEEEEE10hipError_tPvRmT0_T1_jT2_SQ_T4_T3_P12ihipStream_tbEUlT_E_NS1_11comp_targetILNS1_3genE8ELNS1_11target_archE1030ELNS1_3gpuE2ELNS1_3repE0EEENS1_30default_config_static_selectorELNS0_4arch9wavefront6targetE0EEEvSP_,"axG",@progbits,_ZN7rocprim17ROCPRIM_400000_NS6detail17trampoline_kernelINS0_14default_configENS1_32segmented_reduce_config_selectorIfEEZNS1_21segmented_reduce_implIS3_PKfPfPKifN6hipcub16HIPCUB_304000_NS6detail27convert_result_type_wrapperIS8_S9_N2at6native12_GLOBAL__N_19CustomMaxEEEEE10hipError_tPvRmT0_T1_jT2_SQ_T4_T3_P12ihipStream_tbEUlT_E_NS1_11comp_targetILNS1_3genE8ELNS1_11target_archE1030ELNS1_3gpuE2ELNS1_3repE0EEENS1_30default_config_static_selectorELNS0_4arch9wavefront6targetE0EEEvSP_,comdat
	.globl	_ZN7rocprim17ROCPRIM_400000_NS6detail17trampoline_kernelINS0_14default_configENS1_32segmented_reduce_config_selectorIfEEZNS1_21segmented_reduce_implIS3_PKfPfPKifN6hipcub16HIPCUB_304000_NS6detail27convert_result_type_wrapperIS8_S9_N2at6native12_GLOBAL__N_19CustomMaxEEEEE10hipError_tPvRmT0_T1_jT2_SQ_T4_T3_P12ihipStream_tbEUlT_E_NS1_11comp_targetILNS1_3genE8ELNS1_11target_archE1030ELNS1_3gpuE2ELNS1_3repE0EEENS1_30default_config_static_selectorELNS0_4arch9wavefront6targetE0EEEvSP_ ; -- Begin function _ZN7rocprim17ROCPRIM_400000_NS6detail17trampoline_kernelINS0_14default_configENS1_32segmented_reduce_config_selectorIfEEZNS1_21segmented_reduce_implIS3_PKfPfPKifN6hipcub16HIPCUB_304000_NS6detail27convert_result_type_wrapperIS8_S9_N2at6native12_GLOBAL__N_19CustomMaxEEEEE10hipError_tPvRmT0_T1_jT2_SQ_T4_T3_P12ihipStream_tbEUlT_E_NS1_11comp_targetILNS1_3genE8ELNS1_11target_archE1030ELNS1_3gpuE2ELNS1_3repE0EEENS1_30default_config_static_selectorELNS0_4arch9wavefront6targetE0EEEvSP_
	.p2align	8
	.type	_ZN7rocprim17ROCPRIM_400000_NS6detail17trampoline_kernelINS0_14default_configENS1_32segmented_reduce_config_selectorIfEEZNS1_21segmented_reduce_implIS3_PKfPfPKifN6hipcub16HIPCUB_304000_NS6detail27convert_result_type_wrapperIS8_S9_N2at6native12_GLOBAL__N_19CustomMaxEEEEE10hipError_tPvRmT0_T1_jT2_SQ_T4_T3_P12ihipStream_tbEUlT_E_NS1_11comp_targetILNS1_3genE8ELNS1_11target_archE1030ELNS1_3gpuE2ELNS1_3repE0EEENS1_30default_config_static_selectorELNS0_4arch9wavefront6targetE0EEEvSP_,@function
_ZN7rocprim17ROCPRIM_400000_NS6detail17trampoline_kernelINS0_14default_configENS1_32segmented_reduce_config_selectorIfEEZNS1_21segmented_reduce_implIS3_PKfPfPKifN6hipcub16HIPCUB_304000_NS6detail27convert_result_type_wrapperIS8_S9_N2at6native12_GLOBAL__N_19CustomMaxEEEEE10hipError_tPvRmT0_T1_jT2_SQ_T4_T3_P12ihipStream_tbEUlT_E_NS1_11comp_targetILNS1_3genE8ELNS1_11target_archE1030ELNS1_3gpuE2ELNS1_3repE0EEENS1_30default_config_static_selectorELNS0_4arch9wavefront6targetE0EEEvSP_: ; @_ZN7rocprim17ROCPRIM_400000_NS6detail17trampoline_kernelINS0_14default_configENS1_32segmented_reduce_config_selectorIfEEZNS1_21segmented_reduce_implIS3_PKfPfPKifN6hipcub16HIPCUB_304000_NS6detail27convert_result_type_wrapperIS8_S9_N2at6native12_GLOBAL__N_19CustomMaxEEEEE10hipError_tPvRmT0_T1_jT2_SQ_T4_T3_P12ihipStream_tbEUlT_E_NS1_11comp_targetILNS1_3genE8ELNS1_11target_archE1030ELNS1_3gpuE2ELNS1_3repE0EEENS1_30default_config_static_selectorELNS0_4arch9wavefront6targetE0EEEvSP_
; %bb.0:
	.section	.rodata,"a",@progbits
	.p2align	6, 0x0
	.amdhsa_kernel _ZN7rocprim17ROCPRIM_400000_NS6detail17trampoline_kernelINS0_14default_configENS1_32segmented_reduce_config_selectorIfEEZNS1_21segmented_reduce_implIS3_PKfPfPKifN6hipcub16HIPCUB_304000_NS6detail27convert_result_type_wrapperIS8_S9_N2at6native12_GLOBAL__N_19CustomMaxEEEEE10hipError_tPvRmT0_T1_jT2_SQ_T4_T3_P12ihipStream_tbEUlT_E_NS1_11comp_targetILNS1_3genE8ELNS1_11target_archE1030ELNS1_3gpuE2ELNS1_3repE0EEENS1_30default_config_static_selectorELNS0_4arch9wavefront6targetE0EEEvSP_
		.amdhsa_group_segment_fixed_size 0
		.amdhsa_private_segment_fixed_size 0
		.amdhsa_kernarg_size 48
		.amdhsa_user_sgpr_count 15
		.amdhsa_user_sgpr_dispatch_ptr 0
		.amdhsa_user_sgpr_queue_ptr 0
		.amdhsa_user_sgpr_kernarg_segment_ptr 1
		.amdhsa_user_sgpr_dispatch_id 0
		.amdhsa_user_sgpr_private_segment_size 0
		.amdhsa_wavefront_size32 1
		.amdhsa_uses_dynamic_stack 0
		.amdhsa_enable_private_segment 0
		.amdhsa_system_sgpr_workgroup_id_x 1
		.amdhsa_system_sgpr_workgroup_id_y 0
		.amdhsa_system_sgpr_workgroup_id_z 0
		.amdhsa_system_sgpr_workgroup_info 0
		.amdhsa_system_vgpr_workitem_id 0
		.amdhsa_next_free_vgpr 1
		.amdhsa_next_free_sgpr 1
		.amdhsa_reserve_vcc 0
		.amdhsa_float_round_mode_32 0
		.amdhsa_float_round_mode_16_64 0
		.amdhsa_float_denorm_mode_32 3
		.amdhsa_float_denorm_mode_16_64 3
		.amdhsa_dx10_clamp 1
		.amdhsa_ieee_mode 1
		.amdhsa_fp16_overflow 0
		.amdhsa_workgroup_processor_mode 1
		.amdhsa_memory_ordered 1
		.amdhsa_forward_progress 0
		.amdhsa_shared_vgpr_count 0
		.amdhsa_exception_fp_ieee_invalid_op 0
		.amdhsa_exception_fp_denorm_src 0
		.amdhsa_exception_fp_ieee_div_zero 0
		.amdhsa_exception_fp_ieee_overflow 0
		.amdhsa_exception_fp_ieee_underflow 0
		.amdhsa_exception_fp_ieee_inexact 0
		.amdhsa_exception_int_div_zero 0
	.end_amdhsa_kernel
	.section	.text._ZN7rocprim17ROCPRIM_400000_NS6detail17trampoline_kernelINS0_14default_configENS1_32segmented_reduce_config_selectorIfEEZNS1_21segmented_reduce_implIS3_PKfPfPKifN6hipcub16HIPCUB_304000_NS6detail27convert_result_type_wrapperIS8_S9_N2at6native12_GLOBAL__N_19CustomMaxEEEEE10hipError_tPvRmT0_T1_jT2_SQ_T4_T3_P12ihipStream_tbEUlT_E_NS1_11comp_targetILNS1_3genE8ELNS1_11target_archE1030ELNS1_3gpuE2ELNS1_3repE0EEENS1_30default_config_static_selectorELNS0_4arch9wavefront6targetE0EEEvSP_,"axG",@progbits,_ZN7rocprim17ROCPRIM_400000_NS6detail17trampoline_kernelINS0_14default_configENS1_32segmented_reduce_config_selectorIfEEZNS1_21segmented_reduce_implIS3_PKfPfPKifN6hipcub16HIPCUB_304000_NS6detail27convert_result_type_wrapperIS8_S9_N2at6native12_GLOBAL__N_19CustomMaxEEEEE10hipError_tPvRmT0_T1_jT2_SQ_T4_T3_P12ihipStream_tbEUlT_E_NS1_11comp_targetILNS1_3genE8ELNS1_11target_archE1030ELNS1_3gpuE2ELNS1_3repE0EEENS1_30default_config_static_selectorELNS0_4arch9wavefront6targetE0EEEvSP_,comdat
.Lfunc_end50:
	.size	_ZN7rocprim17ROCPRIM_400000_NS6detail17trampoline_kernelINS0_14default_configENS1_32segmented_reduce_config_selectorIfEEZNS1_21segmented_reduce_implIS3_PKfPfPKifN6hipcub16HIPCUB_304000_NS6detail27convert_result_type_wrapperIS8_S9_N2at6native12_GLOBAL__N_19CustomMaxEEEEE10hipError_tPvRmT0_T1_jT2_SQ_T4_T3_P12ihipStream_tbEUlT_E_NS1_11comp_targetILNS1_3genE8ELNS1_11target_archE1030ELNS1_3gpuE2ELNS1_3repE0EEENS1_30default_config_static_selectorELNS0_4arch9wavefront6targetE0EEEvSP_, .Lfunc_end50-_ZN7rocprim17ROCPRIM_400000_NS6detail17trampoline_kernelINS0_14default_configENS1_32segmented_reduce_config_selectorIfEEZNS1_21segmented_reduce_implIS3_PKfPfPKifN6hipcub16HIPCUB_304000_NS6detail27convert_result_type_wrapperIS8_S9_N2at6native12_GLOBAL__N_19CustomMaxEEEEE10hipError_tPvRmT0_T1_jT2_SQ_T4_T3_P12ihipStream_tbEUlT_E_NS1_11comp_targetILNS1_3genE8ELNS1_11target_archE1030ELNS1_3gpuE2ELNS1_3repE0EEENS1_30default_config_static_selectorELNS0_4arch9wavefront6targetE0EEEvSP_
                                        ; -- End function
	.section	.AMDGPU.csdata,"",@progbits
; Kernel info:
; codeLenInByte = 0
; NumSgprs: 0
; NumVgprs: 0
; ScratchSize: 0
; MemoryBound: 0
; FloatMode: 240
; IeeeMode: 1
; LDSByteSize: 0 bytes/workgroup (compile time only)
; SGPRBlocks: 0
; VGPRBlocks: 0
; NumSGPRsForWavesPerEU: 1
; NumVGPRsForWavesPerEU: 1
; Occupancy: 16
; WaveLimiterHint : 0
; COMPUTE_PGM_RSRC2:SCRATCH_EN: 0
; COMPUTE_PGM_RSRC2:USER_SGPR: 15
; COMPUTE_PGM_RSRC2:TRAP_HANDLER: 0
; COMPUTE_PGM_RSRC2:TGID_X_EN: 1
; COMPUTE_PGM_RSRC2:TGID_Y_EN: 0
; COMPUTE_PGM_RSRC2:TGID_Z_EN: 0
; COMPUTE_PGM_RSRC2:TIDIG_COMP_CNT: 0
	.section	.text._ZN7rocprim17ROCPRIM_400000_NS6detail17trampoline_kernelINS0_14default_configENS1_32segmented_reduce_config_selectorIfEEZNS1_21segmented_reduce_implIS3_PKfPfPKifN6hipcub16HIPCUB_304000_NS6detail27convert_result_type_wrapperIS8_S9_N2at6native12_GLOBAL__N_19CustomSumEEEEE10hipError_tPvRmT0_T1_jT2_SQ_T4_T3_P12ihipStream_tbEUlT_E_NS1_11comp_targetILNS1_3genE0ELNS1_11target_archE4294967295ELNS1_3gpuE0ELNS1_3repE0EEENS1_30default_config_static_selectorELNS0_4arch9wavefront6targetE0EEEvSP_,"axG",@progbits,_ZN7rocprim17ROCPRIM_400000_NS6detail17trampoline_kernelINS0_14default_configENS1_32segmented_reduce_config_selectorIfEEZNS1_21segmented_reduce_implIS3_PKfPfPKifN6hipcub16HIPCUB_304000_NS6detail27convert_result_type_wrapperIS8_S9_N2at6native12_GLOBAL__N_19CustomSumEEEEE10hipError_tPvRmT0_T1_jT2_SQ_T4_T3_P12ihipStream_tbEUlT_E_NS1_11comp_targetILNS1_3genE0ELNS1_11target_archE4294967295ELNS1_3gpuE0ELNS1_3repE0EEENS1_30default_config_static_selectorELNS0_4arch9wavefront6targetE0EEEvSP_,comdat
	.globl	_ZN7rocprim17ROCPRIM_400000_NS6detail17trampoline_kernelINS0_14default_configENS1_32segmented_reduce_config_selectorIfEEZNS1_21segmented_reduce_implIS3_PKfPfPKifN6hipcub16HIPCUB_304000_NS6detail27convert_result_type_wrapperIS8_S9_N2at6native12_GLOBAL__N_19CustomSumEEEEE10hipError_tPvRmT0_T1_jT2_SQ_T4_T3_P12ihipStream_tbEUlT_E_NS1_11comp_targetILNS1_3genE0ELNS1_11target_archE4294967295ELNS1_3gpuE0ELNS1_3repE0EEENS1_30default_config_static_selectorELNS0_4arch9wavefront6targetE0EEEvSP_ ; -- Begin function _ZN7rocprim17ROCPRIM_400000_NS6detail17trampoline_kernelINS0_14default_configENS1_32segmented_reduce_config_selectorIfEEZNS1_21segmented_reduce_implIS3_PKfPfPKifN6hipcub16HIPCUB_304000_NS6detail27convert_result_type_wrapperIS8_S9_N2at6native12_GLOBAL__N_19CustomSumEEEEE10hipError_tPvRmT0_T1_jT2_SQ_T4_T3_P12ihipStream_tbEUlT_E_NS1_11comp_targetILNS1_3genE0ELNS1_11target_archE4294967295ELNS1_3gpuE0ELNS1_3repE0EEENS1_30default_config_static_selectorELNS0_4arch9wavefront6targetE0EEEvSP_
	.p2align	8
	.type	_ZN7rocprim17ROCPRIM_400000_NS6detail17trampoline_kernelINS0_14default_configENS1_32segmented_reduce_config_selectorIfEEZNS1_21segmented_reduce_implIS3_PKfPfPKifN6hipcub16HIPCUB_304000_NS6detail27convert_result_type_wrapperIS8_S9_N2at6native12_GLOBAL__N_19CustomSumEEEEE10hipError_tPvRmT0_T1_jT2_SQ_T4_T3_P12ihipStream_tbEUlT_E_NS1_11comp_targetILNS1_3genE0ELNS1_11target_archE4294967295ELNS1_3gpuE0ELNS1_3repE0EEENS1_30default_config_static_selectorELNS0_4arch9wavefront6targetE0EEEvSP_,@function
_ZN7rocprim17ROCPRIM_400000_NS6detail17trampoline_kernelINS0_14default_configENS1_32segmented_reduce_config_selectorIfEEZNS1_21segmented_reduce_implIS3_PKfPfPKifN6hipcub16HIPCUB_304000_NS6detail27convert_result_type_wrapperIS8_S9_N2at6native12_GLOBAL__N_19CustomSumEEEEE10hipError_tPvRmT0_T1_jT2_SQ_T4_T3_P12ihipStream_tbEUlT_E_NS1_11comp_targetILNS1_3genE0ELNS1_11target_archE4294967295ELNS1_3gpuE0ELNS1_3repE0EEENS1_30default_config_static_selectorELNS0_4arch9wavefront6targetE0EEEvSP_: ; @_ZN7rocprim17ROCPRIM_400000_NS6detail17trampoline_kernelINS0_14default_configENS1_32segmented_reduce_config_selectorIfEEZNS1_21segmented_reduce_implIS3_PKfPfPKifN6hipcub16HIPCUB_304000_NS6detail27convert_result_type_wrapperIS8_S9_N2at6native12_GLOBAL__N_19CustomSumEEEEE10hipError_tPvRmT0_T1_jT2_SQ_T4_T3_P12ihipStream_tbEUlT_E_NS1_11comp_targetILNS1_3genE0ELNS1_11target_archE4294967295ELNS1_3gpuE0ELNS1_3repE0EEENS1_30default_config_static_selectorELNS0_4arch9wavefront6targetE0EEEvSP_
; %bb.0:
	.section	.rodata,"a",@progbits
	.p2align	6, 0x0
	.amdhsa_kernel _ZN7rocprim17ROCPRIM_400000_NS6detail17trampoline_kernelINS0_14default_configENS1_32segmented_reduce_config_selectorIfEEZNS1_21segmented_reduce_implIS3_PKfPfPKifN6hipcub16HIPCUB_304000_NS6detail27convert_result_type_wrapperIS8_S9_N2at6native12_GLOBAL__N_19CustomSumEEEEE10hipError_tPvRmT0_T1_jT2_SQ_T4_T3_P12ihipStream_tbEUlT_E_NS1_11comp_targetILNS1_3genE0ELNS1_11target_archE4294967295ELNS1_3gpuE0ELNS1_3repE0EEENS1_30default_config_static_selectorELNS0_4arch9wavefront6targetE0EEEvSP_
		.amdhsa_group_segment_fixed_size 0
		.amdhsa_private_segment_fixed_size 0
		.amdhsa_kernarg_size 48
		.amdhsa_user_sgpr_count 15
		.amdhsa_user_sgpr_dispatch_ptr 0
		.amdhsa_user_sgpr_queue_ptr 0
		.amdhsa_user_sgpr_kernarg_segment_ptr 1
		.amdhsa_user_sgpr_dispatch_id 0
		.amdhsa_user_sgpr_private_segment_size 0
		.amdhsa_wavefront_size32 1
		.amdhsa_uses_dynamic_stack 0
		.amdhsa_enable_private_segment 0
		.amdhsa_system_sgpr_workgroup_id_x 1
		.amdhsa_system_sgpr_workgroup_id_y 0
		.amdhsa_system_sgpr_workgroup_id_z 0
		.amdhsa_system_sgpr_workgroup_info 0
		.amdhsa_system_vgpr_workitem_id 0
		.amdhsa_next_free_vgpr 1
		.amdhsa_next_free_sgpr 1
		.amdhsa_reserve_vcc 0
		.amdhsa_float_round_mode_32 0
		.amdhsa_float_round_mode_16_64 0
		.amdhsa_float_denorm_mode_32 3
		.amdhsa_float_denorm_mode_16_64 3
		.amdhsa_dx10_clamp 1
		.amdhsa_ieee_mode 1
		.amdhsa_fp16_overflow 0
		.amdhsa_workgroup_processor_mode 1
		.amdhsa_memory_ordered 1
		.amdhsa_forward_progress 0
		.amdhsa_shared_vgpr_count 0
		.amdhsa_exception_fp_ieee_invalid_op 0
		.amdhsa_exception_fp_denorm_src 0
		.amdhsa_exception_fp_ieee_div_zero 0
		.amdhsa_exception_fp_ieee_overflow 0
		.amdhsa_exception_fp_ieee_underflow 0
		.amdhsa_exception_fp_ieee_inexact 0
		.amdhsa_exception_int_div_zero 0
	.end_amdhsa_kernel
	.section	.text._ZN7rocprim17ROCPRIM_400000_NS6detail17trampoline_kernelINS0_14default_configENS1_32segmented_reduce_config_selectorIfEEZNS1_21segmented_reduce_implIS3_PKfPfPKifN6hipcub16HIPCUB_304000_NS6detail27convert_result_type_wrapperIS8_S9_N2at6native12_GLOBAL__N_19CustomSumEEEEE10hipError_tPvRmT0_T1_jT2_SQ_T4_T3_P12ihipStream_tbEUlT_E_NS1_11comp_targetILNS1_3genE0ELNS1_11target_archE4294967295ELNS1_3gpuE0ELNS1_3repE0EEENS1_30default_config_static_selectorELNS0_4arch9wavefront6targetE0EEEvSP_,"axG",@progbits,_ZN7rocprim17ROCPRIM_400000_NS6detail17trampoline_kernelINS0_14default_configENS1_32segmented_reduce_config_selectorIfEEZNS1_21segmented_reduce_implIS3_PKfPfPKifN6hipcub16HIPCUB_304000_NS6detail27convert_result_type_wrapperIS8_S9_N2at6native12_GLOBAL__N_19CustomSumEEEEE10hipError_tPvRmT0_T1_jT2_SQ_T4_T3_P12ihipStream_tbEUlT_E_NS1_11comp_targetILNS1_3genE0ELNS1_11target_archE4294967295ELNS1_3gpuE0ELNS1_3repE0EEENS1_30default_config_static_selectorELNS0_4arch9wavefront6targetE0EEEvSP_,comdat
.Lfunc_end51:
	.size	_ZN7rocprim17ROCPRIM_400000_NS6detail17trampoline_kernelINS0_14default_configENS1_32segmented_reduce_config_selectorIfEEZNS1_21segmented_reduce_implIS3_PKfPfPKifN6hipcub16HIPCUB_304000_NS6detail27convert_result_type_wrapperIS8_S9_N2at6native12_GLOBAL__N_19CustomSumEEEEE10hipError_tPvRmT0_T1_jT2_SQ_T4_T3_P12ihipStream_tbEUlT_E_NS1_11comp_targetILNS1_3genE0ELNS1_11target_archE4294967295ELNS1_3gpuE0ELNS1_3repE0EEENS1_30default_config_static_selectorELNS0_4arch9wavefront6targetE0EEEvSP_, .Lfunc_end51-_ZN7rocprim17ROCPRIM_400000_NS6detail17trampoline_kernelINS0_14default_configENS1_32segmented_reduce_config_selectorIfEEZNS1_21segmented_reduce_implIS3_PKfPfPKifN6hipcub16HIPCUB_304000_NS6detail27convert_result_type_wrapperIS8_S9_N2at6native12_GLOBAL__N_19CustomSumEEEEE10hipError_tPvRmT0_T1_jT2_SQ_T4_T3_P12ihipStream_tbEUlT_E_NS1_11comp_targetILNS1_3genE0ELNS1_11target_archE4294967295ELNS1_3gpuE0ELNS1_3repE0EEENS1_30default_config_static_selectorELNS0_4arch9wavefront6targetE0EEEvSP_
                                        ; -- End function
	.section	.AMDGPU.csdata,"",@progbits
; Kernel info:
; codeLenInByte = 0
; NumSgprs: 0
; NumVgprs: 0
; ScratchSize: 0
; MemoryBound: 0
; FloatMode: 240
; IeeeMode: 1
; LDSByteSize: 0 bytes/workgroup (compile time only)
; SGPRBlocks: 0
; VGPRBlocks: 0
; NumSGPRsForWavesPerEU: 1
; NumVGPRsForWavesPerEU: 1
; Occupancy: 16
; WaveLimiterHint : 0
; COMPUTE_PGM_RSRC2:SCRATCH_EN: 0
; COMPUTE_PGM_RSRC2:USER_SGPR: 15
; COMPUTE_PGM_RSRC2:TRAP_HANDLER: 0
; COMPUTE_PGM_RSRC2:TGID_X_EN: 1
; COMPUTE_PGM_RSRC2:TGID_Y_EN: 0
; COMPUTE_PGM_RSRC2:TGID_Z_EN: 0
; COMPUTE_PGM_RSRC2:TIDIG_COMP_CNT: 0
	.section	.text._ZN7rocprim17ROCPRIM_400000_NS6detail17trampoline_kernelINS0_14default_configENS1_32segmented_reduce_config_selectorIfEEZNS1_21segmented_reduce_implIS3_PKfPfPKifN6hipcub16HIPCUB_304000_NS6detail27convert_result_type_wrapperIS8_S9_N2at6native12_GLOBAL__N_19CustomSumEEEEE10hipError_tPvRmT0_T1_jT2_SQ_T4_T3_P12ihipStream_tbEUlT_E_NS1_11comp_targetILNS1_3genE5ELNS1_11target_archE942ELNS1_3gpuE9ELNS1_3repE0EEENS1_30default_config_static_selectorELNS0_4arch9wavefront6targetE0EEEvSP_,"axG",@progbits,_ZN7rocprim17ROCPRIM_400000_NS6detail17trampoline_kernelINS0_14default_configENS1_32segmented_reduce_config_selectorIfEEZNS1_21segmented_reduce_implIS3_PKfPfPKifN6hipcub16HIPCUB_304000_NS6detail27convert_result_type_wrapperIS8_S9_N2at6native12_GLOBAL__N_19CustomSumEEEEE10hipError_tPvRmT0_T1_jT2_SQ_T4_T3_P12ihipStream_tbEUlT_E_NS1_11comp_targetILNS1_3genE5ELNS1_11target_archE942ELNS1_3gpuE9ELNS1_3repE0EEENS1_30default_config_static_selectorELNS0_4arch9wavefront6targetE0EEEvSP_,comdat
	.globl	_ZN7rocprim17ROCPRIM_400000_NS6detail17trampoline_kernelINS0_14default_configENS1_32segmented_reduce_config_selectorIfEEZNS1_21segmented_reduce_implIS3_PKfPfPKifN6hipcub16HIPCUB_304000_NS6detail27convert_result_type_wrapperIS8_S9_N2at6native12_GLOBAL__N_19CustomSumEEEEE10hipError_tPvRmT0_T1_jT2_SQ_T4_T3_P12ihipStream_tbEUlT_E_NS1_11comp_targetILNS1_3genE5ELNS1_11target_archE942ELNS1_3gpuE9ELNS1_3repE0EEENS1_30default_config_static_selectorELNS0_4arch9wavefront6targetE0EEEvSP_ ; -- Begin function _ZN7rocprim17ROCPRIM_400000_NS6detail17trampoline_kernelINS0_14default_configENS1_32segmented_reduce_config_selectorIfEEZNS1_21segmented_reduce_implIS3_PKfPfPKifN6hipcub16HIPCUB_304000_NS6detail27convert_result_type_wrapperIS8_S9_N2at6native12_GLOBAL__N_19CustomSumEEEEE10hipError_tPvRmT0_T1_jT2_SQ_T4_T3_P12ihipStream_tbEUlT_E_NS1_11comp_targetILNS1_3genE5ELNS1_11target_archE942ELNS1_3gpuE9ELNS1_3repE0EEENS1_30default_config_static_selectorELNS0_4arch9wavefront6targetE0EEEvSP_
	.p2align	8
	.type	_ZN7rocprim17ROCPRIM_400000_NS6detail17trampoline_kernelINS0_14default_configENS1_32segmented_reduce_config_selectorIfEEZNS1_21segmented_reduce_implIS3_PKfPfPKifN6hipcub16HIPCUB_304000_NS6detail27convert_result_type_wrapperIS8_S9_N2at6native12_GLOBAL__N_19CustomSumEEEEE10hipError_tPvRmT0_T1_jT2_SQ_T4_T3_P12ihipStream_tbEUlT_E_NS1_11comp_targetILNS1_3genE5ELNS1_11target_archE942ELNS1_3gpuE9ELNS1_3repE0EEENS1_30default_config_static_selectorELNS0_4arch9wavefront6targetE0EEEvSP_,@function
_ZN7rocprim17ROCPRIM_400000_NS6detail17trampoline_kernelINS0_14default_configENS1_32segmented_reduce_config_selectorIfEEZNS1_21segmented_reduce_implIS3_PKfPfPKifN6hipcub16HIPCUB_304000_NS6detail27convert_result_type_wrapperIS8_S9_N2at6native12_GLOBAL__N_19CustomSumEEEEE10hipError_tPvRmT0_T1_jT2_SQ_T4_T3_P12ihipStream_tbEUlT_E_NS1_11comp_targetILNS1_3genE5ELNS1_11target_archE942ELNS1_3gpuE9ELNS1_3repE0EEENS1_30default_config_static_selectorELNS0_4arch9wavefront6targetE0EEEvSP_: ; @_ZN7rocprim17ROCPRIM_400000_NS6detail17trampoline_kernelINS0_14default_configENS1_32segmented_reduce_config_selectorIfEEZNS1_21segmented_reduce_implIS3_PKfPfPKifN6hipcub16HIPCUB_304000_NS6detail27convert_result_type_wrapperIS8_S9_N2at6native12_GLOBAL__N_19CustomSumEEEEE10hipError_tPvRmT0_T1_jT2_SQ_T4_T3_P12ihipStream_tbEUlT_E_NS1_11comp_targetILNS1_3genE5ELNS1_11target_archE942ELNS1_3gpuE9ELNS1_3repE0EEENS1_30default_config_static_selectorELNS0_4arch9wavefront6targetE0EEEvSP_
; %bb.0:
	.section	.rodata,"a",@progbits
	.p2align	6, 0x0
	.amdhsa_kernel _ZN7rocprim17ROCPRIM_400000_NS6detail17trampoline_kernelINS0_14default_configENS1_32segmented_reduce_config_selectorIfEEZNS1_21segmented_reduce_implIS3_PKfPfPKifN6hipcub16HIPCUB_304000_NS6detail27convert_result_type_wrapperIS8_S9_N2at6native12_GLOBAL__N_19CustomSumEEEEE10hipError_tPvRmT0_T1_jT2_SQ_T4_T3_P12ihipStream_tbEUlT_E_NS1_11comp_targetILNS1_3genE5ELNS1_11target_archE942ELNS1_3gpuE9ELNS1_3repE0EEENS1_30default_config_static_selectorELNS0_4arch9wavefront6targetE0EEEvSP_
		.amdhsa_group_segment_fixed_size 0
		.amdhsa_private_segment_fixed_size 0
		.amdhsa_kernarg_size 48
		.amdhsa_user_sgpr_count 15
		.amdhsa_user_sgpr_dispatch_ptr 0
		.amdhsa_user_sgpr_queue_ptr 0
		.amdhsa_user_sgpr_kernarg_segment_ptr 1
		.amdhsa_user_sgpr_dispatch_id 0
		.amdhsa_user_sgpr_private_segment_size 0
		.amdhsa_wavefront_size32 1
		.amdhsa_uses_dynamic_stack 0
		.amdhsa_enable_private_segment 0
		.amdhsa_system_sgpr_workgroup_id_x 1
		.amdhsa_system_sgpr_workgroup_id_y 0
		.amdhsa_system_sgpr_workgroup_id_z 0
		.amdhsa_system_sgpr_workgroup_info 0
		.amdhsa_system_vgpr_workitem_id 0
		.amdhsa_next_free_vgpr 1
		.amdhsa_next_free_sgpr 1
		.amdhsa_reserve_vcc 0
		.amdhsa_float_round_mode_32 0
		.amdhsa_float_round_mode_16_64 0
		.amdhsa_float_denorm_mode_32 3
		.amdhsa_float_denorm_mode_16_64 3
		.amdhsa_dx10_clamp 1
		.amdhsa_ieee_mode 1
		.amdhsa_fp16_overflow 0
		.amdhsa_workgroup_processor_mode 1
		.amdhsa_memory_ordered 1
		.amdhsa_forward_progress 0
		.amdhsa_shared_vgpr_count 0
		.amdhsa_exception_fp_ieee_invalid_op 0
		.amdhsa_exception_fp_denorm_src 0
		.amdhsa_exception_fp_ieee_div_zero 0
		.amdhsa_exception_fp_ieee_overflow 0
		.amdhsa_exception_fp_ieee_underflow 0
		.amdhsa_exception_fp_ieee_inexact 0
		.amdhsa_exception_int_div_zero 0
	.end_amdhsa_kernel
	.section	.text._ZN7rocprim17ROCPRIM_400000_NS6detail17trampoline_kernelINS0_14default_configENS1_32segmented_reduce_config_selectorIfEEZNS1_21segmented_reduce_implIS3_PKfPfPKifN6hipcub16HIPCUB_304000_NS6detail27convert_result_type_wrapperIS8_S9_N2at6native12_GLOBAL__N_19CustomSumEEEEE10hipError_tPvRmT0_T1_jT2_SQ_T4_T3_P12ihipStream_tbEUlT_E_NS1_11comp_targetILNS1_3genE5ELNS1_11target_archE942ELNS1_3gpuE9ELNS1_3repE0EEENS1_30default_config_static_selectorELNS0_4arch9wavefront6targetE0EEEvSP_,"axG",@progbits,_ZN7rocprim17ROCPRIM_400000_NS6detail17trampoline_kernelINS0_14default_configENS1_32segmented_reduce_config_selectorIfEEZNS1_21segmented_reduce_implIS3_PKfPfPKifN6hipcub16HIPCUB_304000_NS6detail27convert_result_type_wrapperIS8_S9_N2at6native12_GLOBAL__N_19CustomSumEEEEE10hipError_tPvRmT0_T1_jT2_SQ_T4_T3_P12ihipStream_tbEUlT_E_NS1_11comp_targetILNS1_3genE5ELNS1_11target_archE942ELNS1_3gpuE9ELNS1_3repE0EEENS1_30default_config_static_selectorELNS0_4arch9wavefront6targetE0EEEvSP_,comdat
.Lfunc_end52:
	.size	_ZN7rocprim17ROCPRIM_400000_NS6detail17trampoline_kernelINS0_14default_configENS1_32segmented_reduce_config_selectorIfEEZNS1_21segmented_reduce_implIS3_PKfPfPKifN6hipcub16HIPCUB_304000_NS6detail27convert_result_type_wrapperIS8_S9_N2at6native12_GLOBAL__N_19CustomSumEEEEE10hipError_tPvRmT0_T1_jT2_SQ_T4_T3_P12ihipStream_tbEUlT_E_NS1_11comp_targetILNS1_3genE5ELNS1_11target_archE942ELNS1_3gpuE9ELNS1_3repE0EEENS1_30default_config_static_selectorELNS0_4arch9wavefront6targetE0EEEvSP_, .Lfunc_end52-_ZN7rocprim17ROCPRIM_400000_NS6detail17trampoline_kernelINS0_14default_configENS1_32segmented_reduce_config_selectorIfEEZNS1_21segmented_reduce_implIS3_PKfPfPKifN6hipcub16HIPCUB_304000_NS6detail27convert_result_type_wrapperIS8_S9_N2at6native12_GLOBAL__N_19CustomSumEEEEE10hipError_tPvRmT0_T1_jT2_SQ_T4_T3_P12ihipStream_tbEUlT_E_NS1_11comp_targetILNS1_3genE5ELNS1_11target_archE942ELNS1_3gpuE9ELNS1_3repE0EEENS1_30default_config_static_selectorELNS0_4arch9wavefront6targetE0EEEvSP_
                                        ; -- End function
	.section	.AMDGPU.csdata,"",@progbits
; Kernel info:
; codeLenInByte = 0
; NumSgprs: 0
; NumVgprs: 0
; ScratchSize: 0
; MemoryBound: 0
; FloatMode: 240
; IeeeMode: 1
; LDSByteSize: 0 bytes/workgroup (compile time only)
; SGPRBlocks: 0
; VGPRBlocks: 0
; NumSGPRsForWavesPerEU: 1
; NumVGPRsForWavesPerEU: 1
; Occupancy: 16
; WaveLimiterHint : 0
; COMPUTE_PGM_RSRC2:SCRATCH_EN: 0
; COMPUTE_PGM_RSRC2:USER_SGPR: 15
; COMPUTE_PGM_RSRC2:TRAP_HANDLER: 0
; COMPUTE_PGM_RSRC2:TGID_X_EN: 1
; COMPUTE_PGM_RSRC2:TGID_Y_EN: 0
; COMPUTE_PGM_RSRC2:TGID_Z_EN: 0
; COMPUTE_PGM_RSRC2:TIDIG_COMP_CNT: 0
	.section	.text._ZN7rocprim17ROCPRIM_400000_NS6detail17trampoline_kernelINS0_14default_configENS1_32segmented_reduce_config_selectorIfEEZNS1_21segmented_reduce_implIS3_PKfPfPKifN6hipcub16HIPCUB_304000_NS6detail27convert_result_type_wrapperIS8_S9_N2at6native12_GLOBAL__N_19CustomSumEEEEE10hipError_tPvRmT0_T1_jT2_SQ_T4_T3_P12ihipStream_tbEUlT_E_NS1_11comp_targetILNS1_3genE10ELNS1_11target_archE1201ELNS1_3gpuE5ELNS1_3repE0EEENS1_30default_config_static_selectorELNS0_4arch9wavefront6targetE0EEEvSP_,"axG",@progbits,_ZN7rocprim17ROCPRIM_400000_NS6detail17trampoline_kernelINS0_14default_configENS1_32segmented_reduce_config_selectorIfEEZNS1_21segmented_reduce_implIS3_PKfPfPKifN6hipcub16HIPCUB_304000_NS6detail27convert_result_type_wrapperIS8_S9_N2at6native12_GLOBAL__N_19CustomSumEEEEE10hipError_tPvRmT0_T1_jT2_SQ_T4_T3_P12ihipStream_tbEUlT_E_NS1_11comp_targetILNS1_3genE10ELNS1_11target_archE1201ELNS1_3gpuE5ELNS1_3repE0EEENS1_30default_config_static_selectorELNS0_4arch9wavefront6targetE0EEEvSP_,comdat
	.globl	_ZN7rocprim17ROCPRIM_400000_NS6detail17trampoline_kernelINS0_14default_configENS1_32segmented_reduce_config_selectorIfEEZNS1_21segmented_reduce_implIS3_PKfPfPKifN6hipcub16HIPCUB_304000_NS6detail27convert_result_type_wrapperIS8_S9_N2at6native12_GLOBAL__N_19CustomSumEEEEE10hipError_tPvRmT0_T1_jT2_SQ_T4_T3_P12ihipStream_tbEUlT_E_NS1_11comp_targetILNS1_3genE10ELNS1_11target_archE1201ELNS1_3gpuE5ELNS1_3repE0EEENS1_30default_config_static_selectorELNS0_4arch9wavefront6targetE0EEEvSP_ ; -- Begin function _ZN7rocprim17ROCPRIM_400000_NS6detail17trampoline_kernelINS0_14default_configENS1_32segmented_reduce_config_selectorIfEEZNS1_21segmented_reduce_implIS3_PKfPfPKifN6hipcub16HIPCUB_304000_NS6detail27convert_result_type_wrapperIS8_S9_N2at6native12_GLOBAL__N_19CustomSumEEEEE10hipError_tPvRmT0_T1_jT2_SQ_T4_T3_P12ihipStream_tbEUlT_E_NS1_11comp_targetILNS1_3genE10ELNS1_11target_archE1201ELNS1_3gpuE5ELNS1_3repE0EEENS1_30default_config_static_selectorELNS0_4arch9wavefront6targetE0EEEvSP_
	.p2align	8
	.type	_ZN7rocprim17ROCPRIM_400000_NS6detail17trampoline_kernelINS0_14default_configENS1_32segmented_reduce_config_selectorIfEEZNS1_21segmented_reduce_implIS3_PKfPfPKifN6hipcub16HIPCUB_304000_NS6detail27convert_result_type_wrapperIS8_S9_N2at6native12_GLOBAL__N_19CustomSumEEEEE10hipError_tPvRmT0_T1_jT2_SQ_T4_T3_P12ihipStream_tbEUlT_E_NS1_11comp_targetILNS1_3genE10ELNS1_11target_archE1201ELNS1_3gpuE5ELNS1_3repE0EEENS1_30default_config_static_selectorELNS0_4arch9wavefront6targetE0EEEvSP_,@function
_ZN7rocprim17ROCPRIM_400000_NS6detail17trampoline_kernelINS0_14default_configENS1_32segmented_reduce_config_selectorIfEEZNS1_21segmented_reduce_implIS3_PKfPfPKifN6hipcub16HIPCUB_304000_NS6detail27convert_result_type_wrapperIS8_S9_N2at6native12_GLOBAL__N_19CustomSumEEEEE10hipError_tPvRmT0_T1_jT2_SQ_T4_T3_P12ihipStream_tbEUlT_E_NS1_11comp_targetILNS1_3genE10ELNS1_11target_archE1201ELNS1_3gpuE5ELNS1_3repE0EEENS1_30default_config_static_selectorELNS0_4arch9wavefront6targetE0EEEvSP_: ; @_ZN7rocprim17ROCPRIM_400000_NS6detail17trampoline_kernelINS0_14default_configENS1_32segmented_reduce_config_selectorIfEEZNS1_21segmented_reduce_implIS3_PKfPfPKifN6hipcub16HIPCUB_304000_NS6detail27convert_result_type_wrapperIS8_S9_N2at6native12_GLOBAL__N_19CustomSumEEEEE10hipError_tPvRmT0_T1_jT2_SQ_T4_T3_P12ihipStream_tbEUlT_E_NS1_11comp_targetILNS1_3genE10ELNS1_11target_archE1201ELNS1_3gpuE5ELNS1_3repE0EEENS1_30default_config_static_selectorELNS0_4arch9wavefront6targetE0EEEvSP_
; %bb.0:
	.section	.rodata,"a",@progbits
	.p2align	6, 0x0
	.amdhsa_kernel _ZN7rocprim17ROCPRIM_400000_NS6detail17trampoline_kernelINS0_14default_configENS1_32segmented_reduce_config_selectorIfEEZNS1_21segmented_reduce_implIS3_PKfPfPKifN6hipcub16HIPCUB_304000_NS6detail27convert_result_type_wrapperIS8_S9_N2at6native12_GLOBAL__N_19CustomSumEEEEE10hipError_tPvRmT0_T1_jT2_SQ_T4_T3_P12ihipStream_tbEUlT_E_NS1_11comp_targetILNS1_3genE10ELNS1_11target_archE1201ELNS1_3gpuE5ELNS1_3repE0EEENS1_30default_config_static_selectorELNS0_4arch9wavefront6targetE0EEEvSP_
		.amdhsa_group_segment_fixed_size 0
		.amdhsa_private_segment_fixed_size 0
		.amdhsa_kernarg_size 48
		.amdhsa_user_sgpr_count 15
		.amdhsa_user_sgpr_dispatch_ptr 0
		.amdhsa_user_sgpr_queue_ptr 0
		.amdhsa_user_sgpr_kernarg_segment_ptr 1
		.amdhsa_user_sgpr_dispatch_id 0
		.amdhsa_user_sgpr_private_segment_size 0
		.amdhsa_wavefront_size32 1
		.amdhsa_uses_dynamic_stack 0
		.amdhsa_enable_private_segment 0
		.amdhsa_system_sgpr_workgroup_id_x 1
		.amdhsa_system_sgpr_workgroup_id_y 0
		.amdhsa_system_sgpr_workgroup_id_z 0
		.amdhsa_system_sgpr_workgroup_info 0
		.amdhsa_system_vgpr_workitem_id 0
		.amdhsa_next_free_vgpr 1
		.amdhsa_next_free_sgpr 1
		.amdhsa_reserve_vcc 0
		.amdhsa_float_round_mode_32 0
		.amdhsa_float_round_mode_16_64 0
		.amdhsa_float_denorm_mode_32 3
		.amdhsa_float_denorm_mode_16_64 3
		.amdhsa_dx10_clamp 1
		.amdhsa_ieee_mode 1
		.amdhsa_fp16_overflow 0
		.amdhsa_workgroup_processor_mode 1
		.amdhsa_memory_ordered 1
		.amdhsa_forward_progress 0
		.amdhsa_shared_vgpr_count 0
		.amdhsa_exception_fp_ieee_invalid_op 0
		.amdhsa_exception_fp_denorm_src 0
		.amdhsa_exception_fp_ieee_div_zero 0
		.amdhsa_exception_fp_ieee_overflow 0
		.amdhsa_exception_fp_ieee_underflow 0
		.amdhsa_exception_fp_ieee_inexact 0
		.amdhsa_exception_int_div_zero 0
	.end_amdhsa_kernel
	.section	.text._ZN7rocprim17ROCPRIM_400000_NS6detail17trampoline_kernelINS0_14default_configENS1_32segmented_reduce_config_selectorIfEEZNS1_21segmented_reduce_implIS3_PKfPfPKifN6hipcub16HIPCUB_304000_NS6detail27convert_result_type_wrapperIS8_S9_N2at6native12_GLOBAL__N_19CustomSumEEEEE10hipError_tPvRmT0_T1_jT2_SQ_T4_T3_P12ihipStream_tbEUlT_E_NS1_11comp_targetILNS1_3genE10ELNS1_11target_archE1201ELNS1_3gpuE5ELNS1_3repE0EEENS1_30default_config_static_selectorELNS0_4arch9wavefront6targetE0EEEvSP_,"axG",@progbits,_ZN7rocprim17ROCPRIM_400000_NS6detail17trampoline_kernelINS0_14default_configENS1_32segmented_reduce_config_selectorIfEEZNS1_21segmented_reduce_implIS3_PKfPfPKifN6hipcub16HIPCUB_304000_NS6detail27convert_result_type_wrapperIS8_S9_N2at6native12_GLOBAL__N_19CustomSumEEEEE10hipError_tPvRmT0_T1_jT2_SQ_T4_T3_P12ihipStream_tbEUlT_E_NS1_11comp_targetILNS1_3genE10ELNS1_11target_archE1201ELNS1_3gpuE5ELNS1_3repE0EEENS1_30default_config_static_selectorELNS0_4arch9wavefront6targetE0EEEvSP_,comdat
.Lfunc_end53:
	.size	_ZN7rocprim17ROCPRIM_400000_NS6detail17trampoline_kernelINS0_14default_configENS1_32segmented_reduce_config_selectorIfEEZNS1_21segmented_reduce_implIS3_PKfPfPKifN6hipcub16HIPCUB_304000_NS6detail27convert_result_type_wrapperIS8_S9_N2at6native12_GLOBAL__N_19CustomSumEEEEE10hipError_tPvRmT0_T1_jT2_SQ_T4_T3_P12ihipStream_tbEUlT_E_NS1_11comp_targetILNS1_3genE10ELNS1_11target_archE1201ELNS1_3gpuE5ELNS1_3repE0EEENS1_30default_config_static_selectorELNS0_4arch9wavefront6targetE0EEEvSP_, .Lfunc_end53-_ZN7rocprim17ROCPRIM_400000_NS6detail17trampoline_kernelINS0_14default_configENS1_32segmented_reduce_config_selectorIfEEZNS1_21segmented_reduce_implIS3_PKfPfPKifN6hipcub16HIPCUB_304000_NS6detail27convert_result_type_wrapperIS8_S9_N2at6native12_GLOBAL__N_19CustomSumEEEEE10hipError_tPvRmT0_T1_jT2_SQ_T4_T3_P12ihipStream_tbEUlT_E_NS1_11comp_targetILNS1_3genE10ELNS1_11target_archE1201ELNS1_3gpuE5ELNS1_3repE0EEENS1_30default_config_static_selectorELNS0_4arch9wavefront6targetE0EEEvSP_
                                        ; -- End function
	.section	.AMDGPU.csdata,"",@progbits
; Kernel info:
; codeLenInByte = 0
; NumSgprs: 0
; NumVgprs: 0
; ScratchSize: 0
; MemoryBound: 0
; FloatMode: 240
; IeeeMode: 1
; LDSByteSize: 0 bytes/workgroup (compile time only)
; SGPRBlocks: 0
; VGPRBlocks: 0
; NumSGPRsForWavesPerEU: 1
; NumVGPRsForWavesPerEU: 1
; Occupancy: 16
; WaveLimiterHint : 0
; COMPUTE_PGM_RSRC2:SCRATCH_EN: 0
; COMPUTE_PGM_RSRC2:USER_SGPR: 15
; COMPUTE_PGM_RSRC2:TRAP_HANDLER: 0
; COMPUTE_PGM_RSRC2:TGID_X_EN: 1
; COMPUTE_PGM_RSRC2:TGID_Y_EN: 0
; COMPUTE_PGM_RSRC2:TGID_Z_EN: 0
; COMPUTE_PGM_RSRC2:TIDIG_COMP_CNT: 0
	.section	.text._ZN7rocprim17ROCPRIM_400000_NS6detail17trampoline_kernelINS0_14default_configENS1_32segmented_reduce_config_selectorIfEEZNS1_21segmented_reduce_implIS3_PKfPfPKifN6hipcub16HIPCUB_304000_NS6detail27convert_result_type_wrapperIS8_S9_N2at6native12_GLOBAL__N_19CustomSumEEEEE10hipError_tPvRmT0_T1_jT2_SQ_T4_T3_P12ihipStream_tbEUlT_E_NS1_11comp_targetILNS1_3genE4ELNS1_11target_archE910ELNS1_3gpuE8ELNS1_3repE0EEENS1_30default_config_static_selectorELNS0_4arch9wavefront6targetE0EEEvSP_,"axG",@progbits,_ZN7rocprim17ROCPRIM_400000_NS6detail17trampoline_kernelINS0_14default_configENS1_32segmented_reduce_config_selectorIfEEZNS1_21segmented_reduce_implIS3_PKfPfPKifN6hipcub16HIPCUB_304000_NS6detail27convert_result_type_wrapperIS8_S9_N2at6native12_GLOBAL__N_19CustomSumEEEEE10hipError_tPvRmT0_T1_jT2_SQ_T4_T3_P12ihipStream_tbEUlT_E_NS1_11comp_targetILNS1_3genE4ELNS1_11target_archE910ELNS1_3gpuE8ELNS1_3repE0EEENS1_30default_config_static_selectorELNS0_4arch9wavefront6targetE0EEEvSP_,comdat
	.globl	_ZN7rocprim17ROCPRIM_400000_NS6detail17trampoline_kernelINS0_14default_configENS1_32segmented_reduce_config_selectorIfEEZNS1_21segmented_reduce_implIS3_PKfPfPKifN6hipcub16HIPCUB_304000_NS6detail27convert_result_type_wrapperIS8_S9_N2at6native12_GLOBAL__N_19CustomSumEEEEE10hipError_tPvRmT0_T1_jT2_SQ_T4_T3_P12ihipStream_tbEUlT_E_NS1_11comp_targetILNS1_3genE4ELNS1_11target_archE910ELNS1_3gpuE8ELNS1_3repE0EEENS1_30default_config_static_selectorELNS0_4arch9wavefront6targetE0EEEvSP_ ; -- Begin function _ZN7rocprim17ROCPRIM_400000_NS6detail17trampoline_kernelINS0_14default_configENS1_32segmented_reduce_config_selectorIfEEZNS1_21segmented_reduce_implIS3_PKfPfPKifN6hipcub16HIPCUB_304000_NS6detail27convert_result_type_wrapperIS8_S9_N2at6native12_GLOBAL__N_19CustomSumEEEEE10hipError_tPvRmT0_T1_jT2_SQ_T4_T3_P12ihipStream_tbEUlT_E_NS1_11comp_targetILNS1_3genE4ELNS1_11target_archE910ELNS1_3gpuE8ELNS1_3repE0EEENS1_30default_config_static_selectorELNS0_4arch9wavefront6targetE0EEEvSP_
	.p2align	8
	.type	_ZN7rocprim17ROCPRIM_400000_NS6detail17trampoline_kernelINS0_14default_configENS1_32segmented_reduce_config_selectorIfEEZNS1_21segmented_reduce_implIS3_PKfPfPKifN6hipcub16HIPCUB_304000_NS6detail27convert_result_type_wrapperIS8_S9_N2at6native12_GLOBAL__N_19CustomSumEEEEE10hipError_tPvRmT0_T1_jT2_SQ_T4_T3_P12ihipStream_tbEUlT_E_NS1_11comp_targetILNS1_3genE4ELNS1_11target_archE910ELNS1_3gpuE8ELNS1_3repE0EEENS1_30default_config_static_selectorELNS0_4arch9wavefront6targetE0EEEvSP_,@function
_ZN7rocprim17ROCPRIM_400000_NS6detail17trampoline_kernelINS0_14default_configENS1_32segmented_reduce_config_selectorIfEEZNS1_21segmented_reduce_implIS3_PKfPfPKifN6hipcub16HIPCUB_304000_NS6detail27convert_result_type_wrapperIS8_S9_N2at6native12_GLOBAL__N_19CustomSumEEEEE10hipError_tPvRmT0_T1_jT2_SQ_T4_T3_P12ihipStream_tbEUlT_E_NS1_11comp_targetILNS1_3genE4ELNS1_11target_archE910ELNS1_3gpuE8ELNS1_3repE0EEENS1_30default_config_static_selectorELNS0_4arch9wavefront6targetE0EEEvSP_: ; @_ZN7rocprim17ROCPRIM_400000_NS6detail17trampoline_kernelINS0_14default_configENS1_32segmented_reduce_config_selectorIfEEZNS1_21segmented_reduce_implIS3_PKfPfPKifN6hipcub16HIPCUB_304000_NS6detail27convert_result_type_wrapperIS8_S9_N2at6native12_GLOBAL__N_19CustomSumEEEEE10hipError_tPvRmT0_T1_jT2_SQ_T4_T3_P12ihipStream_tbEUlT_E_NS1_11comp_targetILNS1_3genE4ELNS1_11target_archE910ELNS1_3gpuE8ELNS1_3repE0EEENS1_30default_config_static_selectorELNS0_4arch9wavefront6targetE0EEEvSP_
; %bb.0:
	.section	.rodata,"a",@progbits
	.p2align	6, 0x0
	.amdhsa_kernel _ZN7rocprim17ROCPRIM_400000_NS6detail17trampoline_kernelINS0_14default_configENS1_32segmented_reduce_config_selectorIfEEZNS1_21segmented_reduce_implIS3_PKfPfPKifN6hipcub16HIPCUB_304000_NS6detail27convert_result_type_wrapperIS8_S9_N2at6native12_GLOBAL__N_19CustomSumEEEEE10hipError_tPvRmT0_T1_jT2_SQ_T4_T3_P12ihipStream_tbEUlT_E_NS1_11comp_targetILNS1_3genE4ELNS1_11target_archE910ELNS1_3gpuE8ELNS1_3repE0EEENS1_30default_config_static_selectorELNS0_4arch9wavefront6targetE0EEEvSP_
		.amdhsa_group_segment_fixed_size 0
		.amdhsa_private_segment_fixed_size 0
		.amdhsa_kernarg_size 48
		.amdhsa_user_sgpr_count 15
		.amdhsa_user_sgpr_dispatch_ptr 0
		.amdhsa_user_sgpr_queue_ptr 0
		.amdhsa_user_sgpr_kernarg_segment_ptr 1
		.amdhsa_user_sgpr_dispatch_id 0
		.amdhsa_user_sgpr_private_segment_size 0
		.amdhsa_wavefront_size32 1
		.amdhsa_uses_dynamic_stack 0
		.amdhsa_enable_private_segment 0
		.amdhsa_system_sgpr_workgroup_id_x 1
		.amdhsa_system_sgpr_workgroup_id_y 0
		.amdhsa_system_sgpr_workgroup_id_z 0
		.amdhsa_system_sgpr_workgroup_info 0
		.amdhsa_system_vgpr_workitem_id 0
		.amdhsa_next_free_vgpr 1
		.amdhsa_next_free_sgpr 1
		.amdhsa_reserve_vcc 0
		.amdhsa_float_round_mode_32 0
		.amdhsa_float_round_mode_16_64 0
		.amdhsa_float_denorm_mode_32 3
		.amdhsa_float_denorm_mode_16_64 3
		.amdhsa_dx10_clamp 1
		.amdhsa_ieee_mode 1
		.amdhsa_fp16_overflow 0
		.amdhsa_workgroup_processor_mode 1
		.amdhsa_memory_ordered 1
		.amdhsa_forward_progress 0
		.amdhsa_shared_vgpr_count 0
		.amdhsa_exception_fp_ieee_invalid_op 0
		.amdhsa_exception_fp_denorm_src 0
		.amdhsa_exception_fp_ieee_div_zero 0
		.amdhsa_exception_fp_ieee_overflow 0
		.amdhsa_exception_fp_ieee_underflow 0
		.amdhsa_exception_fp_ieee_inexact 0
		.amdhsa_exception_int_div_zero 0
	.end_amdhsa_kernel
	.section	.text._ZN7rocprim17ROCPRIM_400000_NS6detail17trampoline_kernelINS0_14default_configENS1_32segmented_reduce_config_selectorIfEEZNS1_21segmented_reduce_implIS3_PKfPfPKifN6hipcub16HIPCUB_304000_NS6detail27convert_result_type_wrapperIS8_S9_N2at6native12_GLOBAL__N_19CustomSumEEEEE10hipError_tPvRmT0_T1_jT2_SQ_T4_T3_P12ihipStream_tbEUlT_E_NS1_11comp_targetILNS1_3genE4ELNS1_11target_archE910ELNS1_3gpuE8ELNS1_3repE0EEENS1_30default_config_static_selectorELNS0_4arch9wavefront6targetE0EEEvSP_,"axG",@progbits,_ZN7rocprim17ROCPRIM_400000_NS6detail17trampoline_kernelINS0_14default_configENS1_32segmented_reduce_config_selectorIfEEZNS1_21segmented_reduce_implIS3_PKfPfPKifN6hipcub16HIPCUB_304000_NS6detail27convert_result_type_wrapperIS8_S9_N2at6native12_GLOBAL__N_19CustomSumEEEEE10hipError_tPvRmT0_T1_jT2_SQ_T4_T3_P12ihipStream_tbEUlT_E_NS1_11comp_targetILNS1_3genE4ELNS1_11target_archE910ELNS1_3gpuE8ELNS1_3repE0EEENS1_30default_config_static_selectorELNS0_4arch9wavefront6targetE0EEEvSP_,comdat
.Lfunc_end54:
	.size	_ZN7rocprim17ROCPRIM_400000_NS6detail17trampoline_kernelINS0_14default_configENS1_32segmented_reduce_config_selectorIfEEZNS1_21segmented_reduce_implIS3_PKfPfPKifN6hipcub16HIPCUB_304000_NS6detail27convert_result_type_wrapperIS8_S9_N2at6native12_GLOBAL__N_19CustomSumEEEEE10hipError_tPvRmT0_T1_jT2_SQ_T4_T3_P12ihipStream_tbEUlT_E_NS1_11comp_targetILNS1_3genE4ELNS1_11target_archE910ELNS1_3gpuE8ELNS1_3repE0EEENS1_30default_config_static_selectorELNS0_4arch9wavefront6targetE0EEEvSP_, .Lfunc_end54-_ZN7rocprim17ROCPRIM_400000_NS6detail17trampoline_kernelINS0_14default_configENS1_32segmented_reduce_config_selectorIfEEZNS1_21segmented_reduce_implIS3_PKfPfPKifN6hipcub16HIPCUB_304000_NS6detail27convert_result_type_wrapperIS8_S9_N2at6native12_GLOBAL__N_19CustomSumEEEEE10hipError_tPvRmT0_T1_jT2_SQ_T4_T3_P12ihipStream_tbEUlT_E_NS1_11comp_targetILNS1_3genE4ELNS1_11target_archE910ELNS1_3gpuE8ELNS1_3repE0EEENS1_30default_config_static_selectorELNS0_4arch9wavefront6targetE0EEEvSP_
                                        ; -- End function
	.section	.AMDGPU.csdata,"",@progbits
; Kernel info:
; codeLenInByte = 0
; NumSgprs: 0
; NumVgprs: 0
; ScratchSize: 0
; MemoryBound: 0
; FloatMode: 240
; IeeeMode: 1
; LDSByteSize: 0 bytes/workgroup (compile time only)
; SGPRBlocks: 0
; VGPRBlocks: 0
; NumSGPRsForWavesPerEU: 1
; NumVGPRsForWavesPerEU: 1
; Occupancy: 16
; WaveLimiterHint : 0
; COMPUTE_PGM_RSRC2:SCRATCH_EN: 0
; COMPUTE_PGM_RSRC2:USER_SGPR: 15
; COMPUTE_PGM_RSRC2:TRAP_HANDLER: 0
; COMPUTE_PGM_RSRC2:TGID_X_EN: 1
; COMPUTE_PGM_RSRC2:TGID_Y_EN: 0
; COMPUTE_PGM_RSRC2:TGID_Z_EN: 0
; COMPUTE_PGM_RSRC2:TIDIG_COMP_CNT: 0
	.section	.text._ZN7rocprim17ROCPRIM_400000_NS6detail17trampoline_kernelINS0_14default_configENS1_32segmented_reduce_config_selectorIfEEZNS1_21segmented_reduce_implIS3_PKfPfPKifN6hipcub16HIPCUB_304000_NS6detail27convert_result_type_wrapperIS8_S9_N2at6native12_GLOBAL__N_19CustomSumEEEEE10hipError_tPvRmT0_T1_jT2_SQ_T4_T3_P12ihipStream_tbEUlT_E_NS1_11comp_targetILNS1_3genE3ELNS1_11target_archE908ELNS1_3gpuE7ELNS1_3repE0EEENS1_30default_config_static_selectorELNS0_4arch9wavefront6targetE0EEEvSP_,"axG",@progbits,_ZN7rocprim17ROCPRIM_400000_NS6detail17trampoline_kernelINS0_14default_configENS1_32segmented_reduce_config_selectorIfEEZNS1_21segmented_reduce_implIS3_PKfPfPKifN6hipcub16HIPCUB_304000_NS6detail27convert_result_type_wrapperIS8_S9_N2at6native12_GLOBAL__N_19CustomSumEEEEE10hipError_tPvRmT0_T1_jT2_SQ_T4_T3_P12ihipStream_tbEUlT_E_NS1_11comp_targetILNS1_3genE3ELNS1_11target_archE908ELNS1_3gpuE7ELNS1_3repE0EEENS1_30default_config_static_selectorELNS0_4arch9wavefront6targetE0EEEvSP_,comdat
	.globl	_ZN7rocprim17ROCPRIM_400000_NS6detail17trampoline_kernelINS0_14default_configENS1_32segmented_reduce_config_selectorIfEEZNS1_21segmented_reduce_implIS3_PKfPfPKifN6hipcub16HIPCUB_304000_NS6detail27convert_result_type_wrapperIS8_S9_N2at6native12_GLOBAL__N_19CustomSumEEEEE10hipError_tPvRmT0_T1_jT2_SQ_T4_T3_P12ihipStream_tbEUlT_E_NS1_11comp_targetILNS1_3genE3ELNS1_11target_archE908ELNS1_3gpuE7ELNS1_3repE0EEENS1_30default_config_static_selectorELNS0_4arch9wavefront6targetE0EEEvSP_ ; -- Begin function _ZN7rocprim17ROCPRIM_400000_NS6detail17trampoline_kernelINS0_14default_configENS1_32segmented_reduce_config_selectorIfEEZNS1_21segmented_reduce_implIS3_PKfPfPKifN6hipcub16HIPCUB_304000_NS6detail27convert_result_type_wrapperIS8_S9_N2at6native12_GLOBAL__N_19CustomSumEEEEE10hipError_tPvRmT0_T1_jT2_SQ_T4_T3_P12ihipStream_tbEUlT_E_NS1_11comp_targetILNS1_3genE3ELNS1_11target_archE908ELNS1_3gpuE7ELNS1_3repE0EEENS1_30default_config_static_selectorELNS0_4arch9wavefront6targetE0EEEvSP_
	.p2align	8
	.type	_ZN7rocprim17ROCPRIM_400000_NS6detail17trampoline_kernelINS0_14default_configENS1_32segmented_reduce_config_selectorIfEEZNS1_21segmented_reduce_implIS3_PKfPfPKifN6hipcub16HIPCUB_304000_NS6detail27convert_result_type_wrapperIS8_S9_N2at6native12_GLOBAL__N_19CustomSumEEEEE10hipError_tPvRmT0_T1_jT2_SQ_T4_T3_P12ihipStream_tbEUlT_E_NS1_11comp_targetILNS1_3genE3ELNS1_11target_archE908ELNS1_3gpuE7ELNS1_3repE0EEENS1_30default_config_static_selectorELNS0_4arch9wavefront6targetE0EEEvSP_,@function
_ZN7rocprim17ROCPRIM_400000_NS6detail17trampoline_kernelINS0_14default_configENS1_32segmented_reduce_config_selectorIfEEZNS1_21segmented_reduce_implIS3_PKfPfPKifN6hipcub16HIPCUB_304000_NS6detail27convert_result_type_wrapperIS8_S9_N2at6native12_GLOBAL__N_19CustomSumEEEEE10hipError_tPvRmT0_T1_jT2_SQ_T4_T3_P12ihipStream_tbEUlT_E_NS1_11comp_targetILNS1_3genE3ELNS1_11target_archE908ELNS1_3gpuE7ELNS1_3repE0EEENS1_30default_config_static_selectorELNS0_4arch9wavefront6targetE0EEEvSP_: ; @_ZN7rocprim17ROCPRIM_400000_NS6detail17trampoline_kernelINS0_14default_configENS1_32segmented_reduce_config_selectorIfEEZNS1_21segmented_reduce_implIS3_PKfPfPKifN6hipcub16HIPCUB_304000_NS6detail27convert_result_type_wrapperIS8_S9_N2at6native12_GLOBAL__N_19CustomSumEEEEE10hipError_tPvRmT0_T1_jT2_SQ_T4_T3_P12ihipStream_tbEUlT_E_NS1_11comp_targetILNS1_3genE3ELNS1_11target_archE908ELNS1_3gpuE7ELNS1_3repE0EEENS1_30default_config_static_selectorELNS0_4arch9wavefront6targetE0EEEvSP_
; %bb.0:
	.section	.rodata,"a",@progbits
	.p2align	6, 0x0
	.amdhsa_kernel _ZN7rocprim17ROCPRIM_400000_NS6detail17trampoline_kernelINS0_14default_configENS1_32segmented_reduce_config_selectorIfEEZNS1_21segmented_reduce_implIS3_PKfPfPKifN6hipcub16HIPCUB_304000_NS6detail27convert_result_type_wrapperIS8_S9_N2at6native12_GLOBAL__N_19CustomSumEEEEE10hipError_tPvRmT0_T1_jT2_SQ_T4_T3_P12ihipStream_tbEUlT_E_NS1_11comp_targetILNS1_3genE3ELNS1_11target_archE908ELNS1_3gpuE7ELNS1_3repE0EEENS1_30default_config_static_selectorELNS0_4arch9wavefront6targetE0EEEvSP_
		.amdhsa_group_segment_fixed_size 0
		.amdhsa_private_segment_fixed_size 0
		.amdhsa_kernarg_size 48
		.amdhsa_user_sgpr_count 15
		.amdhsa_user_sgpr_dispatch_ptr 0
		.amdhsa_user_sgpr_queue_ptr 0
		.amdhsa_user_sgpr_kernarg_segment_ptr 1
		.amdhsa_user_sgpr_dispatch_id 0
		.amdhsa_user_sgpr_private_segment_size 0
		.amdhsa_wavefront_size32 1
		.amdhsa_uses_dynamic_stack 0
		.amdhsa_enable_private_segment 0
		.amdhsa_system_sgpr_workgroup_id_x 1
		.amdhsa_system_sgpr_workgroup_id_y 0
		.amdhsa_system_sgpr_workgroup_id_z 0
		.amdhsa_system_sgpr_workgroup_info 0
		.amdhsa_system_vgpr_workitem_id 0
		.amdhsa_next_free_vgpr 1
		.amdhsa_next_free_sgpr 1
		.amdhsa_reserve_vcc 0
		.amdhsa_float_round_mode_32 0
		.amdhsa_float_round_mode_16_64 0
		.amdhsa_float_denorm_mode_32 3
		.amdhsa_float_denorm_mode_16_64 3
		.amdhsa_dx10_clamp 1
		.amdhsa_ieee_mode 1
		.amdhsa_fp16_overflow 0
		.amdhsa_workgroup_processor_mode 1
		.amdhsa_memory_ordered 1
		.amdhsa_forward_progress 0
		.amdhsa_shared_vgpr_count 0
		.amdhsa_exception_fp_ieee_invalid_op 0
		.amdhsa_exception_fp_denorm_src 0
		.amdhsa_exception_fp_ieee_div_zero 0
		.amdhsa_exception_fp_ieee_overflow 0
		.amdhsa_exception_fp_ieee_underflow 0
		.amdhsa_exception_fp_ieee_inexact 0
		.amdhsa_exception_int_div_zero 0
	.end_amdhsa_kernel
	.section	.text._ZN7rocprim17ROCPRIM_400000_NS6detail17trampoline_kernelINS0_14default_configENS1_32segmented_reduce_config_selectorIfEEZNS1_21segmented_reduce_implIS3_PKfPfPKifN6hipcub16HIPCUB_304000_NS6detail27convert_result_type_wrapperIS8_S9_N2at6native12_GLOBAL__N_19CustomSumEEEEE10hipError_tPvRmT0_T1_jT2_SQ_T4_T3_P12ihipStream_tbEUlT_E_NS1_11comp_targetILNS1_3genE3ELNS1_11target_archE908ELNS1_3gpuE7ELNS1_3repE0EEENS1_30default_config_static_selectorELNS0_4arch9wavefront6targetE0EEEvSP_,"axG",@progbits,_ZN7rocprim17ROCPRIM_400000_NS6detail17trampoline_kernelINS0_14default_configENS1_32segmented_reduce_config_selectorIfEEZNS1_21segmented_reduce_implIS3_PKfPfPKifN6hipcub16HIPCUB_304000_NS6detail27convert_result_type_wrapperIS8_S9_N2at6native12_GLOBAL__N_19CustomSumEEEEE10hipError_tPvRmT0_T1_jT2_SQ_T4_T3_P12ihipStream_tbEUlT_E_NS1_11comp_targetILNS1_3genE3ELNS1_11target_archE908ELNS1_3gpuE7ELNS1_3repE0EEENS1_30default_config_static_selectorELNS0_4arch9wavefront6targetE0EEEvSP_,comdat
.Lfunc_end55:
	.size	_ZN7rocprim17ROCPRIM_400000_NS6detail17trampoline_kernelINS0_14default_configENS1_32segmented_reduce_config_selectorIfEEZNS1_21segmented_reduce_implIS3_PKfPfPKifN6hipcub16HIPCUB_304000_NS6detail27convert_result_type_wrapperIS8_S9_N2at6native12_GLOBAL__N_19CustomSumEEEEE10hipError_tPvRmT0_T1_jT2_SQ_T4_T3_P12ihipStream_tbEUlT_E_NS1_11comp_targetILNS1_3genE3ELNS1_11target_archE908ELNS1_3gpuE7ELNS1_3repE0EEENS1_30default_config_static_selectorELNS0_4arch9wavefront6targetE0EEEvSP_, .Lfunc_end55-_ZN7rocprim17ROCPRIM_400000_NS6detail17trampoline_kernelINS0_14default_configENS1_32segmented_reduce_config_selectorIfEEZNS1_21segmented_reduce_implIS3_PKfPfPKifN6hipcub16HIPCUB_304000_NS6detail27convert_result_type_wrapperIS8_S9_N2at6native12_GLOBAL__N_19CustomSumEEEEE10hipError_tPvRmT0_T1_jT2_SQ_T4_T3_P12ihipStream_tbEUlT_E_NS1_11comp_targetILNS1_3genE3ELNS1_11target_archE908ELNS1_3gpuE7ELNS1_3repE0EEENS1_30default_config_static_selectorELNS0_4arch9wavefront6targetE0EEEvSP_
                                        ; -- End function
	.section	.AMDGPU.csdata,"",@progbits
; Kernel info:
; codeLenInByte = 0
; NumSgprs: 0
; NumVgprs: 0
; ScratchSize: 0
; MemoryBound: 0
; FloatMode: 240
; IeeeMode: 1
; LDSByteSize: 0 bytes/workgroup (compile time only)
; SGPRBlocks: 0
; VGPRBlocks: 0
; NumSGPRsForWavesPerEU: 1
; NumVGPRsForWavesPerEU: 1
; Occupancy: 16
; WaveLimiterHint : 0
; COMPUTE_PGM_RSRC2:SCRATCH_EN: 0
; COMPUTE_PGM_RSRC2:USER_SGPR: 15
; COMPUTE_PGM_RSRC2:TRAP_HANDLER: 0
; COMPUTE_PGM_RSRC2:TGID_X_EN: 1
; COMPUTE_PGM_RSRC2:TGID_Y_EN: 0
; COMPUTE_PGM_RSRC2:TGID_Z_EN: 0
; COMPUTE_PGM_RSRC2:TIDIG_COMP_CNT: 0
	.section	.text._ZN7rocprim17ROCPRIM_400000_NS6detail17trampoline_kernelINS0_14default_configENS1_32segmented_reduce_config_selectorIfEEZNS1_21segmented_reduce_implIS3_PKfPfPKifN6hipcub16HIPCUB_304000_NS6detail27convert_result_type_wrapperIS8_S9_N2at6native12_GLOBAL__N_19CustomSumEEEEE10hipError_tPvRmT0_T1_jT2_SQ_T4_T3_P12ihipStream_tbEUlT_E_NS1_11comp_targetILNS1_3genE2ELNS1_11target_archE906ELNS1_3gpuE6ELNS1_3repE0EEENS1_30default_config_static_selectorELNS0_4arch9wavefront6targetE0EEEvSP_,"axG",@progbits,_ZN7rocprim17ROCPRIM_400000_NS6detail17trampoline_kernelINS0_14default_configENS1_32segmented_reduce_config_selectorIfEEZNS1_21segmented_reduce_implIS3_PKfPfPKifN6hipcub16HIPCUB_304000_NS6detail27convert_result_type_wrapperIS8_S9_N2at6native12_GLOBAL__N_19CustomSumEEEEE10hipError_tPvRmT0_T1_jT2_SQ_T4_T3_P12ihipStream_tbEUlT_E_NS1_11comp_targetILNS1_3genE2ELNS1_11target_archE906ELNS1_3gpuE6ELNS1_3repE0EEENS1_30default_config_static_selectorELNS0_4arch9wavefront6targetE0EEEvSP_,comdat
	.globl	_ZN7rocprim17ROCPRIM_400000_NS6detail17trampoline_kernelINS0_14default_configENS1_32segmented_reduce_config_selectorIfEEZNS1_21segmented_reduce_implIS3_PKfPfPKifN6hipcub16HIPCUB_304000_NS6detail27convert_result_type_wrapperIS8_S9_N2at6native12_GLOBAL__N_19CustomSumEEEEE10hipError_tPvRmT0_T1_jT2_SQ_T4_T3_P12ihipStream_tbEUlT_E_NS1_11comp_targetILNS1_3genE2ELNS1_11target_archE906ELNS1_3gpuE6ELNS1_3repE0EEENS1_30default_config_static_selectorELNS0_4arch9wavefront6targetE0EEEvSP_ ; -- Begin function _ZN7rocprim17ROCPRIM_400000_NS6detail17trampoline_kernelINS0_14default_configENS1_32segmented_reduce_config_selectorIfEEZNS1_21segmented_reduce_implIS3_PKfPfPKifN6hipcub16HIPCUB_304000_NS6detail27convert_result_type_wrapperIS8_S9_N2at6native12_GLOBAL__N_19CustomSumEEEEE10hipError_tPvRmT0_T1_jT2_SQ_T4_T3_P12ihipStream_tbEUlT_E_NS1_11comp_targetILNS1_3genE2ELNS1_11target_archE906ELNS1_3gpuE6ELNS1_3repE0EEENS1_30default_config_static_selectorELNS0_4arch9wavefront6targetE0EEEvSP_
	.p2align	8
	.type	_ZN7rocprim17ROCPRIM_400000_NS6detail17trampoline_kernelINS0_14default_configENS1_32segmented_reduce_config_selectorIfEEZNS1_21segmented_reduce_implIS3_PKfPfPKifN6hipcub16HIPCUB_304000_NS6detail27convert_result_type_wrapperIS8_S9_N2at6native12_GLOBAL__N_19CustomSumEEEEE10hipError_tPvRmT0_T1_jT2_SQ_T4_T3_P12ihipStream_tbEUlT_E_NS1_11comp_targetILNS1_3genE2ELNS1_11target_archE906ELNS1_3gpuE6ELNS1_3repE0EEENS1_30default_config_static_selectorELNS0_4arch9wavefront6targetE0EEEvSP_,@function
_ZN7rocprim17ROCPRIM_400000_NS6detail17trampoline_kernelINS0_14default_configENS1_32segmented_reduce_config_selectorIfEEZNS1_21segmented_reduce_implIS3_PKfPfPKifN6hipcub16HIPCUB_304000_NS6detail27convert_result_type_wrapperIS8_S9_N2at6native12_GLOBAL__N_19CustomSumEEEEE10hipError_tPvRmT0_T1_jT2_SQ_T4_T3_P12ihipStream_tbEUlT_E_NS1_11comp_targetILNS1_3genE2ELNS1_11target_archE906ELNS1_3gpuE6ELNS1_3repE0EEENS1_30default_config_static_selectorELNS0_4arch9wavefront6targetE0EEEvSP_: ; @_ZN7rocprim17ROCPRIM_400000_NS6detail17trampoline_kernelINS0_14default_configENS1_32segmented_reduce_config_selectorIfEEZNS1_21segmented_reduce_implIS3_PKfPfPKifN6hipcub16HIPCUB_304000_NS6detail27convert_result_type_wrapperIS8_S9_N2at6native12_GLOBAL__N_19CustomSumEEEEE10hipError_tPvRmT0_T1_jT2_SQ_T4_T3_P12ihipStream_tbEUlT_E_NS1_11comp_targetILNS1_3genE2ELNS1_11target_archE906ELNS1_3gpuE6ELNS1_3repE0EEENS1_30default_config_static_selectorELNS0_4arch9wavefront6targetE0EEEvSP_
; %bb.0:
	.section	.rodata,"a",@progbits
	.p2align	6, 0x0
	.amdhsa_kernel _ZN7rocprim17ROCPRIM_400000_NS6detail17trampoline_kernelINS0_14default_configENS1_32segmented_reduce_config_selectorIfEEZNS1_21segmented_reduce_implIS3_PKfPfPKifN6hipcub16HIPCUB_304000_NS6detail27convert_result_type_wrapperIS8_S9_N2at6native12_GLOBAL__N_19CustomSumEEEEE10hipError_tPvRmT0_T1_jT2_SQ_T4_T3_P12ihipStream_tbEUlT_E_NS1_11comp_targetILNS1_3genE2ELNS1_11target_archE906ELNS1_3gpuE6ELNS1_3repE0EEENS1_30default_config_static_selectorELNS0_4arch9wavefront6targetE0EEEvSP_
		.amdhsa_group_segment_fixed_size 0
		.amdhsa_private_segment_fixed_size 0
		.amdhsa_kernarg_size 48
		.amdhsa_user_sgpr_count 15
		.amdhsa_user_sgpr_dispatch_ptr 0
		.amdhsa_user_sgpr_queue_ptr 0
		.amdhsa_user_sgpr_kernarg_segment_ptr 1
		.amdhsa_user_sgpr_dispatch_id 0
		.amdhsa_user_sgpr_private_segment_size 0
		.amdhsa_wavefront_size32 1
		.amdhsa_uses_dynamic_stack 0
		.amdhsa_enable_private_segment 0
		.amdhsa_system_sgpr_workgroup_id_x 1
		.amdhsa_system_sgpr_workgroup_id_y 0
		.amdhsa_system_sgpr_workgroup_id_z 0
		.amdhsa_system_sgpr_workgroup_info 0
		.amdhsa_system_vgpr_workitem_id 0
		.amdhsa_next_free_vgpr 1
		.amdhsa_next_free_sgpr 1
		.amdhsa_reserve_vcc 0
		.amdhsa_float_round_mode_32 0
		.amdhsa_float_round_mode_16_64 0
		.amdhsa_float_denorm_mode_32 3
		.amdhsa_float_denorm_mode_16_64 3
		.amdhsa_dx10_clamp 1
		.amdhsa_ieee_mode 1
		.amdhsa_fp16_overflow 0
		.amdhsa_workgroup_processor_mode 1
		.amdhsa_memory_ordered 1
		.amdhsa_forward_progress 0
		.amdhsa_shared_vgpr_count 0
		.amdhsa_exception_fp_ieee_invalid_op 0
		.amdhsa_exception_fp_denorm_src 0
		.amdhsa_exception_fp_ieee_div_zero 0
		.amdhsa_exception_fp_ieee_overflow 0
		.amdhsa_exception_fp_ieee_underflow 0
		.amdhsa_exception_fp_ieee_inexact 0
		.amdhsa_exception_int_div_zero 0
	.end_amdhsa_kernel
	.section	.text._ZN7rocprim17ROCPRIM_400000_NS6detail17trampoline_kernelINS0_14default_configENS1_32segmented_reduce_config_selectorIfEEZNS1_21segmented_reduce_implIS3_PKfPfPKifN6hipcub16HIPCUB_304000_NS6detail27convert_result_type_wrapperIS8_S9_N2at6native12_GLOBAL__N_19CustomSumEEEEE10hipError_tPvRmT0_T1_jT2_SQ_T4_T3_P12ihipStream_tbEUlT_E_NS1_11comp_targetILNS1_3genE2ELNS1_11target_archE906ELNS1_3gpuE6ELNS1_3repE0EEENS1_30default_config_static_selectorELNS0_4arch9wavefront6targetE0EEEvSP_,"axG",@progbits,_ZN7rocprim17ROCPRIM_400000_NS6detail17trampoline_kernelINS0_14default_configENS1_32segmented_reduce_config_selectorIfEEZNS1_21segmented_reduce_implIS3_PKfPfPKifN6hipcub16HIPCUB_304000_NS6detail27convert_result_type_wrapperIS8_S9_N2at6native12_GLOBAL__N_19CustomSumEEEEE10hipError_tPvRmT0_T1_jT2_SQ_T4_T3_P12ihipStream_tbEUlT_E_NS1_11comp_targetILNS1_3genE2ELNS1_11target_archE906ELNS1_3gpuE6ELNS1_3repE0EEENS1_30default_config_static_selectorELNS0_4arch9wavefront6targetE0EEEvSP_,comdat
.Lfunc_end56:
	.size	_ZN7rocprim17ROCPRIM_400000_NS6detail17trampoline_kernelINS0_14default_configENS1_32segmented_reduce_config_selectorIfEEZNS1_21segmented_reduce_implIS3_PKfPfPKifN6hipcub16HIPCUB_304000_NS6detail27convert_result_type_wrapperIS8_S9_N2at6native12_GLOBAL__N_19CustomSumEEEEE10hipError_tPvRmT0_T1_jT2_SQ_T4_T3_P12ihipStream_tbEUlT_E_NS1_11comp_targetILNS1_3genE2ELNS1_11target_archE906ELNS1_3gpuE6ELNS1_3repE0EEENS1_30default_config_static_selectorELNS0_4arch9wavefront6targetE0EEEvSP_, .Lfunc_end56-_ZN7rocprim17ROCPRIM_400000_NS6detail17trampoline_kernelINS0_14default_configENS1_32segmented_reduce_config_selectorIfEEZNS1_21segmented_reduce_implIS3_PKfPfPKifN6hipcub16HIPCUB_304000_NS6detail27convert_result_type_wrapperIS8_S9_N2at6native12_GLOBAL__N_19CustomSumEEEEE10hipError_tPvRmT0_T1_jT2_SQ_T4_T3_P12ihipStream_tbEUlT_E_NS1_11comp_targetILNS1_3genE2ELNS1_11target_archE906ELNS1_3gpuE6ELNS1_3repE0EEENS1_30default_config_static_selectorELNS0_4arch9wavefront6targetE0EEEvSP_
                                        ; -- End function
	.section	.AMDGPU.csdata,"",@progbits
; Kernel info:
; codeLenInByte = 0
; NumSgprs: 0
; NumVgprs: 0
; ScratchSize: 0
; MemoryBound: 0
; FloatMode: 240
; IeeeMode: 1
; LDSByteSize: 0 bytes/workgroup (compile time only)
; SGPRBlocks: 0
; VGPRBlocks: 0
; NumSGPRsForWavesPerEU: 1
; NumVGPRsForWavesPerEU: 1
; Occupancy: 16
; WaveLimiterHint : 0
; COMPUTE_PGM_RSRC2:SCRATCH_EN: 0
; COMPUTE_PGM_RSRC2:USER_SGPR: 15
; COMPUTE_PGM_RSRC2:TRAP_HANDLER: 0
; COMPUTE_PGM_RSRC2:TGID_X_EN: 1
; COMPUTE_PGM_RSRC2:TGID_Y_EN: 0
; COMPUTE_PGM_RSRC2:TGID_Z_EN: 0
; COMPUTE_PGM_RSRC2:TIDIG_COMP_CNT: 0
	.section	.text._ZN7rocprim17ROCPRIM_400000_NS6detail17trampoline_kernelINS0_14default_configENS1_32segmented_reduce_config_selectorIfEEZNS1_21segmented_reduce_implIS3_PKfPfPKifN6hipcub16HIPCUB_304000_NS6detail27convert_result_type_wrapperIS8_S9_N2at6native12_GLOBAL__N_19CustomSumEEEEE10hipError_tPvRmT0_T1_jT2_SQ_T4_T3_P12ihipStream_tbEUlT_E_NS1_11comp_targetILNS1_3genE9ELNS1_11target_archE1100ELNS1_3gpuE3ELNS1_3repE0EEENS1_30default_config_static_selectorELNS0_4arch9wavefront6targetE0EEEvSP_,"axG",@progbits,_ZN7rocprim17ROCPRIM_400000_NS6detail17trampoline_kernelINS0_14default_configENS1_32segmented_reduce_config_selectorIfEEZNS1_21segmented_reduce_implIS3_PKfPfPKifN6hipcub16HIPCUB_304000_NS6detail27convert_result_type_wrapperIS8_S9_N2at6native12_GLOBAL__N_19CustomSumEEEEE10hipError_tPvRmT0_T1_jT2_SQ_T4_T3_P12ihipStream_tbEUlT_E_NS1_11comp_targetILNS1_3genE9ELNS1_11target_archE1100ELNS1_3gpuE3ELNS1_3repE0EEENS1_30default_config_static_selectorELNS0_4arch9wavefront6targetE0EEEvSP_,comdat
	.globl	_ZN7rocprim17ROCPRIM_400000_NS6detail17trampoline_kernelINS0_14default_configENS1_32segmented_reduce_config_selectorIfEEZNS1_21segmented_reduce_implIS3_PKfPfPKifN6hipcub16HIPCUB_304000_NS6detail27convert_result_type_wrapperIS8_S9_N2at6native12_GLOBAL__N_19CustomSumEEEEE10hipError_tPvRmT0_T1_jT2_SQ_T4_T3_P12ihipStream_tbEUlT_E_NS1_11comp_targetILNS1_3genE9ELNS1_11target_archE1100ELNS1_3gpuE3ELNS1_3repE0EEENS1_30default_config_static_selectorELNS0_4arch9wavefront6targetE0EEEvSP_ ; -- Begin function _ZN7rocprim17ROCPRIM_400000_NS6detail17trampoline_kernelINS0_14default_configENS1_32segmented_reduce_config_selectorIfEEZNS1_21segmented_reduce_implIS3_PKfPfPKifN6hipcub16HIPCUB_304000_NS6detail27convert_result_type_wrapperIS8_S9_N2at6native12_GLOBAL__N_19CustomSumEEEEE10hipError_tPvRmT0_T1_jT2_SQ_T4_T3_P12ihipStream_tbEUlT_E_NS1_11comp_targetILNS1_3genE9ELNS1_11target_archE1100ELNS1_3gpuE3ELNS1_3repE0EEENS1_30default_config_static_selectorELNS0_4arch9wavefront6targetE0EEEvSP_
	.p2align	8
	.type	_ZN7rocprim17ROCPRIM_400000_NS6detail17trampoline_kernelINS0_14default_configENS1_32segmented_reduce_config_selectorIfEEZNS1_21segmented_reduce_implIS3_PKfPfPKifN6hipcub16HIPCUB_304000_NS6detail27convert_result_type_wrapperIS8_S9_N2at6native12_GLOBAL__N_19CustomSumEEEEE10hipError_tPvRmT0_T1_jT2_SQ_T4_T3_P12ihipStream_tbEUlT_E_NS1_11comp_targetILNS1_3genE9ELNS1_11target_archE1100ELNS1_3gpuE3ELNS1_3repE0EEENS1_30default_config_static_selectorELNS0_4arch9wavefront6targetE0EEEvSP_,@function
_ZN7rocprim17ROCPRIM_400000_NS6detail17trampoline_kernelINS0_14default_configENS1_32segmented_reduce_config_selectorIfEEZNS1_21segmented_reduce_implIS3_PKfPfPKifN6hipcub16HIPCUB_304000_NS6detail27convert_result_type_wrapperIS8_S9_N2at6native12_GLOBAL__N_19CustomSumEEEEE10hipError_tPvRmT0_T1_jT2_SQ_T4_T3_P12ihipStream_tbEUlT_E_NS1_11comp_targetILNS1_3genE9ELNS1_11target_archE1100ELNS1_3gpuE3ELNS1_3repE0EEENS1_30default_config_static_selectorELNS0_4arch9wavefront6targetE0EEEvSP_: ; @_ZN7rocprim17ROCPRIM_400000_NS6detail17trampoline_kernelINS0_14default_configENS1_32segmented_reduce_config_selectorIfEEZNS1_21segmented_reduce_implIS3_PKfPfPKifN6hipcub16HIPCUB_304000_NS6detail27convert_result_type_wrapperIS8_S9_N2at6native12_GLOBAL__N_19CustomSumEEEEE10hipError_tPvRmT0_T1_jT2_SQ_T4_T3_P12ihipStream_tbEUlT_E_NS1_11comp_targetILNS1_3genE9ELNS1_11target_archE1100ELNS1_3gpuE3ELNS1_3repE0EEENS1_30default_config_static_selectorELNS0_4arch9wavefront6targetE0EEEvSP_
; %bb.0:
	s_clause 0x2
	s_load_b256 s[16:23], s[0:1], 0x0
	s_load_b64 s[2:3], s[0:1], 0x20
	s_load_b32 s28, s[0:1], 0x2c
	s_mov_b32 s14, s15
	s_mov_b32 s15, 0
	v_cmp_eq_u32_e32 vcc_lo, 0, v0
	s_waitcnt lgkmcnt(0)
	s_lshl_b64 s[20:21], s[20:21], 2
	s_delay_alu instid0(SALU_CYCLE_1) | instskip(SKIP_4) | instid1(SALU_CYCLE_1)
	s_add_u32 s0, s22, s20
	s_addc_u32 s1, s23, s21
	s_add_u32 s2, s2, s20
	s_addc_u32 s3, s3, s21
	s_lshl_b64 s[22:23], s[14:15], 2
	s_add_u32 s0, s0, s22
	s_addc_u32 s1, s1, s23
	s_add_u32 s2, s2, s22
	s_addc_u32 s3, s3, s23
	s_load_b32 s24, s[0:1], 0x0
	s_load_b32 s29, s[2:3], 0x0
	s_waitcnt lgkmcnt(0)
	s_cmp_gt_i32 s29, s24
	s_cbranch_scc1 .LBB57_3
; %bb.1:
	s_and_b32 s15, vcc_lo, exec_lo
	s_cbranch_execz .LBB57_4
; %bb.2:
	v_mov_b32_e32 v1, s28
	s_and_saveexec_b32 s0, s15
	s_cbranch_execnz .LBB57_67
	s_branch .LBB57_68
.LBB57_3:
.LBB57_4:
	s_add_i32 s0, s24, 0x1000
	s_delay_alu instid0(SALU_CYCLE_1)
	s_cmp_le_i32 s0, s29
	s_cbranch_scc0 .LBB57_45
; %bb.5:
	s_ashr_i32 s25, s24, 31
	v_lshlrev_b32_e32 v18, 2, v0
	s_lshl_b64 s[2:3], s[24:25], 2
	s_delay_alu instid0(SALU_CYCLE_1) | instskip(SKIP_1) | instid1(VALU_DEP_1)
	s_add_u32 s2, s16, s2
	s_addc_u32 s3, s17, s3
	v_add_co_u32 v14, s1, s2, v18
	s_clause 0x1
	global_load_b32 v2, v18, s[2:3]
	global_load_b32 v1, v18, s[2:3] offset:1024
	v_add_co_ci_u32_e64 v15, null, s3, 0, s1
	s_clause 0x1
	global_load_b32 v4, v18, s[2:3] offset:2048
	global_load_b32 v3, v18, s[2:3] offset:3072
	v_add_co_u32 v9, vcc_lo, v14, 0x2000
	v_add_co_ci_u32_e32 v10, vcc_lo, 0, v15, vcc_lo
	v_add_co_u32 v11, vcc_lo, 0x1000, v14
	v_add_co_ci_u32_e32 v12, vcc_lo, 0, v15, vcc_lo
	s_clause 0x3
	global_load_b32 v8, v[9:10], off offset:-4096
	global_load_b32 v7, v[11:12], off offset:1024
	global_load_b32 v6, v[11:12], off offset:2048
	;; [unrolled: 1-line block ×3, first 2 shown]
	v_add_co_u32 v12, vcc_lo, 0x2000, v14
	v_add_co_ci_u32_e32 v13, vcc_lo, 0, v15, vcc_lo
	s_clause 0x2
	global_load_b32 v11, v[9:10], off
	global_load_b32 v10, v[12:13], off offset:1024
	global_load_b32 v9, v[12:13], off offset:2048
	v_add_co_u32 v16, vcc_lo, 0x3000, v14
	v_add_co_ci_u32_e32 v17, vcc_lo, 0, v15, vcc_lo
	s_clause 0x4
	global_load_b32 v12, v[12:13], off offset:3072
	global_load_b32 v15, v[16:17], off
	global_load_b32 v14, v[16:17], off offset:1024
	global_load_b32 v13, v[16:17], off offset:2048
	;; [unrolled: 1-line block ×3, first 2 shown]
	s_add_i32 s1, s24, 0x2000
	s_delay_alu instid0(SALU_CYCLE_1) | instskip(SKIP_3) | instid1(VALU_DEP_1)
	s_cmp_ge_i32 s1, s29
	s_waitcnt vmcnt(14)
	v_add_f32_e32 v17, v2, v1
	s_waitcnt vmcnt(13)
	v_add_f32_e32 v17, v17, v4
	s_waitcnt vmcnt(12)
	s_delay_alu instid0(VALU_DEP_1) | instskip(SKIP_1) | instid1(VALU_DEP_1)
	v_add_f32_e32 v17, v17, v3
	s_waitcnt vmcnt(11)
	v_add_f32_e32 v17, v17, v8
	s_waitcnt vmcnt(10)
	s_delay_alu instid0(VALU_DEP_1) | instskip(SKIP_1) | instid1(VALU_DEP_1)
	v_add_f32_e32 v17, v17, v7
	s_waitcnt vmcnt(9)
	v_add_f32_e32 v17, v17, v6
	s_waitcnt vmcnt(8)
	s_delay_alu instid0(VALU_DEP_1) | instskip(SKIP_1) | instid1(VALU_DEP_1)
	v_add_f32_e32 v17, v17, v5
	s_waitcnt vmcnt(7)
	v_add_f32_e32 v17, v17, v11
	s_waitcnt vmcnt(6)
	s_delay_alu instid0(VALU_DEP_1) | instskip(SKIP_1) | instid1(VALU_DEP_1)
	v_add_f32_e32 v17, v17, v10
	s_waitcnt vmcnt(5)
	v_add_f32_e32 v17, v17, v9
	s_waitcnt vmcnt(4)
	s_delay_alu instid0(VALU_DEP_1) | instskip(SKIP_1) | instid1(VALU_DEP_1)
	v_add_f32_e32 v17, v17, v12
	s_waitcnt vmcnt(3)
	v_add_f32_e32 v17, v17, v15
	s_waitcnt vmcnt(2)
	s_delay_alu instid0(VALU_DEP_1) | instskip(SKIP_1) | instid1(VALU_DEP_1)
	v_add_f32_e32 v17, v17, v14
	s_waitcnt vmcnt(1)
	v_add_f32_e32 v17, v17, v13
	s_waitcnt vmcnt(0)
	s_delay_alu instid0(VALU_DEP_1)
	v_add_f32_e32 v17, v17, v16
	s_cbranch_scc1 .LBB57_8
; %bb.6:
	v_add_co_u32 v19, s1, s16, v18
	s_delay_alu instid0(VALU_DEP_1)
	v_add_co_ci_u32_e64 v20, null, s17, 0, s1
.LBB57_7:                               ; =>This Inner Loop Header: Depth=1
	s_ashr_i32 s1, s0, 31
	s_delay_alu instid0(SALU_CYCLE_1) | instskip(SKIP_4) | instid1(VALU_DEP_2)
	s_lshl_b64 s[2:3], s[0:1], 2
	s_add_i32 s1, s0, 0x2000
	v_add_co_u32 v12, vcc_lo, v19, s2
	v_add_co_ci_u32_e32 v13, vcc_lo, s3, v20, vcc_lo
	s_addk_i32 s0, 0x1000
	v_add_co_u32 v9, vcc_lo, v12, 0x2000
	s_clause 0x3
	global_load_b32 v2, v[12:13], off
	global_load_b32 v1, v[12:13], off offset:1024
	global_load_b32 v4, v[12:13], off offset:2048
	;; [unrolled: 1-line block ×3, first 2 shown]
	v_add_co_ci_u32_e32 v10, vcc_lo, 0, v13, vcc_lo
	v_add_co_u32 v14, vcc_lo, 0x1000, v12
	v_add_co_ci_u32_e32 v15, vcc_lo, 0, v13, vcc_lo
	s_clause 0x3
	global_load_b32 v8, v[9:10], off offset:-4096
	global_load_b32 v7, v[14:15], off offset:1024
	global_load_b32 v6, v[14:15], off offset:2048
	;; [unrolled: 1-line block ×3, first 2 shown]
	v_add_co_u32 v14, vcc_lo, 0x2000, v12
	v_add_co_ci_u32_e32 v15, vcc_lo, 0, v13, vcc_lo
	s_clause 0x2
	global_load_b32 v11, v[9:10], off
	global_load_b32 v10, v[14:15], off offset:1024
	global_load_b32 v9, v[14:15], off offset:2048
	v_add_co_u32 v21, vcc_lo, 0x3000, v12
	v_add_co_ci_u32_e32 v22, vcc_lo, 0, v13, vcc_lo
	s_clause 0x4
	global_load_b32 v12, v[14:15], off offset:3072
	global_load_b32 v15, v[21:22], off
	global_load_b32 v14, v[21:22], off offset:1024
	global_load_b32 v13, v[21:22], off offset:2048
	;; [unrolled: 1-line block ×3, first 2 shown]
	s_cmp_lt_i32 s1, s29
	s_waitcnt vmcnt(15)
	v_add_f32_e32 v17, v17, v2
	s_waitcnt vmcnt(14)
	s_delay_alu instid0(VALU_DEP_1) | instskip(SKIP_1) | instid1(VALU_DEP_1)
	v_add_f32_e32 v17, v17, v1
	s_waitcnt vmcnt(13)
	v_add_f32_e32 v17, v17, v4
	s_waitcnt vmcnt(12)
	s_delay_alu instid0(VALU_DEP_1) | instskip(SKIP_1) | instid1(VALU_DEP_1)
	v_add_f32_e32 v17, v17, v3
	;; [unrolled: 5-line block ×7, first 2 shown]
	s_waitcnt vmcnt(1)
	v_add_f32_e32 v17, v17, v13
	s_waitcnt vmcnt(0)
	s_delay_alu instid0(VALU_DEP_1)
	v_add_f32_e32 v17, v17, v16
	s_cbranch_scc1 .LBB57_7
.LBB57_8:
	s_ashr_i32 s1, s0, 31
	s_sub_i32 s14, s29, s0
	s_lshl_b64 s[0:1], s[0:1], 2
	v_cmp_gt_u32_e32 vcc_lo, s14, v0
	s_add_u32 s26, s16, s0
	s_addc_u32 s27, s17, s1
	s_and_saveexec_b32 s0, vcc_lo
	s_cbranch_execz .LBB57_10
; %bb.9:
	global_load_b32 v2, v18, s[26:27]
.LBB57_10:
	s_or_b32 exec_lo, exec_lo, s0
	v_or_b32_e32 v19, 0x100, v0
	s_delay_alu instid0(VALU_DEP_1) | instskip(NEXT) | instid1(VALU_DEP_1)
	v_cmp_gt_u32_e64 s0, s14, v19
	s_and_saveexec_b32 s1, s0
	s_cbranch_execz .LBB57_12
; %bb.11:
	global_load_b32 v1, v18, s[26:27] offset:1024
.LBB57_12:
	s_or_b32 exec_lo, exec_lo, s1
	v_or_b32_e32 v19, 0x200, v0
	s_delay_alu instid0(VALU_DEP_1) | instskip(NEXT) | instid1(VALU_DEP_1)
	v_cmp_gt_u32_e64 s1, s14, v19
	s_and_saveexec_b32 s2, s1
	s_cbranch_execz .LBB57_14
; %bb.13:
	global_load_b32 v4, v18, s[26:27] offset:2048
.LBB57_14:
	s_or_b32 exec_lo, exec_lo, s2
	v_or_b32_e32 v19, 0x300, v0
	s_delay_alu instid0(VALU_DEP_1) | instskip(NEXT) | instid1(VALU_DEP_1)
	v_cmp_gt_u32_e64 s2, s14, v19
	s_and_saveexec_b32 s3, s2
	s_cbranch_execz .LBB57_16
; %bb.15:
	global_load_b32 v3, v18, s[26:27] offset:3072
.LBB57_16:
	s_or_b32 exec_lo, exec_lo, s3
	v_or_b32_e32 v18, 0x400, v0
	s_delay_alu instid0(VALU_DEP_1) | instskip(NEXT) | instid1(VALU_DEP_1)
	v_cmp_gt_u32_e64 s3, s14, v18
	s_and_saveexec_b32 s4, s3
	s_cbranch_execz .LBB57_18
; %bb.17:
	v_lshlrev_b32_e32 v8, 2, v18
	global_load_b32 v8, v8, s[26:27]
.LBB57_18:
	s_or_b32 exec_lo, exec_lo, s4
	v_or_b32_e32 v18, 0x500, v0
	s_delay_alu instid0(VALU_DEP_1) | instskip(NEXT) | instid1(VALU_DEP_1)
	v_cmp_gt_u32_e64 s4, s14, v18
	s_and_saveexec_b32 s5, s4
	s_cbranch_execz .LBB57_20
; %bb.19:
	v_lshlrev_b32_e32 v7, 2, v18
	global_load_b32 v7, v7, s[26:27]
.LBB57_20:
	;; [unrolled: 10-line block ×12, first 2 shown]
	s_or_b32 exec_lo, exec_lo, s25
	s_waitcnt vmcnt(0)
	v_add_f32_e32 v2, v17, v2
	s_delay_alu instid0(VALU_DEP_1) | instskip(NEXT) | instid1(VALU_DEP_1)
	v_cndmask_b32_e32 v2, v17, v2, vcc_lo
	v_add_f32_e32 v1, v1, v2
	s_delay_alu instid0(VALU_DEP_1) | instskip(SKIP_1) | instid1(VALU_DEP_1)
	v_cndmask_b32_e64 v1, v2, v1, s0
	s_mov_b32 s0, exec_lo
	v_add_f32_e32 v2, v4, v1
	s_delay_alu instid0(VALU_DEP_1) | instskip(NEXT) | instid1(VALU_DEP_1)
	v_cndmask_b32_e64 v1, v1, v2, s1
	v_add_f32_e32 v2, v3, v1
	s_delay_alu instid0(VALU_DEP_1) | instskip(NEXT) | instid1(VALU_DEP_1)
	v_cndmask_b32_e64 v1, v1, v2, s2
	;; [unrolled: 3-line block ×14, first 2 shown]
	v_mov_b32_dpp v2, v1 quad_perm:[1,0,3,2] row_mask:0xf bank_mask:0xf
	s_delay_alu instid0(VALU_DEP_1) | instskip(NEXT) | instid1(VALU_DEP_1)
	v_add_f32_e32 v1, v1, v2
	v_mov_b32_dpp v2, v1 quad_perm:[2,3,0,1] row_mask:0xf bank_mask:0xf
	s_delay_alu instid0(VALU_DEP_1) | instskip(NEXT) | instid1(VALU_DEP_1)
	v_add_f32_e32 v1, v1, v2
	v_mov_b32_dpp v2, v1 row_ror:4 row_mask:0xf bank_mask:0xf
	s_delay_alu instid0(VALU_DEP_1) | instskip(NEXT) | instid1(VALU_DEP_1)
	v_add_f32_e32 v1, v1, v2
	v_mov_b32_dpp v2, v1 row_ror:8 row_mask:0xf bank_mask:0xf
	s_delay_alu instid0(VALU_DEP_1)
	v_add_f32_e32 v1, v1, v2
	ds_swizzle_b32 v2, v1 offset:swizzle(BROADCAST,32,15)
	s_waitcnt lgkmcnt(0)
	v_dual_add_f32 v1, v1, v2 :: v_dual_mov_b32 v2, 0
	ds_bpermute_b32 v2, v2, v1 offset:124
	v_mbcnt_lo_u32_b32 v1, -1, 0
	s_delay_alu instid0(VALU_DEP_1)
	v_cmpx_eq_u32_e32 0, v1
	s_cbranch_execz .LBB57_42
; %bb.41:
	v_lshrrev_b32_e32 v3, 3, v0
	s_delay_alu instid0(VALU_DEP_1)
	v_and_b32_e32 v3, 28, v3
	s_waitcnt lgkmcnt(0)
	ds_store_b32 v3, v2
.LBB57_42:
	s_or_b32 exec_lo, exec_lo, s0
	s_delay_alu instid0(SALU_CYCLE_1)
	s_mov_b32 s0, exec_lo
	s_waitcnt lgkmcnt(0)
	s_barrier
	buffer_gl0_inv
	v_cmpx_gt_u32_e32 32, v0
	s_cbranch_execz .LBB57_44
; %bb.43:
	v_and_b32_e32 v2, 7, v1
	s_delay_alu instid0(VALU_DEP_1) | instskip(SKIP_3) | instid1(VALU_DEP_1)
	v_lshlrev_b32_e32 v3, 2, v2
	v_cmp_ne_u32_e32 vcc_lo, 7, v2
	ds_load_b32 v3, v3
	v_add_co_ci_u32_e32 v4, vcc_lo, 0, v1, vcc_lo
	v_lshlrev_b32_e32 v4, 2, v4
	s_waitcnt lgkmcnt(0)
	ds_bpermute_b32 v4, v4, v3
	s_waitcnt lgkmcnt(0)
	v_add_f32_e32 v3, v3, v4
	v_cmp_gt_u32_e32 vcc_lo, 6, v2
	v_cndmask_b32_e64 v5, 0, 1, vcc_lo
	v_cmp_gt_u32_e32 vcc_lo, 4, v2
	s_delay_alu instid0(VALU_DEP_2) | instskip(SKIP_1) | instid1(VALU_DEP_2)
	v_lshlrev_b32_e32 v5, 1, v5
	v_cndmask_b32_e64 v2, 0, 1, vcc_lo
	v_add_lshl_u32 v5, v5, v1, 2
	ds_bpermute_b32 v4, v5, v3
	s_waitcnt lgkmcnt(0)
	v_dual_add_f32 v3, v3, v4 :: v_dual_lshlrev_b32 v2, 2, v2
	s_delay_alu instid0(VALU_DEP_1)
	v_add_lshl_u32 v1, v2, v1, 2
	ds_bpermute_b32 v1, v1, v3
	s_waitcnt lgkmcnt(0)
	v_add_f32_e32 v2, v3, v1
.LBB57_44:
	s_or_b32 exec_lo, exec_lo, s0
	s_branch .LBB57_64
.LBB57_45:
                                        ; implicit-def: $vgpr2
	s_cbranch_execz .LBB57_64
; %bb.46:
	s_sub_i32 s2, s29, s24
	s_mov_b32 s0, exec_lo
                                        ; implicit-def: $vgpr3
	v_cmpx_gt_u32_e64 s2, v0
	s_cbranch_execz .LBB57_52
; %bb.47:
	v_add_nc_u32_e32 v1, s24, v0
	s_mov_b32 s1, exec_lo
	s_delay_alu instid0(VALU_DEP_1) | instskip(NEXT) | instid1(VALU_DEP_1)
	v_ashrrev_i32_e32 v2, 31, v1
	v_lshlrev_b64 v[2:3], 2, v[1:2]
	v_add_nc_u32_e32 v1, 0x100, v1
	s_delay_alu instid0(VALU_DEP_2) | instskip(NEXT) | instid1(VALU_DEP_3)
	v_add_co_u32 v2, vcc_lo, s16, v2
	v_add_co_ci_u32_e32 v3, vcc_lo, s17, v3, vcc_lo
	global_load_b32 v3, v[2:3], off
	v_cmpx_gt_i32_e64 s29, v1
	s_cbranch_execz .LBB57_51
; %bb.48:
	s_mov_b32 s3, 0
.LBB57_49:                              ; =>This Inner Loop Header: Depth=1
	v_ashrrev_i32_e32 v2, 31, v1
	s_delay_alu instid0(VALU_DEP_1) | instskip(SKIP_1) | instid1(VALU_DEP_2)
	v_lshlrev_b64 v[4:5], 2, v[1:2]
	v_add_nc_u32_e32 v1, 0x100, v1
	v_add_co_u32 v4, vcc_lo, s16, v4
	s_delay_alu instid0(VALU_DEP_3) | instskip(NEXT) | instid1(VALU_DEP_3)
	v_add_co_ci_u32_e32 v5, vcc_lo, s17, v5, vcc_lo
	v_cmp_le_i32_e32 vcc_lo, s29, v1
	global_load_b32 v2, v[4:5], off
	s_or_b32 s3, vcc_lo, s3
	s_waitcnt vmcnt(0)
	v_add_f32_e32 v3, v3, v2
	s_and_not1_b32 exec_lo, exec_lo, s3
	s_cbranch_execnz .LBB57_49
; %bb.50:
	s_or_b32 exec_lo, exec_lo, s3
.LBB57_51:
	s_delay_alu instid0(SALU_CYCLE_1)
	s_or_b32 exec_lo, exec_lo, s1
.LBB57_52:
	s_delay_alu instid0(SALU_CYCLE_1) | instskip(SKIP_3) | instid1(VALU_DEP_1)
	s_or_b32 exec_lo, exec_lo, s0
	v_mbcnt_lo_u32_b32 v1, -1, 0
	s_cmpk_lt_u32 s2, 0x100
	s_mov_b32 s0, -1
	v_cmp_eq_u32_e32 vcc_lo, 0, v1
	s_cbranch_scc0 .LBB57_58
; %bb.53:
	v_cmp_ne_u32_e64 s0, 31, v1
	v_add_nc_u32_e32 v6, 1, v1
	v_cmp_gt_u32_e64 s1, 28, v1
	s_delay_alu instid0(VALU_DEP_3) | instskip(SKIP_1) | instid1(VALU_DEP_2)
	v_add_co_ci_u32_e64 v2, s0, 0, v1, s0
	v_cmp_gt_u32_e64 s0, 30, v1
	v_lshlrev_b32_e32 v2, 2, v2
	s_delay_alu instid0(VALU_DEP_2) | instskip(SKIP_4) | instid1(VALU_DEP_1)
	v_cndmask_b32_e64 v4, 0, 1, s0
	s_waitcnt vmcnt(0)
	ds_bpermute_b32 v2, v2, v3
	v_and_b32_e32 v5, 0xe0, v0
	v_lshlrev_b32_e32 v4, 1, v4
	v_add_lshl_u32 v4, v4, v1, 2
	s_waitcnt lgkmcnt(0)
	v_add_f32_e32 v2, v3, v2
	v_sub_nc_u32_e64 v5, s2, v5 clamp
	s_delay_alu instid0(VALU_DEP_1) | instskip(SKIP_1) | instid1(VALU_DEP_2)
	v_cmp_lt_u32_e64 s0, v6, v5
	v_cndmask_b32_e64 v6, 0, 1, s1
	v_cndmask_b32_e64 v2, v3, v2, s0
	s_delay_alu instid0(VALU_DEP_2)
	v_lshlrev_b32_e32 v6, 2, v6
	ds_bpermute_b32 v4, v4, v2
	v_add_nc_u32_e32 v7, 2, v1
	v_add_lshl_u32 v6, v6, v1, 2
	s_waitcnt lgkmcnt(0)
	v_add_f32_e32 v4, v2, v4
	s_delay_alu instid0(VALU_DEP_3) | instskip(NEXT) | instid1(VALU_DEP_1)
	v_cmp_lt_u32_e64 s1, v7, v5
	v_cndmask_b32_e64 v2, v2, v4, s1
	v_cmp_gt_u32_e64 s1, 24, v1
	ds_bpermute_b32 v4, v6, v2
	v_cndmask_b32_e64 v6, 0, 1, s1
	v_add_nc_u32_e32 v7, 4, v1
	s_delay_alu instid0(VALU_DEP_2) | instskip(NEXT) | instid1(VALU_DEP_1)
	v_lshlrev_b32_e32 v6, 3, v6
	v_add_lshl_u32 v6, v6, v1, 2
	s_waitcnt lgkmcnt(0)
	v_add_f32_e32 v4, v2, v4
	v_cmp_lt_u32_e64 s1, v7, v5
	s_delay_alu instid0(VALU_DEP_1) | instskip(SKIP_4) | instid1(VALU_DEP_2)
	v_cndmask_b32_e64 v2, v2, v4, s1
	v_cmp_gt_u32_e64 s1, 16, v1
	ds_bpermute_b32 v4, v6, v2
	v_cndmask_b32_e64 v6, 0, 1, s1
	v_add_nc_u32_e32 v7, 8, v1
	v_lshlrev_b32_e32 v6, 4, v6
	s_waitcnt lgkmcnt(0)
	v_add_f32_e32 v4, v2, v4
	s_delay_alu instid0(VALU_DEP_3) | instskip(NEXT) | instid1(VALU_DEP_1)
	v_cmp_lt_u32_e64 s1, v7, v5
	v_cndmask_b32_e64 v2, v2, v4, s1
	v_add_lshl_u32 v4, v6, v1, 2
	v_add_nc_u32_e32 v6, 16, v1
	ds_bpermute_b32 v4, v4, v2
	v_cmp_lt_u32_e64 s1, v6, v5
	s_waitcnt lgkmcnt(0)
	v_add_f32_e32 v4, v2, v4
	s_delay_alu instid0(VALU_DEP_1) | instskip(NEXT) | instid1(VALU_DEP_1)
	v_cndmask_b32_e64 v2, v2, v4, s1
	v_cndmask_b32_e64 v2, v3, v2, s0
	s_and_saveexec_b32 s0, vcc_lo
	s_cbranch_execz .LBB57_55
; %bb.54:
	v_lshrrev_b32_e32 v4, 3, v0
	s_delay_alu instid0(VALU_DEP_1)
	v_and_b32_e32 v4, 28, v4
	ds_store_b32 v4, v2
.LBB57_55:
	s_or_b32 exec_lo, exec_lo, s0
	s_delay_alu instid0(SALU_CYCLE_1)
	s_mov_b32 s1, exec_lo
	s_waitcnt lgkmcnt(0)
	s_barrier
	buffer_gl0_inv
	v_cmpx_gt_u32_e32 8, v0
	s_cbranch_execz .LBB57_57
; %bb.56:
	v_lshlrev_b32_e32 v2, 2, v1
	v_and_b32_e32 v4, 7, v1
	s_add_i32 s2, s2, 31
	s_delay_alu instid0(SALU_CYCLE_1)
	s_lshr_b32 s2, s2, 5
	ds_load_b32 v2, v2
	v_cmp_ne_u32_e32 vcc_lo, 7, v4
	v_add_nc_u32_e32 v7, 1, v4
	v_cmp_gt_u32_e64 s0, 4, v4
	v_add_nc_u32_e32 v8, 2, v4
	v_add_co_ci_u32_e32 v5, vcc_lo, 0, v1, vcc_lo
	v_cmp_gt_u32_e32 vcc_lo, 6, v4
	v_add_nc_u32_e32 v4, 4, v4
	v_cndmask_b32_e64 v6, 0, 1, vcc_lo
	v_cmp_gt_u32_e32 vcc_lo, s2, v7
	v_lshlrev_b32_e32 v5, 2, v5
	v_cndmask_b32_e64 v7, 0, 1, s0
	v_cmp_gt_u32_e64 s0, s2, v8
	s_waitcnt lgkmcnt(0)
	ds_bpermute_b32 v5, v5, v2
	s_waitcnt lgkmcnt(0)
	v_dual_add_f32 v5, v2, v5 :: v_dual_lshlrev_b32 v6, 1, v6
	s_delay_alu instid0(VALU_DEP_1) | instskip(NEXT) | instid1(VALU_DEP_2)
	v_add_lshl_u32 v6, v6, v1, 2
	v_cndmask_b32_e32 v5, v2, v5, vcc_lo
	ds_bpermute_b32 v6, v6, v5
	s_waitcnt lgkmcnt(0)
	v_add_f32_e32 v6, v5, v6
	s_delay_alu instid0(VALU_DEP_1) | instskip(SKIP_2) | instid1(VALU_DEP_2)
	v_cndmask_b32_e64 v5, v5, v6, s0
	v_lshlrev_b32_e32 v7, 2, v7
	v_cmp_gt_u32_e64 s0, s2, v4
	v_add_lshl_u32 v6, v7, v1, 2
	ds_bpermute_b32 v6, v6, v5
	s_waitcnt lgkmcnt(0)
	v_add_f32_e32 v6, v5, v6
	s_delay_alu instid0(VALU_DEP_1) | instskip(NEXT) | instid1(VALU_DEP_1)
	v_cndmask_b32_e64 v4, v5, v6, s0
	v_cndmask_b32_e32 v2, v2, v4, vcc_lo
.LBB57_57:
	s_or_b32 exec_lo, exec_lo, s1
	s_branch .LBB57_64
.LBB57_58:
                                        ; implicit-def: $vgpr2
	s_and_b32 vcc_lo, exec_lo, s0
	s_cbranch_vccz .LBB57_64
; %bb.59:
	s_waitcnt vmcnt(0)
	v_mov_b32_dpp v2, v3 quad_perm:[1,0,3,2] row_mask:0xf bank_mask:0xf
	s_mov_b32 s0, exec_lo
	s_delay_alu instid0(VALU_DEP_1) | instskip(NEXT) | instid1(VALU_DEP_1)
	v_add_f32_e32 v2, v3, v2
	v_mov_b32_dpp v3, v2 quad_perm:[2,3,0,1] row_mask:0xf bank_mask:0xf
	s_delay_alu instid0(VALU_DEP_1) | instskip(NEXT) | instid1(VALU_DEP_1)
	v_add_f32_e32 v2, v2, v3
	v_mov_b32_dpp v3, v2 row_ror:4 row_mask:0xf bank_mask:0xf
	s_delay_alu instid0(VALU_DEP_1) | instskip(NEXT) | instid1(VALU_DEP_1)
	v_add_f32_e32 v2, v2, v3
	v_mov_b32_dpp v3, v2 row_ror:8 row_mask:0xf bank_mask:0xf
	s_delay_alu instid0(VALU_DEP_1)
	v_add_f32_e32 v2, v2, v3
	ds_swizzle_b32 v3, v2 offset:swizzle(BROADCAST,32,15)
	s_waitcnt lgkmcnt(0)
	v_dual_add_f32 v2, v2, v3 :: v_dual_mov_b32 v3, 0
	ds_bpermute_b32 v2, v3, v2 offset:124
	v_cmpx_eq_u32_e32 0, v1
	s_cbranch_execz .LBB57_61
; %bb.60:
	v_lshrrev_b32_e32 v3, 3, v0
	s_delay_alu instid0(VALU_DEP_1)
	v_and_b32_e32 v3, 28, v3
	s_waitcnt lgkmcnt(0)
	ds_store_b32 v3, v2
.LBB57_61:
	s_or_b32 exec_lo, exec_lo, s0
	s_delay_alu instid0(SALU_CYCLE_1)
	s_mov_b32 s0, exec_lo
	s_waitcnt lgkmcnt(0)
	s_barrier
	buffer_gl0_inv
	v_cmpx_gt_u32_e32 32, v0
	s_cbranch_execz .LBB57_63
; %bb.62:
	v_and_b32_e32 v2, 7, v1
	s_delay_alu instid0(VALU_DEP_1) | instskip(SKIP_3) | instid1(VALU_DEP_1)
	v_lshlrev_b32_e32 v3, 2, v2
	v_cmp_ne_u32_e32 vcc_lo, 7, v2
	ds_load_b32 v3, v3
	v_add_co_ci_u32_e32 v4, vcc_lo, 0, v1, vcc_lo
	v_lshlrev_b32_e32 v4, 2, v4
	s_waitcnt lgkmcnt(0)
	ds_bpermute_b32 v4, v4, v3
	s_waitcnt lgkmcnt(0)
	v_add_f32_e32 v3, v3, v4
	v_cmp_gt_u32_e32 vcc_lo, 6, v2
	v_cndmask_b32_e64 v5, 0, 1, vcc_lo
	v_cmp_gt_u32_e32 vcc_lo, 4, v2
	s_delay_alu instid0(VALU_DEP_2) | instskip(SKIP_1) | instid1(VALU_DEP_2)
	v_lshlrev_b32_e32 v5, 1, v5
	v_cndmask_b32_e64 v2, 0, 1, vcc_lo
	v_add_lshl_u32 v5, v5, v1, 2
	ds_bpermute_b32 v4, v5, v3
	s_waitcnt lgkmcnt(0)
	v_dual_add_f32 v3, v3, v4 :: v_dual_lshlrev_b32 v2, 2, v2
	s_delay_alu instid0(VALU_DEP_1)
	v_add_lshl_u32 v1, v2, v1, 2
	ds_bpermute_b32 v1, v1, v3
	s_waitcnt lgkmcnt(0)
	v_add_f32_e32 v2, v3, v1
.LBB57_63:
	s_or_b32 exec_lo, exec_lo, s0
.LBB57_64:
	s_delay_alu instid0(SALU_CYCLE_1)
	s_mov_b32 s0, exec_lo
                                        ; implicit-def: $vgpr1
	v_cmpx_eq_u32_e32 0, v0
; %bb.65:
	s_delay_alu instid0(VALU_DEP_2)
	v_add_f32_e32 v1, s28, v2
	s_or_b32 s15, s15, exec_lo
; %bb.66:
	s_or_b32 exec_lo, exec_lo, s0
	s_and_saveexec_b32 s0, s15
	s_cbranch_execz .LBB57_68
.LBB57_67:
	s_add_u32 s0, s18, s20
	v_mov_b32_e32 v0, 0
	s_addc_u32 s1, s19, s21
	s_add_u32 s0, s0, s22
	s_addc_u32 s1, s1, s23
	global_store_b32 v0, v1, s[0:1]
.LBB57_68:
	s_nop 0
	s_sendmsg sendmsg(MSG_DEALLOC_VGPRS)
	s_endpgm
	.section	.rodata,"a",@progbits
	.p2align	6, 0x0
	.amdhsa_kernel _ZN7rocprim17ROCPRIM_400000_NS6detail17trampoline_kernelINS0_14default_configENS1_32segmented_reduce_config_selectorIfEEZNS1_21segmented_reduce_implIS3_PKfPfPKifN6hipcub16HIPCUB_304000_NS6detail27convert_result_type_wrapperIS8_S9_N2at6native12_GLOBAL__N_19CustomSumEEEEE10hipError_tPvRmT0_T1_jT2_SQ_T4_T3_P12ihipStream_tbEUlT_E_NS1_11comp_targetILNS1_3genE9ELNS1_11target_archE1100ELNS1_3gpuE3ELNS1_3repE0EEENS1_30default_config_static_selectorELNS0_4arch9wavefront6targetE0EEEvSP_
		.amdhsa_group_segment_fixed_size 32
		.amdhsa_private_segment_fixed_size 0
		.amdhsa_kernarg_size 48
		.amdhsa_user_sgpr_count 15
		.amdhsa_user_sgpr_dispatch_ptr 0
		.amdhsa_user_sgpr_queue_ptr 0
		.amdhsa_user_sgpr_kernarg_segment_ptr 1
		.amdhsa_user_sgpr_dispatch_id 0
		.amdhsa_user_sgpr_private_segment_size 0
		.amdhsa_wavefront_size32 1
		.amdhsa_uses_dynamic_stack 0
		.amdhsa_enable_private_segment 0
		.amdhsa_system_sgpr_workgroup_id_x 1
		.amdhsa_system_sgpr_workgroup_id_y 0
		.amdhsa_system_sgpr_workgroup_id_z 0
		.amdhsa_system_sgpr_workgroup_info 0
		.amdhsa_system_vgpr_workitem_id 0
		.amdhsa_next_free_vgpr 23
		.amdhsa_next_free_sgpr 30
		.amdhsa_reserve_vcc 1
		.amdhsa_float_round_mode_32 0
		.amdhsa_float_round_mode_16_64 0
		.amdhsa_float_denorm_mode_32 3
		.amdhsa_float_denorm_mode_16_64 3
		.amdhsa_dx10_clamp 1
		.amdhsa_ieee_mode 1
		.amdhsa_fp16_overflow 0
		.amdhsa_workgroup_processor_mode 1
		.amdhsa_memory_ordered 1
		.amdhsa_forward_progress 0
		.amdhsa_shared_vgpr_count 0
		.amdhsa_exception_fp_ieee_invalid_op 0
		.amdhsa_exception_fp_denorm_src 0
		.amdhsa_exception_fp_ieee_div_zero 0
		.amdhsa_exception_fp_ieee_overflow 0
		.amdhsa_exception_fp_ieee_underflow 0
		.amdhsa_exception_fp_ieee_inexact 0
		.amdhsa_exception_int_div_zero 0
	.end_amdhsa_kernel
	.section	.text._ZN7rocprim17ROCPRIM_400000_NS6detail17trampoline_kernelINS0_14default_configENS1_32segmented_reduce_config_selectorIfEEZNS1_21segmented_reduce_implIS3_PKfPfPKifN6hipcub16HIPCUB_304000_NS6detail27convert_result_type_wrapperIS8_S9_N2at6native12_GLOBAL__N_19CustomSumEEEEE10hipError_tPvRmT0_T1_jT2_SQ_T4_T3_P12ihipStream_tbEUlT_E_NS1_11comp_targetILNS1_3genE9ELNS1_11target_archE1100ELNS1_3gpuE3ELNS1_3repE0EEENS1_30default_config_static_selectorELNS0_4arch9wavefront6targetE0EEEvSP_,"axG",@progbits,_ZN7rocprim17ROCPRIM_400000_NS6detail17trampoline_kernelINS0_14default_configENS1_32segmented_reduce_config_selectorIfEEZNS1_21segmented_reduce_implIS3_PKfPfPKifN6hipcub16HIPCUB_304000_NS6detail27convert_result_type_wrapperIS8_S9_N2at6native12_GLOBAL__N_19CustomSumEEEEE10hipError_tPvRmT0_T1_jT2_SQ_T4_T3_P12ihipStream_tbEUlT_E_NS1_11comp_targetILNS1_3genE9ELNS1_11target_archE1100ELNS1_3gpuE3ELNS1_3repE0EEENS1_30default_config_static_selectorELNS0_4arch9wavefront6targetE0EEEvSP_,comdat
.Lfunc_end57:
	.size	_ZN7rocprim17ROCPRIM_400000_NS6detail17trampoline_kernelINS0_14default_configENS1_32segmented_reduce_config_selectorIfEEZNS1_21segmented_reduce_implIS3_PKfPfPKifN6hipcub16HIPCUB_304000_NS6detail27convert_result_type_wrapperIS8_S9_N2at6native12_GLOBAL__N_19CustomSumEEEEE10hipError_tPvRmT0_T1_jT2_SQ_T4_T3_P12ihipStream_tbEUlT_E_NS1_11comp_targetILNS1_3genE9ELNS1_11target_archE1100ELNS1_3gpuE3ELNS1_3repE0EEENS1_30default_config_static_selectorELNS0_4arch9wavefront6targetE0EEEvSP_, .Lfunc_end57-_ZN7rocprim17ROCPRIM_400000_NS6detail17trampoline_kernelINS0_14default_configENS1_32segmented_reduce_config_selectorIfEEZNS1_21segmented_reduce_implIS3_PKfPfPKifN6hipcub16HIPCUB_304000_NS6detail27convert_result_type_wrapperIS8_S9_N2at6native12_GLOBAL__N_19CustomSumEEEEE10hipError_tPvRmT0_T1_jT2_SQ_T4_T3_P12ihipStream_tbEUlT_E_NS1_11comp_targetILNS1_3genE9ELNS1_11target_archE1100ELNS1_3gpuE3ELNS1_3repE0EEENS1_30default_config_static_selectorELNS0_4arch9wavefront6targetE0EEEvSP_
                                        ; -- End function
	.section	.AMDGPU.csdata,"",@progbits
; Kernel info:
; codeLenInByte = 3552
; NumSgprs: 32
; NumVgprs: 23
; ScratchSize: 0
; MemoryBound: 0
; FloatMode: 240
; IeeeMode: 1
; LDSByteSize: 32 bytes/workgroup (compile time only)
; SGPRBlocks: 3
; VGPRBlocks: 2
; NumSGPRsForWavesPerEU: 32
; NumVGPRsForWavesPerEU: 23
; Occupancy: 16
; WaveLimiterHint : 1
; COMPUTE_PGM_RSRC2:SCRATCH_EN: 0
; COMPUTE_PGM_RSRC2:USER_SGPR: 15
; COMPUTE_PGM_RSRC2:TRAP_HANDLER: 0
; COMPUTE_PGM_RSRC2:TGID_X_EN: 1
; COMPUTE_PGM_RSRC2:TGID_Y_EN: 0
; COMPUTE_PGM_RSRC2:TGID_Z_EN: 0
; COMPUTE_PGM_RSRC2:TIDIG_COMP_CNT: 0
	.section	.text._ZN7rocprim17ROCPRIM_400000_NS6detail17trampoline_kernelINS0_14default_configENS1_32segmented_reduce_config_selectorIfEEZNS1_21segmented_reduce_implIS3_PKfPfPKifN6hipcub16HIPCUB_304000_NS6detail27convert_result_type_wrapperIS8_S9_N2at6native12_GLOBAL__N_19CustomSumEEEEE10hipError_tPvRmT0_T1_jT2_SQ_T4_T3_P12ihipStream_tbEUlT_E_NS1_11comp_targetILNS1_3genE8ELNS1_11target_archE1030ELNS1_3gpuE2ELNS1_3repE0EEENS1_30default_config_static_selectorELNS0_4arch9wavefront6targetE0EEEvSP_,"axG",@progbits,_ZN7rocprim17ROCPRIM_400000_NS6detail17trampoline_kernelINS0_14default_configENS1_32segmented_reduce_config_selectorIfEEZNS1_21segmented_reduce_implIS3_PKfPfPKifN6hipcub16HIPCUB_304000_NS6detail27convert_result_type_wrapperIS8_S9_N2at6native12_GLOBAL__N_19CustomSumEEEEE10hipError_tPvRmT0_T1_jT2_SQ_T4_T3_P12ihipStream_tbEUlT_E_NS1_11comp_targetILNS1_3genE8ELNS1_11target_archE1030ELNS1_3gpuE2ELNS1_3repE0EEENS1_30default_config_static_selectorELNS0_4arch9wavefront6targetE0EEEvSP_,comdat
	.globl	_ZN7rocprim17ROCPRIM_400000_NS6detail17trampoline_kernelINS0_14default_configENS1_32segmented_reduce_config_selectorIfEEZNS1_21segmented_reduce_implIS3_PKfPfPKifN6hipcub16HIPCUB_304000_NS6detail27convert_result_type_wrapperIS8_S9_N2at6native12_GLOBAL__N_19CustomSumEEEEE10hipError_tPvRmT0_T1_jT2_SQ_T4_T3_P12ihipStream_tbEUlT_E_NS1_11comp_targetILNS1_3genE8ELNS1_11target_archE1030ELNS1_3gpuE2ELNS1_3repE0EEENS1_30default_config_static_selectorELNS0_4arch9wavefront6targetE0EEEvSP_ ; -- Begin function _ZN7rocprim17ROCPRIM_400000_NS6detail17trampoline_kernelINS0_14default_configENS1_32segmented_reduce_config_selectorIfEEZNS1_21segmented_reduce_implIS3_PKfPfPKifN6hipcub16HIPCUB_304000_NS6detail27convert_result_type_wrapperIS8_S9_N2at6native12_GLOBAL__N_19CustomSumEEEEE10hipError_tPvRmT0_T1_jT2_SQ_T4_T3_P12ihipStream_tbEUlT_E_NS1_11comp_targetILNS1_3genE8ELNS1_11target_archE1030ELNS1_3gpuE2ELNS1_3repE0EEENS1_30default_config_static_selectorELNS0_4arch9wavefront6targetE0EEEvSP_
	.p2align	8
	.type	_ZN7rocprim17ROCPRIM_400000_NS6detail17trampoline_kernelINS0_14default_configENS1_32segmented_reduce_config_selectorIfEEZNS1_21segmented_reduce_implIS3_PKfPfPKifN6hipcub16HIPCUB_304000_NS6detail27convert_result_type_wrapperIS8_S9_N2at6native12_GLOBAL__N_19CustomSumEEEEE10hipError_tPvRmT0_T1_jT2_SQ_T4_T3_P12ihipStream_tbEUlT_E_NS1_11comp_targetILNS1_3genE8ELNS1_11target_archE1030ELNS1_3gpuE2ELNS1_3repE0EEENS1_30default_config_static_selectorELNS0_4arch9wavefront6targetE0EEEvSP_,@function
_ZN7rocprim17ROCPRIM_400000_NS6detail17trampoline_kernelINS0_14default_configENS1_32segmented_reduce_config_selectorIfEEZNS1_21segmented_reduce_implIS3_PKfPfPKifN6hipcub16HIPCUB_304000_NS6detail27convert_result_type_wrapperIS8_S9_N2at6native12_GLOBAL__N_19CustomSumEEEEE10hipError_tPvRmT0_T1_jT2_SQ_T4_T3_P12ihipStream_tbEUlT_E_NS1_11comp_targetILNS1_3genE8ELNS1_11target_archE1030ELNS1_3gpuE2ELNS1_3repE0EEENS1_30default_config_static_selectorELNS0_4arch9wavefront6targetE0EEEvSP_: ; @_ZN7rocprim17ROCPRIM_400000_NS6detail17trampoline_kernelINS0_14default_configENS1_32segmented_reduce_config_selectorIfEEZNS1_21segmented_reduce_implIS3_PKfPfPKifN6hipcub16HIPCUB_304000_NS6detail27convert_result_type_wrapperIS8_S9_N2at6native12_GLOBAL__N_19CustomSumEEEEE10hipError_tPvRmT0_T1_jT2_SQ_T4_T3_P12ihipStream_tbEUlT_E_NS1_11comp_targetILNS1_3genE8ELNS1_11target_archE1030ELNS1_3gpuE2ELNS1_3repE0EEENS1_30default_config_static_selectorELNS0_4arch9wavefront6targetE0EEEvSP_
; %bb.0:
	.section	.rodata,"a",@progbits
	.p2align	6, 0x0
	.amdhsa_kernel _ZN7rocprim17ROCPRIM_400000_NS6detail17trampoline_kernelINS0_14default_configENS1_32segmented_reduce_config_selectorIfEEZNS1_21segmented_reduce_implIS3_PKfPfPKifN6hipcub16HIPCUB_304000_NS6detail27convert_result_type_wrapperIS8_S9_N2at6native12_GLOBAL__N_19CustomSumEEEEE10hipError_tPvRmT0_T1_jT2_SQ_T4_T3_P12ihipStream_tbEUlT_E_NS1_11comp_targetILNS1_3genE8ELNS1_11target_archE1030ELNS1_3gpuE2ELNS1_3repE0EEENS1_30default_config_static_selectorELNS0_4arch9wavefront6targetE0EEEvSP_
		.amdhsa_group_segment_fixed_size 0
		.amdhsa_private_segment_fixed_size 0
		.amdhsa_kernarg_size 48
		.amdhsa_user_sgpr_count 15
		.amdhsa_user_sgpr_dispatch_ptr 0
		.amdhsa_user_sgpr_queue_ptr 0
		.amdhsa_user_sgpr_kernarg_segment_ptr 1
		.amdhsa_user_sgpr_dispatch_id 0
		.amdhsa_user_sgpr_private_segment_size 0
		.amdhsa_wavefront_size32 1
		.amdhsa_uses_dynamic_stack 0
		.amdhsa_enable_private_segment 0
		.amdhsa_system_sgpr_workgroup_id_x 1
		.amdhsa_system_sgpr_workgroup_id_y 0
		.amdhsa_system_sgpr_workgroup_id_z 0
		.amdhsa_system_sgpr_workgroup_info 0
		.amdhsa_system_vgpr_workitem_id 0
		.amdhsa_next_free_vgpr 1
		.amdhsa_next_free_sgpr 1
		.amdhsa_reserve_vcc 0
		.amdhsa_float_round_mode_32 0
		.amdhsa_float_round_mode_16_64 0
		.amdhsa_float_denorm_mode_32 3
		.amdhsa_float_denorm_mode_16_64 3
		.amdhsa_dx10_clamp 1
		.amdhsa_ieee_mode 1
		.amdhsa_fp16_overflow 0
		.amdhsa_workgroup_processor_mode 1
		.amdhsa_memory_ordered 1
		.amdhsa_forward_progress 0
		.amdhsa_shared_vgpr_count 0
		.amdhsa_exception_fp_ieee_invalid_op 0
		.amdhsa_exception_fp_denorm_src 0
		.amdhsa_exception_fp_ieee_div_zero 0
		.amdhsa_exception_fp_ieee_overflow 0
		.amdhsa_exception_fp_ieee_underflow 0
		.amdhsa_exception_fp_ieee_inexact 0
		.amdhsa_exception_int_div_zero 0
	.end_amdhsa_kernel
	.section	.text._ZN7rocprim17ROCPRIM_400000_NS6detail17trampoline_kernelINS0_14default_configENS1_32segmented_reduce_config_selectorIfEEZNS1_21segmented_reduce_implIS3_PKfPfPKifN6hipcub16HIPCUB_304000_NS6detail27convert_result_type_wrapperIS8_S9_N2at6native12_GLOBAL__N_19CustomSumEEEEE10hipError_tPvRmT0_T1_jT2_SQ_T4_T3_P12ihipStream_tbEUlT_E_NS1_11comp_targetILNS1_3genE8ELNS1_11target_archE1030ELNS1_3gpuE2ELNS1_3repE0EEENS1_30default_config_static_selectorELNS0_4arch9wavefront6targetE0EEEvSP_,"axG",@progbits,_ZN7rocprim17ROCPRIM_400000_NS6detail17trampoline_kernelINS0_14default_configENS1_32segmented_reduce_config_selectorIfEEZNS1_21segmented_reduce_implIS3_PKfPfPKifN6hipcub16HIPCUB_304000_NS6detail27convert_result_type_wrapperIS8_S9_N2at6native12_GLOBAL__N_19CustomSumEEEEE10hipError_tPvRmT0_T1_jT2_SQ_T4_T3_P12ihipStream_tbEUlT_E_NS1_11comp_targetILNS1_3genE8ELNS1_11target_archE1030ELNS1_3gpuE2ELNS1_3repE0EEENS1_30default_config_static_selectorELNS0_4arch9wavefront6targetE0EEEvSP_,comdat
.Lfunc_end58:
	.size	_ZN7rocprim17ROCPRIM_400000_NS6detail17trampoline_kernelINS0_14default_configENS1_32segmented_reduce_config_selectorIfEEZNS1_21segmented_reduce_implIS3_PKfPfPKifN6hipcub16HIPCUB_304000_NS6detail27convert_result_type_wrapperIS8_S9_N2at6native12_GLOBAL__N_19CustomSumEEEEE10hipError_tPvRmT0_T1_jT2_SQ_T4_T3_P12ihipStream_tbEUlT_E_NS1_11comp_targetILNS1_3genE8ELNS1_11target_archE1030ELNS1_3gpuE2ELNS1_3repE0EEENS1_30default_config_static_selectorELNS0_4arch9wavefront6targetE0EEEvSP_, .Lfunc_end58-_ZN7rocprim17ROCPRIM_400000_NS6detail17trampoline_kernelINS0_14default_configENS1_32segmented_reduce_config_selectorIfEEZNS1_21segmented_reduce_implIS3_PKfPfPKifN6hipcub16HIPCUB_304000_NS6detail27convert_result_type_wrapperIS8_S9_N2at6native12_GLOBAL__N_19CustomSumEEEEE10hipError_tPvRmT0_T1_jT2_SQ_T4_T3_P12ihipStream_tbEUlT_E_NS1_11comp_targetILNS1_3genE8ELNS1_11target_archE1030ELNS1_3gpuE2ELNS1_3repE0EEENS1_30default_config_static_selectorELNS0_4arch9wavefront6targetE0EEEvSP_
                                        ; -- End function
	.section	.AMDGPU.csdata,"",@progbits
; Kernel info:
; codeLenInByte = 0
; NumSgprs: 0
; NumVgprs: 0
; ScratchSize: 0
; MemoryBound: 0
; FloatMode: 240
; IeeeMode: 1
; LDSByteSize: 0 bytes/workgroup (compile time only)
; SGPRBlocks: 0
; VGPRBlocks: 0
; NumSGPRsForWavesPerEU: 1
; NumVGPRsForWavesPerEU: 1
; Occupancy: 16
; WaveLimiterHint : 0
; COMPUTE_PGM_RSRC2:SCRATCH_EN: 0
; COMPUTE_PGM_RSRC2:USER_SGPR: 15
; COMPUTE_PGM_RSRC2:TRAP_HANDLER: 0
; COMPUTE_PGM_RSRC2:TGID_X_EN: 1
; COMPUTE_PGM_RSRC2:TGID_Y_EN: 0
; COMPUTE_PGM_RSRC2:TGID_Z_EN: 0
; COMPUTE_PGM_RSRC2:TIDIG_COMP_CNT: 0
	.section	.text._ZN2at6native12_GLOBAL__N_119post_sum_div_kernelIfiEEvPT_PKT0_lbS3_,"axG",@progbits,_ZN2at6native12_GLOBAL__N_119post_sum_div_kernelIfiEEvPT_PKT0_lbS3_,comdat
	.globl	_ZN2at6native12_GLOBAL__N_119post_sum_div_kernelIfiEEvPT_PKT0_lbS3_ ; -- Begin function _ZN2at6native12_GLOBAL__N_119post_sum_div_kernelIfiEEvPT_PKT0_lbS3_
	.p2align	8
	.type	_ZN2at6native12_GLOBAL__N_119post_sum_div_kernelIfiEEvPT_PKT0_lbS3_,@function
_ZN2at6native12_GLOBAL__N_119post_sum_div_kernelIfiEEvPT_PKT0_lbS3_: ; @_ZN2at6native12_GLOBAL__N_119post_sum_div_kernelIfiEEvPT_PKT0_lbS3_
; %bb.0:
	s_clause 0x1
	s_load_b32 s6, s[0:1], 0x2c
	s_load_b64 s[2:3], s[0:1], 0x10
	v_mov_b32_e32 v1, 0
	s_add_u32 s4, s0, 32
	s_addc_u32 s5, s1, 0
	s_waitcnt lgkmcnt(0)
	s_and_b32 s8, s6, 0xffff
	s_mov_b32 s6, exec_lo
	v_mad_u64_u32 v[2:3], null, s8, s15, v[0:1]
	s_delay_alu instid0(VALU_DEP_1)
	v_cmpx_gt_i64_e64 s[2:3], v[2:3]
	s_cbranch_execz .LBB59_12
; %bb.1:
	s_load_b64 s[10:11], s[0:1], 0x18
	s_load_b32 s9, s[4:5], 0x0
	s_load_b128 s[4:7], s[0:1], 0x0
	v_mov_b32_e32 v0, v1
	s_mov_b32 s1, 0
                                        ; implicit-def: $sgpr12
	s_waitcnt lgkmcnt(0)
	v_dual_mov_b32 v1, v2 :: v_dual_mov_b32 v4, s11
	s_bitcmp1_b32 s10, 0
	s_mul_i32 s8, s9, s8
	s_cselect_b32 vcc_lo, -1, 0
	s_mov_b32 s10, s8
	v_cndmask_b32_e32 v6, 0x7fc00000, v4, vcc_lo
                                        ; implicit-def: $sgpr9
                                        ; implicit-def: $sgpr11
	s_branch .LBB59_4
.LBB59_2:                               ;   in Loop: Header=BB59_4 Depth=1
	s_or_b32 exec_lo, exec_lo, s0
	v_add_co_u32 v2, vcc_lo, v2, s8
	v_add_co_ci_u32_e32 v3, vcc_lo, 0, v3, vcc_lo
	v_add_co_u32 v0, s0, v0, 0
	s_delay_alu instid0(VALU_DEP_1) | instskip(NEXT) | instid1(VALU_DEP_3)
	v_add_co_ci_u32_e64 v1, s0, s10, v1, s0
	v_cmp_le_i64_e32 vcc_lo, s[2:3], v[2:3]
	s_and_not1_b32 s0, s12, exec_lo
	s_and_not1_b32 s11, s11, exec_lo
	s_and_b32 s12, vcc_lo, exec_lo
	s_delay_alu instid0(SALU_CYCLE_1)
	s_or_b32 s12, s0, s12
.LBB59_3:                               ;   in Loop: Header=BB59_4 Depth=1
	s_or_b32 exec_lo, exec_lo, s13
	s_delay_alu instid0(SALU_CYCLE_1) | instskip(NEXT) | instid1(SALU_CYCLE_1)
	s_and_b32 s0, exec_lo, s12
	s_or_b32 s1, s0, s1
	s_and_not1_b32 s0, s9, exec_lo
	s_and_b32 s9, s11, exec_lo
	s_delay_alu instid0(SALU_CYCLE_1)
	s_or_b32 s9, s0, s9
	s_and_not1_b32 exec_lo, exec_lo, s1
	s_cbranch_execz .LBB59_11
.LBB59_4:                               ; =>This Inner Loop Header: Depth=1
	v_ashrrev_i64 v[4:5], 30, v[0:1]
	s_or_b32 s11, s11, exec_lo
	s_or_b32 s12, s12, exec_lo
	s_mov_b32 s13, exec_lo
	s_delay_alu instid0(VALU_DEP_1) | instskip(NEXT) | instid1(VALU_DEP_2)
	v_add_co_u32 v4, vcc_lo, s6, v4
	v_add_co_ci_u32_e32 v5, vcc_lo, s7, v5, vcc_lo
	global_load_b32 v7, v[4:5], off
	s_waitcnt vmcnt(0)
	v_cmpx_lt_i32_e32 -1, v7
	s_cbranch_execz .LBB59_3
; %bb.5:                                ;   in Loop: Header=BB59_4 Depth=1
	v_ashrrev_i32_e32 v5, 31, v1
	v_mov_b32_e32 v4, v1
	v_mov_b32_e32 v8, v6
	s_mov_b32 s14, -1
	s_delay_alu instid0(VALU_DEP_2) | instskip(NEXT) | instid1(VALU_DEP_1)
	v_lshlrev_b64 v[4:5], 2, v[4:5]
	v_add_co_u32 v4, s0, s4, v4
	s_delay_alu instid0(VALU_DEP_1)
	v_add_co_ci_u32_e64 v5, s0, s5, v5, s0
	s_mov_b32 s0, exec_lo
	v_cmpx_ne_u32_e32 0, v7
	s_cbranch_execz .LBB59_9
; %bb.6:                                ;   in Loop: Header=BB59_4 Depth=1
	global_load_b32 v9, v[4:5], off
	s_mov_b32 s14, 0
	s_mov_b32 s15, exec_lo
                                        ; implicit-def: $vgpr8
	s_waitcnt vmcnt(0)
	v_cmpx_o_f32_e32 v9, v9
	s_cbranch_execz .LBB59_8
; %bb.7:                                ;   in Loop: Header=BB59_4 Depth=1
	v_cvt_f32_u32_e32 v7, v7
	s_mov_b32 s14, exec_lo
	s_delay_alu instid0(VALU_DEP_1) | instskip(NEXT) | instid1(VALU_DEP_1)
	v_div_scale_f32 v8, null, v7, v7, v9
	v_rcp_f32_e32 v10, v8
	s_waitcnt_depctr 0xfff
	v_fma_f32 v11, -v8, v10, 1.0
	s_delay_alu instid0(VALU_DEP_1) | instskip(SKIP_1) | instid1(VALU_DEP_1)
	v_fmac_f32_e32 v10, v11, v10
	v_div_scale_f32 v11, vcc_lo, v9, v7, v9
	v_mul_f32_e32 v12, v11, v10
	s_delay_alu instid0(VALU_DEP_1) | instskip(NEXT) | instid1(VALU_DEP_1)
	v_fma_f32 v13, -v8, v12, v11
	v_fmac_f32_e32 v12, v13, v10
	s_delay_alu instid0(VALU_DEP_1) | instskip(NEXT) | instid1(VALU_DEP_1)
	v_fma_f32 v8, -v8, v12, v11
	v_div_fmas_f32 v8, v8, v10, v12
	s_delay_alu instid0(VALU_DEP_1)
	v_div_fixup_f32 v8, v8, v7, v9
.LBB59_8:                               ;   in Loop: Header=BB59_4 Depth=1
	s_or_b32 exec_lo, exec_lo, s15
	s_delay_alu instid0(SALU_CYCLE_1)
	s_or_not1_b32 s14, s14, exec_lo
.LBB59_9:                               ;   in Loop: Header=BB59_4 Depth=1
	s_or_b32 exec_lo, exec_lo, s0
	s_and_saveexec_b32 s0, s14
	s_cbranch_execz .LBB59_2
; %bb.10:                               ;   in Loop: Header=BB59_4 Depth=1
	global_store_b32 v[4:5], v8, off
	s_branch .LBB59_2
.LBB59_11:
	s_or_b32 exec_lo, exec_lo, s1
	s_and_saveexec_b32 s0, s9
	s_delay_alu instid0(SALU_CYCLE_1)
	s_xor_b32 s0, exec_lo, s0
	s_cbranch_execnz .LBB59_13
.LBB59_12:
	s_nop 0
	s_sendmsg sendmsg(MSG_DEALLOC_VGPRS)
	s_endpgm
.LBB59_13:
	s_cbranch_execnz .LBB59_15
; %bb.14:
	; divergent unreachable
	s_nop 0
	s_sendmsg sendmsg(MSG_DEALLOC_VGPRS)
	s_endpgm
.LBB59_15:
	s_trap 2
	s_sendmsg_rtn_b32 s0, sendmsg(MSG_RTN_GET_DOORBELL)
	s_mov_b32 ttmp2, m0
	s_waitcnt lgkmcnt(0)
	s_and_b32 s0, s0, 0x3ff
	s_delay_alu instid0(SALU_CYCLE_1) | instskip(NEXT) | instid1(SALU_CYCLE_1)
	s_bitset1_b32 s0, 10
	s_mov_b32 m0, s0
	s_sendmsg sendmsg(MSG_INTERRUPT)
	s_mov_b32 m0, ttmp2
.LBB59_16:                              ; =>This Inner Loop Header: Depth=1
	s_sethalt 5
	s_branch .LBB59_16
	.section	.rodata,"a",@progbits
	.p2align	6, 0x0
	.amdhsa_kernel _ZN2at6native12_GLOBAL__N_119post_sum_div_kernelIfiEEvPT_PKT0_lbS3_
		.amdhsa_group_segment_fixed_size 0
		.amdhsa_private_segment_fixed_size 0
		.amdhsa_kernarg_size 288
		.amdhsa_user_sgpr_count 15
		.amdhsa_user_sgpr_dispatch_ptr 0
		.amdhsa_user_sgpr_queue_ptr 0
		.amdhsa_user_sgpr_kernarg_segment_ptr 1
		.amdhsa_user_sgpr_dispatch_id 0
		.amdhsa_user_sgpr_private_segment_size 0
		.amdhsa_wavefront_size32 1
		.amdhsa_uses_dynamic_stack 0
		.amdhsa_enable_private_segment 0
		.amdhsa_system_sgpr_workgroup_id_x 1
		.amdhsa_system_sgpr_workgroup_id_y 0
		.amdhsa_system_sgpr_workgroup_id_z 0
		.amdhsa_system_sgpr_workgroup_info 0
		.amdhsa_system_vgpr_workitem_id 0
		.amdhsa_next_free_vgpr 14
		.amdhsa_next_free_sgpr 16
		.amdhsa_reserve_vcc 1
		.amdhsa_float_round_mode_32 0
		.amdhsa_float_round_mode_16_64 0
		.amdhsa_float_denorm_mode_32 3
		.amdhsa_float_denorm_mode_16_64 3
		.amdhsa_dx10_clamp 1
		.amdhsa_ieee_mode 1
		.amdhsa_fp16_overflow 0
		.amdhsa_workgroup_processor_mode 1
		.amdhsa_memory_ordered 1
		.amdhsa_forward_progress 0
		.amdhsa_shared_vgpr_count 0
		.amdhsa_exception_fp_ieee_invalid_op 0
		.amdhsa_exception_fp_denorm_src 0
		.amdhsa_exception_fp_ieee_div_zero 0
		.amdhsa_exception_fp_ieee_overflow 0
		.amdhsa_exception_fp_ieee_underflow 0
		.amdhsa_exception_fp_ieee_inexact 0
		.amdhsa_exception_int_div_zero 0
	.end_amdhsa_kernel
	.section	.text._ZN2at6native12_GLOBAL__N_119post_sum_div_kernelIfiEEvPT_PKT0_lbS3_,"axG",@progbits,_ZN2at6native12_GLOBAL__N_119post_sum_div_kernelIfiEEvPT_PKT0_lbS3_,comdat
.Lfunc_end59:
	.size	_ZN2at6native12_GLOBAL__N_119post_sum_div_kernelIfiEEvPT_PKT0_lbS3_, .Lfunc_end59-_ZN2at6native12_GLOBAL__N_119post_sum_div_kernelIfiEEvPT_PKT0_lbS3_
                                        ; -- End function
	.section	.AMDGPU.csdata,"",@progbits
; Kernel info:
; codeLenInByte = 628
; NumSgprs: 18
; NumVgprs: 14
; ScratchSize: 0
; MemoryBound: 0
; FloatMode: 240
; IeeeMode: 1
; LDSByteSize: 0 bytes/workgroup (compile time only)
; SGPRBlocks: 2
; VGPRBlocks: 1
; NumSGPRsForWavesPerEU: 18
; NumVGPRsForWavesPerEU: 14
; Occupancy: 16
; WaveLimiterHint : 0
; COMPUTE_PGM_RSRC2:SCRATCH_EN: 0
; COMPUTE_PGM_RSRC2:USER_SGPR: 15
; COMPUTE_PGM_RSRC2:TRAP_HANDLER: 0
; COMPUTE_PGM_RSRC2:TGID_X_EN: 1
; COMPUTE_PGM_RSRC2:TGID_Y_EN: 0
; COMPUTE_PGM_RSRC2:TGID_Z_EN: 0
; COMPUTE_PGM_RSRC2:TIDIG_COMP_CNT: 0
	.section	.text._ZN7rocprim17ROCPRIM_400000_NS6detail17trampoline_kernelINS0_14default_configENS1_32segmented_reduce_config_selectorIfEEZNS1_21segmented_reduce_implIS3_PKfPfPKifN6hipcub16HIPCUB_304000_NS6detail27convert_result_type_wrapperIS8_S9_N2at6native12_GLOBAL__N_19CustomMinEEEEE10hipError_tPvRmT0_T1_jT2_SQ_T4_T3_P12ihipStream_tbEUlT_E_NS1_11comp_targetILNS1_3genE0ELNS1_11target_archE4294967295ELNS1_3gpuE0ELNS1_3repE0EEENS1_30default_config_static_selectorELNS0_4arch9wavefront6targetE0EEEvSP_,"axG",@progbits,_ZN7rocprim17ROCPRIM_400000_NS6detail17trampoline_kernelINS0_14default_configENS1_32segmented_reduce_config_selectorIfEEZNS1_21segmented_reduce_implIS3_PKfPfPKifN6hipcub16HIPCUB_304000_NS6detail27convert_result_type_wrapperIS8_S9_N2at6native12_GLOBAL__N_19CustomMinEEEEE10hipError_tPvRmT0_T1_jT2_SQ_T4_T3_P12ihipStream_tbEUlT_E_NS1_11comp_targetILNS1_3genE0ELNS1_11target_archE4294967295ELNS1_3gpuE0ELNS1_3repE0EEENS1_30default_config_static_selectorELNS0_4arch9wavefront6targetE0EEEvSP_,comdat
	.globl	_ZN7rocprim17ROCPRIM_400000_NS6detail17trampoline_kernelINS0_14default_configENS1_32segmented_reduce_config_selectorIfEEZNS1_21segmented_reduce_implIS3_PKfPfPKifN6hipcub16HIPCUB_304000_NS6detail27convert_result_type_wrapperIS8_S9_N2at6native12_GLOBAL__N_19CustomMinEEEEE10hipError_tPvRmT0_T1_jT2_SQ_T4_T3_P12ihipStream_tbEUlT_E_NS1_11comp_targetILNS1_3genE0ELNS1_11target_archE4294967295ELNS1_3gpuE0ELNS1_3repE0EEENS1_30default_config_static_selectorELNS0_4arch9wavefront6targetE0EEEvSP_ ; -- Begin function _ZN7rocprim17ROCPRIM_400000_NS6detail17trampoline_kernelINS0_14default_configENS1_32segmented_reduce_config_selectorIfEEZNS1_21segmented_reduce_implIS3_PKfPfPKifN6hipcub16HIPCUB_304000_NS6detail27convert_result_type_wrapperIS8_S9_N2at6native12_GLOBAL__N_19CustomMinEEEEE10hipError_tPvRmT0_T1_jT2_SQ_T4_T3_P12ihipStream_tbEUlT_E_NS1_11comp_targetILNS1_3genE0ELNS1_11target_archE4294967295ELNS1_3gpuE0ELNS1_3repE0EEENS1_30default_config_static_selectorELNS0_4arch9wavefront6targetE0EEEvSP_
	.p2align	8
	.type	_ZN7rocprim17ROCPRIM_400000_NS6detail17trampoline_kernelINS0_14default_configENS1_32segmented_reduce_config_selectorIfEEZNS1_21segmented_reduce_implIS3_PKfPfPKifN6hipcub16HIPCUB_304000_NS6detail27convert_result_type_wrapperIS8_S9_N2at6native12_GLOBAL__N_19CustomMinEEEEE10hipError_tPvRmT0_T1_jT2_SQ_T4_T3_P12ihipStream_tbEUlT_E_NS1_11comp_targetILNS1_3genE0ELNS1_11target_archE4294967295ELNS1_3gpuE0ELNS1_3repE0EEENS1_30default_config_static_selectorELNS0_4arch9wavefront6targetE0EEEvSP_,@function
_ZN7rocprim17ROCPRIM_400000_NS6detail17trampoline_kernelINS0_14default_configENS1_32segmented_reduce_config_selectorIfEEZNS1_21segmented_reduce_implIS3_PKfPfPKifN6hipcub16HIPCUB_304000_NS6detail27convert_result_type_wrapperIS8_S9_N2at6native12_GLOBAL__N_19CustomMinEEEEE10hipError_tPvRmT0_T1_jT2_SQ_T4_T3_P12ihipStream_tbEUlT_E_NS1_11comp_targetILNS1_3genE0ELNS1_11target_archE4294967295ELNS1_3gpuE0ELNS1_3repE0EEENS1_30default_config_static_selectorELNS0_4arch9wavefront6targetE0EEEvSP_: ; @_ZN7rocprim17ROCPRIM_400000_NS6detail17trampoline_kernelINS0_14default_configENS1_32segmented_reduce_config_selectorIfEEZNS1_21segmented_reduce_implIS3_PKfPfPKifN6hipcub16HIPCUB_304000_NS6detail27convert_result_type_wrapperIS8_S9_N2at6native12_GLOBAL__N_19CustomMinEEEEE10hipError_tPvRmT0_T1_jT2_SQ_T4_T3_P12ihipStream_tbEUlT_E_NS1_11comp_targetILNS1_3genE0ELNS1_11target_archE4294967295ELNS1_3gpuE0ELNS1_3repE0EEENS1_30default_config_static_selectorELNS0_4arch9wavefront6targetE0EEEvSP_
; %bb.0:
	.section	.rodata,"a",@progbits
	.p2align	6, 0x0
	.amdhsa_kernel _ZN7rocprim17ROCPRIM_400000_NS6detail17trampoline_kernelINS0_14default_configENS1_32segmented_reduce_config_selectorIfEEZNS1_21segmented_reduce_implIS3_PKfPfPKifN6hipcub16HIPCUB_304000_NS6detail27convert_result_type_wrapperIS8_S9_N2at6native12_GLOBAL__N_19CustomMinEEEEE10hipError_tPvRmT0_T1_jT2_SQ_T4_T3_P12ihipStream_tbEUlT_E_NS1_11comp_targetILNS1_3genE0ELNS1_11target_archE4294967295ELNS1_3gpuE0ELNS1_3repE0EEENS1_30default_config_static_selectorELNS0_4arch9wavefront6targetE0EEEvSP_
		.amdhsa_group_segment_fixed_size 0
		.amdhsa_private_segment_fixed_size 0
		.amdhsa_kernarg_size 48
		.amdhsa_user_sgpr_count 15
		.amdhsa_user_sgpr_dispatch_ptr 0
		.amdhsa_user_sgpr_queue_ptr 0
		.amdhsa_user_sgpr_kernarg_segment_ptr 1
		.amdhsa_user_sgpr_dispatch_id 0
		.amdhsa_user_sgpr_private_segment_size 0
		.amdhsa_wavefront_size32 1
		.amdhsa_uses_dynamic_stack 0
		.amdhsa_enable_private_segment 0
		.amdhsa_system_sgpr_workgroup_id_x 1
		.amdhsa_system_sgpr_workgroup_id_y 0
		.amdhsa_system_sgpr_workgroup_id_z 0
		.amdhsa_system_sgpr_workgroup_info 0
		.amdhsa_system_vgpr_workitem_id 0
		.amdhsa_next_free_vgpr 1
		.amdhsa_next_free_sgpr 1
		.amdhsa_reserve_vcc 0
		.amdhsa_float_round_mode_32 0
		.amdhsa_float_round_mode_16_64 0
		.amdhsa_float_denorm_mode_32 3
		.amdhsa_float_denorm_mode_16_64 3
		.amdhsa_dx10_clamp 1
		.amdhsa_ieee_mode 1
		.amdhsa_fp16_overflow 0
		.amdhsa_workgroup_processor_mode 1
		.amdhsa_memory_ordered 1
		.amdhsa_forward_progress 0
		.amdhsa_shared_vgpr_count 0
		.amdhsa_exception_fp_ieee_invalid_op 0
		.amdhsa_exception_fp_denorm_src 0
		.amdhsa_exception_fp_ieee_div_zero 0
		.amdhsa_exception_fp_ieee_overflow 0
		.amdhsa_exception_fp_ieee_underflow 0
		.amdhsa_exception_fp_ieee_inexact 0
		.amdhsa_exception_int_div_zero 0
	.end_amdhsa_kernel
	.section	.text._ZN7rocprim17ROCPRIM_400000_NS6detail17trampoline_kernelINS0_14default_configENS1_32segmented_reduce_config_selectorIfEEZNS1_21segmented_reduce_implIS3_PKfPfPKifN6hipcub16HIPCUB_304000_NS6detail27convert_result_type_wrapperIS8_S9_N2at6native12_GLOBAL__N_19CustomMinEEEEE10hipError_tPvRmT0_T1_jT2_SQ_T4_T3_P12ihipStream_tbEUlT_E_NS1_11comp_targetILNS1_3genE0ELNS1_11target_archE4294967295ELNS1_3gpuE0ELNS1_3repE0EEENS1_30default_config_static_selectorELNS0_4arch9wavefront6targetE0EEEvSP_,"axG",@progbits,_ZN7rocprim17ROCPRIM_400000_NS6detail17trampoline_kernelINS0_14default_configENS1_32segmented_reduce_config_selectorIfEEZNS1_21segmented_reduce_implIS3_PKfPfPKifN6hipcub16HIPCUB_304000_NS6detail27convert_result_type_wrapperIS8_S9_N2at6native12_GLOBAL__N_19CustomMinEEEEE10hipError_tPvRmT0_T1_jT2_SQ_T4_T3_P12ihipStream_tbEUlT_E_NS1_11comp_targetILNS1_3genE0ELNS1_11target_archE4294967295ELNS1_3gpuE0ELNS1_3repE0EEENS1_30default_config_static_selectorELNS0_4arch9wavefront6targetE0EEEvSP_,comdat
.Lfunc_end60:
	.size	_ZN7rocprim17ROCPRIM_400000_NS6detail17trampoline_kernelINS0_14default_configENS1_32segmented_reduce_config_selectorIfEEZNS1_21segmented_reduce_implIS3_PKfPfPKifN6hipcub16HIPCUB_304000_NS6detail27convert_result_type_wrapperIS8_S9_N2at6native12_GLOBAL__N_19CustomMinEEEEE10hipError_tPvRmT0_T1_jT2_SQ_T4_T3_P12ihipStream_tbEUlT_E_NS1_11comp_targetILNS1_3genE0ELNS1_11target_archE4294967295ELNS1_3gpuE0ELNS1_3repE0EEENS1_30default_config_static_selectorELNS0_4arch9wavefront6targetE0EEEvSP_, .Lfunc_end60-_ZN7rocprim17ROCPRIM_400000_NS6detail17trampoline_kernelINS0_14default_configENS1_32segmented_reduce_config_selectorIfEEZNS1_21segmented_reduce_implIS3_PKfPfPKifN6hipcub16HIPCUB_304000_NS6detail27convert_result_type_wrapperIS8_S9_N2at6native12_GLOBAL__N_19CustomMinEEEEE10hipError_tPvRmT0_T1_jT2_SQ_T4_T3_P12ihipStream_tbEUlT_E_NS1_11comp_targetILNS1_3genE0ELNS1_11target_archE4294967295ELNS1_3gpuE0ELNS1_3repE0EEENS1_30default_config_static_selectorELNS0_4arch9wavefront6targetE0EEEvSP_
                                        ; -- End function
	.section	.AMDGPU.csdata,"",@progbits
; Kernel info:
; codeLenInByte = 0
; NumSgprs: 0
; NumVgprs: 0
; ScratchSize: 0
; MemoryBound: 0
; FloatMode: 240
; IeeeMode: 1
; LDSByteSize: 0 bytes/workgroup (compile time only)
; SGPRBlocks: 0
; VGPRBlocks: 0
; NumSGPRsForWavesPerEU: 1
; NumVGPRsForWavesPerEU: 1
; Occupancy: 16
; WaveLimiterHint : 0
; COMPUTE_PGM_RSRC2:SCRATCH_EN: 0
; COMPUTE_PGM_RSRC2:USER_SGPR: 15
; COMPUTE_PGM_RSRC2:TRAP_HANDLER: 0
; COMPUTE_PGM_RSRC2:TGID_X_EN: 1
; COMPUTE_PGM_RSRC2:TGID_Y_EN: 0
; COMPUTE_PGM_RSRC2:TGID_Z_EN: 0
; COMPUTE_PGM_RSRC2:TIDIG_COMP_CNT: 0
	.section	.text._ZN7rocprim17ROCPRIM_400000_NS6detail17trampoline_kernelINS0_14default_configENS1_32segmented_reduce_config_selectorIfEEZNS1_21segmented_reduce_implIS3_PKfPfPKifN6hipcub16HIPCUB_304000_NS6detail27convert_result_type_wrapperIS8_S9_N2at6native12_GLOBAL__N_19CustomMinEEEEE10hipError_tPvRmT0_T1_jT2_SQ_T4_T3_P12ihipStream_tbEUlT_E_NS1_11comp_targetILNS1_3genE5ELNS1_11target_archE942ELNS1_3gpuE9ELNS1_3repE0EEENS1_30default_config_static_selectorELNS0_4arch9wavefront6targetE0EEEvSP_,"axG",@progbits,_ZN7rocprim17ROCPRIM_400000_NS6detail17trampoline_kernelINS0_14default_configENS1_32segmented_reduce_config_selectorIfEEZNS1_21segmented_reduce_implIS3_PKfPfPKifN6hipcub16HIPCUB_304000_NS6detail27convert_result_type_wrapperIS8_S9_N2at6native12_GLOBAL__N_19CustomMinEEEEE10hipError_tPvRmT0_T1_jT2_SQ_T4_T3_P12ihipStream_tbEUlT_E_NS1_11comp_targetILNS1_3genE5ELNS1_11target_archE942ELNS1_3gpuE9ELNS1_3repE0EEENS1_30default_config_static_selectorELNS0_4arch9wavefront6targetE0EEEvSP_,comdat
	.globl	_ZN7rocprim17ROCPRIM_400000_NS6detail17trampoline_kernelINS0_14default_configENS1_32segmented_reduce_config_selectorIfEEZNS1_21segmented_reduce_implIS3_PKfPfPKifN6hipcub16HIPCUB_304000_NS6detail27convert_result_type_wrapperIS8_S9_N2at6native12_GLOBAL__N_19CustomMinEEEEE10hipError_tPvRmT0_T1_jT2_SQ_T4_T3_P12ihipStream_tbEUlT_E_NS1_11comp_targetILNS1_3genE5ELNS1_11target_archE942ELNS1_3gpuE9ELNS1_3repE0EEENS1_30default_config_static_selectorELNS0_4arch9wavefront6targetE0EEEvSP_ ; -- Begin function _ZN7rocprim17ROCPRIM_400000_NS6detail17trampoline_kernelINS0_14default_configENS1_32segmented_reduce_config_selectorIfEEZNS1_21segmented_reduce_implIS3_PKfPfPKifN6hipcub16HIPCUB_304000_NS6detail27convert_result_type_wrapperIS8_S9_N2at6native12_GLOBAL__N_19CustomMinEEEEE10hipError_tPvRmT0_T1_jT2_SQ_T4_T3_P12ihipStream_tbEUlT_E_NS1_11comp_targetILNS1_3genE5ELNS1_11target_archE942ELNS1_3gpuE9ELNS1_3repE0EEENS1_30default_config_static_selectorELNS0_4arch9wavefront6targetE0EEEvSP_
	.p2align	8
	.type	_ZN7rocprim17ROCPRIM_400000_NS6detail17trampoline_kernelINS0_14default_configENS1_32segmented_reduce_config_selectorIfEEZNS1_21segmented_reduce_implIS3_PKfPfPKifN6hipcub16HIPCUB_304000_NS6detail27convert_result_type_wrapperIS8_S9_N2at6native12_GLOBAL__N_19CustomMinEEEEE10hipError_tPvRmT0_T1_jT2_SQ_T4_T3_P12ihipStream_tbEUlT_E_NS1_11comp_targetILNS1_3genE5ELNS1_11target_archE942ELNS1_3gpuE9ELNS1_3repE0EEENS1_30default_config_static_selectorELNS0_4arch9wavefront6targetE0EEEvSP_,@function
_ZN7rocprim17ROCPRIM_400000_NS6detail17trampoline_kernelINS0_14default_configENS1_32segmented_reduce_config_selectorIfEEZNS1_21segmented_reduce_implIS3_PKfPfPKifN6hipcub16HIPCUB_304000_NS6detail27convert_result_type_wrapperIS8_S9_N2at6native12_GLOBAL__N_19CustomMinEEEEE10hipError_tPvRmT0_T1_jT2_SQ_T4_T3_P12ihipStream_tbEUlT_E_NS1_11comp_targetILNS1_3genE5ELNS1_11target_archE942ELNS1_3gpuE9ELNS1_3repE0EEENS1_30default_config_static_selectorELNS0_4arch9wavefront6targetE0EEEvSP_: ; @_ZN7rocprim17ROCPRIM_400000_NS6detail17trampoline_kernelINS0_14default_configENS1_32segmented_reduce_config_selectorIfEEZNS1_21segmented_reduce_implIS3_PKfPfPKifN6hipcub16HIPCUB_304000_NS6detail27convert_result_type_wrapperIS8_S9_N2at6native12_GLOBAL__N_19CustomMinEEEEE10hipError_tPvRmT0_T1_jT2_SQ_T4_T3_P12ihipStream_tbEUlT_E_NS1_11comp_targetILNS1_3genE5ELNS1_11target_archE942ELNS1_3gpuE9ELNS1_3repE0EEENS1_30default_config_static_selectorELNS0_4arch9wavefront6targetE0EEEvSP_
; %bb.0:
	.section	.rodata,"a",@progbits
	.p2align	6, 0x0
	.amdhsa_kernel _ZN7rocprim17ROCPRIM_400000_NS6detail17trampoline_kernelINS0_14default_configENS1_32segmented_reduce_config_selectorIfEEZNS1_21segmented_reduce_implIS3_PKfPfPKifN6hipcub16HIPCUB_304000_NS6detail27convert_result_type_wrapperIS8_S9_N2at6native12_GLOBAL__N_19CustomMinEEEEE10hipError_tPvRmT0_T1_jT2_SQ_T4_T3_P12ihipStream_tbEUlT_E_NS1_11comp_targetILNS1_3genE5ELNS1_11target_archE942ELNS1_3gpuE9ELNS1_3repE0EEENS1_30default_config_static_selectorELNS0_4arch9wavefront6targetE0EEEvSP_
		.amdhsa_group_segment_fixed_size 0
		.amdhsa_private_segment_fixed_size 0
		.amdhsa_kernarg_size 48
		.amdhsa_user_sgpr_count 15
		.amdhsa_user_sgpr_dispatch_ptr 0
		.amdhsa_user_sgpr_queue_ptr 0
		.amdhsa_user_sgpr_kernarg_segment_ptr 1
		.amdhsa_user_sgpr_dispatch_id 0
		.amdhsa_user_sgpr_private_segment_size 0
		.amdhsa_wavefront_size32 1
		.amdhsa_uses_dynamic_stack 0
		.amdhsa_enable_private_segment 0
		.amdhsa_system_sgpr_workgroup_id_x 1
		.amdhsa_system_sgpr_workgroup_id_y 0
		.amdhsa_system_sgpr_workgroup_id_z 0
		.amdhsa_system_sgpr_workgroup_info 0
		.amdhsa_system_vgpr_workitem_id 0
		.amdhsa_next_free_vgpr 1
		.amdhsa_next_free_sgpr 1
		.amdhsa_reserve_vcc 0
		.amdhsa_float_round_mode_32 0
		.amdhsa_float_round_mode_16_64 0
		.amdhsa_float_denorm_mode_32 3
		.amdhsa_float_denorm_mode_16_64 3
		.amdhsa_dx10_clamp 1
		.amdhsa_ieee_mode 1
		.amdhsa_fp16_overflow 0
		.amdhsa_workgroup_processor_mode 1
		.amdhsa_memory_ordered 1
		.amdhsa_forward_progress 0
		.amdhsa_shared_vgpr_count 0
		.amdhsa_exception_fp_ieee_invalid_op 0
		.amdhsa_exception_fp_denorm_src 0
		.amdhsa_exception_fp_ieee_div_zero 0
		.amdhsa_exception_fp_ieee_overflow 0
		.amdhsa_exception_fp_ieee_underflow 0
		.amdhsa_exception_fp_ieee_inexact 0
		.amdhsa_exception_int_div_zero 0
	.end_amdhsa_kernel
	.section	.text._ZN7rocprim17ROCPRIM_400000_NS6detail17trampoline_kernelINS0_14default_configENS1_32segmented_reduce_config_selectorIfEEZNS1_21segmented_reduce_implIS3_PKfPfPKifN6hipcub16HIPCUB_304000_NS6detail27convert_result_type_wrapperIS8_S9_N2at6native12_GLOBAL__N_19CustomMinEEEEE10hipError_tPvRmT0_T1_jT2_SQ_T4_T3_P12ihipStream_tbEUlT_E_NS1_11comp_targetILNS1_3genE5ELNS1_11target_archE942ELNS1_3gpuE9ELNS1_3repE0EEENS1_30default_config_static_selectorELNS0_4arch9wavefront6targetE0EEEvSP_,"axG",@progbits,_ZN7rocprim17ROCPRIM_400000_NS6detail17trampoline_kernelINS0_14default_configENS1_32segmented_reduce_config_selectorIfEEZNS1_21segmented_reduce_implIS3_PKfPfPKifN6hipcub16HIPCUB_304000_NS6detail27convert_result_type_wrapperIS8_S9_N2at6native12_GLOBAL__N_19CustomMinEEEEE10hipError_tPvRmT0_T1_jT2_SQ_T4_T3_P12ihipStream_tbEUlT_E_NS1_11comp_targetILNS1_3genE5ELNS1_11target_archE942ELNS1_3gpuE9ELNS1_3repE0EEENS1_30default_config_static_selectorELNS0_4arch9wavefront6targetE0EEEvSP_,comdat
.Lfunc_end61:
	.size	_ZN7rocprim17ROCPRIM_400000_NS6detail17trampoline_kernelINS0_14default_configENS1_32segmented_reduce_config_selectorIfEEZNS1_21segmented_reduce_implIS3_PKfPfPKifN6hipcub16HIPCUB_304000_NS6detail27convert_result_type_wrapperIS8_S9_N2at6native12_GLOBAL__N_19CustomMinEEEEE10hipError_tPvRmT0_T1_jT2_SQ_T4_T3_P12ihipStream_tbEUlT_E_NS1_11comp_targetILNS1_3genE5ELNS1_11target_archE942ELNS1_3gpuE9ELNS1_3repE0EEENS1_30default_config_static_selectorELNS0_4arch9wavefront6targetE0EEEvSP_, .Lfunc_end61-_ZN7rocprim17ROCPRIM_400000_NS6detail17trampoline_kernelINS0_14default_configENS1_32segmented_reduce_config_selectorIfEEZNS1_21segmented_reduce_implIS3_PKfPfPKifN6hipcub16HIPCUB_304000_NS6detail27convert_result_type_wrapperIS8_S9_N2at6native12_GLOBAL__N_19CustomMinEEEEE10hipError_tPvRmT0_T1_jT2_SQ_T4_T3_P12ihipStream_tbEUlT_E_NS1_11comp_targetILNS1_3genE5ELNS1_11target_archE942ELNS1_3gpuE9ELNS1_3repE0EEENS1_30default_config_static_selectorELNS0_4arch9wavefront6targetE0EEEvSP_
                                        ; -- End function
	.section	.AMDGPU.csdata,"",@progbits
; Kernel info:
; codeLenInByte = 0
; NumSgprs: 0
; NumVgprs: 0
; ScratchSize: 0
; MemoryBound: 0
; FloatMode: 240
; IeeeMode: 1
; LDSByteSize: 0 bytes/workgroup (compile time only)
; SGPRBlocks: 0
; VGPRBlocks: 0
; NumSGPRsForWavesPerEU: 1
; NumVGPRsForWavesPerEU: 1
; Occupancy: 16
; WaveLimiterHint : 0
; COMPUTE_PGM_RSRC2:SCRATCH_EN: 0
; COMPUTE_PGM_RSRC2:USER_SGPR: 15
; COMPUTE_PGM_RSRC2:TRAP_HANDLER: 0
; COMPUTE_PGM_RSRC2:TGID_X_EN: 1
; COMPUTE_PGM_RSRC2:TGID_Y_EN: 0
; COMPUTE_PGM_RSRC2:TGID_Z_EN: 0
; COMPUTE_PGM_RSRC2:TIDIG_COMP_CNT: 0
	.section	.text._ZN7rocprim17ROCPRIM_400000_NS6detail17trampoline_kernelINS0_14default_configENS1_32segmented_reduce_config_selectorIfEEZNS1_21segmented_reduce_implIS3_PKfPfPKifN6hipcub16HIPCUB_304000_NS6detail27convert_result_type_wrapperIS8_S9_N2at6native12_GLOBAL__N_19CustomMinEEEEE10hipError_tPvRmT0_T1_jT2_SQ_T4_T3_P12ihipStream_tbEUlT_E_NS1_11comp_targetILNS1_3genE10ELNS1_11target_archE1201ELNS1_3gpuE5ELNS1_3repE0EEENS1_30default_config_static_selectorELNS0_4arch9wavefront6targetE0EEEvSP_,"axG",@progbits,_ZN7rocprim17ROCPRIM_400000_NS6detail17trampoline_kernelINS0_14default_configENS1_32segmented_reduce_config_selectorIfEEZNS1_21segmented_reduce_implIS3_PKfPfPKifN6hipcub16HIPCUB_304000_NS6detail27convert_result_type_wrapperIS8_S9_N2at6native12_GLOBAL__N_19CustomMinEEEEE10hipError_tPvRmT0_T1_jT2_SQ_T4_T3_P12ihipStream_tbEUlT_E_NS1_11comp_targetILNS1_3genE10ELNS1_11target_archE1201ELNS1_3gpuE5ELNS1_3repE0EEENS1_30default_config_static_selectorELNS0_4arch9wavefront6targetE0EEEvSP_,comdat
	.globl	_ZN7rocprim17ROCPRIM_400000_NS6detail17trampoline_kernelINS0_14default_configENS1_32segmented_reduce_config_selectorIfEEZNS1_21segmented_reduce_implIS3_PKfPfPKifN6hipcub16HIPCUB_304000_NS6detail27convert_result_type_wrapperIS8_S9_N2at6native12_GLOBAL__N_19CustomMinEEEEE10hipError_tPvRmT0_T1_jT2_SQ_T4_T3_P12ihipStream_tbEUlT_E_NS1_11comp_targetILNS1_3genE10ELNS1_11target_archE1201ELNS1_3gpuE5ELNS1_3repE0EEENS1_30default_config_static_selectorELNS0_4arch9wavefront6targetE0EEEvSP_ ; -- Begin function _ZN7rocprim17ROCPRIM_400000_NS6detail17trampoline_kernelINS0_14default_configENS1_32segmented_reduce_config_selectorIfEEZNS1_21segmented_reduce_implIS3_PKfPfPKifN6hipcub16HIPCUB_304000_NS6detail27convert_result_type_wrapperIS8_S9_N2at6native12_GLOBAL__N_19CustomMinEEEEE10hipError_tPvRmT0_T1_jT2_SQ_T4_T3_P12ihipStream_tbEUlT_E_NS1_11comp_targetILNS1_3genE10ELNS1_11target_archE1201ELNS1_3gpuE5ELNS1_3repE0EEENS1_30default_config_static_selectorELNS0_4arch9wavefront6targetE0EEEvSP_
	.p2align	8
	.type	_ZN7rocprim17ROCPRIM_400000_NS6detail17trampoline_kernelINS0_14default_configENS1_32segmented_reduce_config_selectorIfEEZNS1_21segmented_reduce_implIS3_PKfPfPKifN6hipcub16HIPCUB_304000_NS6detail27convert_result_type_wrapperIS8_S9_N2at6native12_GLOBAL__N_19CustomMinEEEEE10hipError_tPvRmT0_T1_jT2_SQ_T4_T3_P12ihipStream_tbEUlT_E_NS1_11comp_targetILNS1_3genE10ELNS1_11target_archE1201ELNS1_3gpuE5ELNS1_3repE0EEENS1_30default_config_static_selectorELNS0_4arch9wavefront6targetE0EEEvSP_,@function
_ZN7rocprim17ROCPRIM_400000_NS6detail17trampoline_kernelINS0_14default_configENS1_32segmented_reduce_config_selectorIfEEZNS1_21segmented_reduce_implIS3_PKfPfPKifN6hipcub16HIPCUB_304000_NS6detail27convert_result_type_wrapperIS8_S9_N2at6native12_GLOBAL__N_19CustomMinEEEEE10hipError_tPvRmT0_T1_jT2_SQ_T4_T3_P12ihipStream_tbEUlT_E_NS1_11comp_targetILNS1_3genE10ELNS1_11target_archE1201ELNS1_3gpuE5ELNS1_3repE0EEENS1_30default_config_static_selectorELNS0_4arch9wavefront6targetE0EEEvSP_: ; @_ZN7rocprim17ROCPRIM_400000_NS6detail17trampoline_kernelINS0_14default_configENS1_32segmented_reduce_config_selectorIfEEZNS1_21segmented_reduce_implIS3_PKfPfPKifN6hipcub16HIPCUB_304000_NS6detail27convert_result_type_wrapperIS8_S9_N2at6native12_GLOBAL__N_19CustomMinEEEEE10hipError_tPvRmT0_T1_jT2_SQ_T4_T3_P12ihipStream_tbEUlT_E_NS1_11comp_targetILNS1_3genE10ELNS1_11target_archE1201ELNS1_3gpuE5ELNS1_3repE0EEENS1_30default_config_static_selectorELNS0_4arch9wavefront6targetE0EEEvSP_
; %bb.0:
	.section	.rodata,"a",@progbits
	.p2align	6, 0x0
	.amdhsa_kernel _ZN7rocprim17ROCPRIM_400000_NS6detail17trampoline_kernelINS0_14default_configENS1_32segmented_reduce_config_selectorIfEEZNS1_21segmented_reduce_implIS3_PKfPfPKifN6hipcub16HIPCUB_304000_NS6detail27convert_result_type_wrapperIS8_S9_N2at6native12_GLOBAL__N_19CustomMinEEEEE10hipError_tPvRmT0_T1_jT2_SQ_T4_T3_P12ihipStream_tbEUlT_E_NS1_11comp_targetILNS1_3genE10ELNS1_11target_archE1201ELNS1_3gpuE5ELNS1_3repE0EEENS1_30default_config_static_selectorELNS0_4arch9wavefront6targetE0EEEvSP_
		.amdhsa_group_segment_fixed_size 0
		.amdhsa_private_segment_fixed_size 0
		.amdhsa_kernarg_size 48
		.amdhsa_user_sgpr_count 15
		.amdhsa_user_sgpr_dispatch_ptr 0
		.amdhsa_user_sgpr_queue_ptr 0
		.amdhsa_user_sgpr_kernarg_segment_ptr 1
		.amdhsa_user_sgpr_dispatch_id 0
		.amdhsa_user_sgpr_private_segment_size 0
		.amdhsa_wavefront_size32 1
		.amdhsa_uses_dynamic_stack 0
		.amdhsa_enable_private_segment 0
		.amdhsa_system_sgpr_workgroup_id_x 1
		.amdhsa_system_sgpr_workgroup_id_y 0
		.amdhsa_system_sgpr_workgroup_id_z 0
		.amdhsa_system_sgpr_workgroup_info 0
		.amdhsa_system_vgpr_workitem_id 0
		.amdhsa_next_free_vgpr 1
		.amdhsa_next_free_sgpr 1
		.amdhsa_reserve_vcc 0
		.amdhsa_float_round_mode_32 0
		.amdhsa_float_round_mode_16_64 0
		.amdhsa_float_denorm_mode_32 3
		.amdhsa_float_denorm_mode_16_64 3
		.amdhsa_dx10_clamp 1
		.amdhsa_ieee_mode 1
		.amdhsa_fp16_overflow 0
		.amdhsa_workgroup_processor_mode 1
		.amdhsa_memory_ordered 1
		.amdhsa_forward_progress 0
		.amdhsa_shared_vgpr_count 0
		.amdhsa_exception_fp_ieee_invalid_op 0
		.amdhsa_exception_fp_denorm_src 0
		.amdhsa_exception_fp_ieee_div_zero 0
		.amdhsa_exception_fp_ieee_overflow 0
		.amdhsa_exception_fp_ieee_underflow 0
		.amdhsa_exception_fp_ieee_inexact 0
		.amdhsa_exception_int_div_zero 0
	.end_amdhsa_kernel
	.section	.text._ZN7rocprim17ROCPRIM_400000_NS6detail17trampoline_kernelINS0_14default_configENS1_32segmented_reduce_config_selectorIfEEZNS1_21segmented_reduce_implIS3_PKfPfPKifN6hipcub16HIPCUB_304000_NS6detail27convert_result_type_wrapperIS8_S9_N2at6native12_GLOBAL__N_19CustomMinEEEEE10hipError_tPvRmT0_T1_jT2_SQ_T4_T3_P12ihipStream_tbEUlT_E_NS1_11comp_targetILNS1_3genE10ELNS1_11target_archE1201ELNS1_3gpuE5ELNS1_3repE0EEENS1_30default_config_static_selectorELNS0_4arch9wavefront6targetE0EEEvSP_,"axG",@progbits,_ZN7rocprim17ROCPRIM_400000_NS6detail17trampoline_kernelINS0_14default_configENS1_32segmented_reduce_config_selectorIfEEZNS1_21segmented_reduce_implIS3_PKfPfPKifN6hipcub16HIPCUB_304000_NS6detail27convert_result_type_wrapperIS8_S9_N2at6native12_GLOBAL__N_19CustomMinEEEEE10hipError_tPvRmT0_T1_jT2_SQ_T4_T3_P12ihipStream_tbEUlT_E_NS1_11comp_targetILNS1_3genE10ELNS1_11target_archE1201ELNS1_3gpuE5ELNS1_3repE0EEENS1_30default_config_static_selectorELNS0_4arch9wavefront6targetE0EEEvSP_,comdat
.Lfunc_end62:
	.size	_ZN7rocprim17ROCPRIM_400000_NS6detail17trampoline_kernelINS0_14default_configENS1_32segmented_reduce_config_selectorIfEEZNS1_21segmented_reduce_implIS3_PKfPfPKifN6hipcub16HIPCUB_304000_NS6detail27convert_result_type_wrapperIS8_S9_N2at6native12_GLOBAL__N_19CustomMinEEEEE10hipError_tPvRmT0_T1_jT2_SQ_T4_T3_P12ihipStream_tbEUlT_E_NS1_11comp_targetILNS1_3genE10ELNS1_11target_archE1201ELNS1_3gpuE5ELNS1_3repE0EEENS1_30default_config_static_selectorELNS0_4arch9wavefront6targetE0EEEvSP_, .Lfunc_end62-_ZN7rocprim17ROCPRIM_400000_NS6detail17trampoline_kernelINS0_14default_configENS1_32segmented_reduce_config_selectorIfEEZNS1_21segmented_reduce_implIS3_PKfPfPKifN6hipcub16HIPCUB_304000_NS6detail27convert_result_type_wrapperIS8_S9_N2at6native12_GLOBAL__N_19CustomMinEEEEE10hipError_tPvRmT0_T1_jT2_SQ_T4_T3_P12ihipStream_tbEUlT_E_NS1_11comp_targetILNS1_3genE10ELNS1_11target_archE1201ELNS1_3gpuE5ELNS1_3repE0EEENS1_30default_config_static_selectorELNS0_4arch9wavefront6targetE0EEEvSP_
                                        ; -- End function
	.section	.AMDGPU.csdata,"",@progbits
; Kernel info:
; codeLenInByte = 0
; NumSgprs: 0
; NumVgprs: 0
; ScratchSize: 0
; MemoryBound: 0
; FloatMode: 240
; IeeeMode: 1
; LDSByteSize: 0 bytes/workgroup (compile time only)
; SGPRBlocks: 0
; VGPRBlocks: 0
; NumSGPRsForWavesPerEU: 1
; NumVGPRsForWavesPerEU: 1
; Occupancy: 16
; WaveLimiterHint : 0
; COMPUTE_PGM_RSRC2:SCRATCH_EN: 0
; COMPUTE_PGM_RSRC2:USER_SGPR: 15
; COMPUTE_PGM_RSRC2:TRAP_HANDLER: 0
; COMPUTE_PGM_RSRC2:TGID_X_EN: 1
; COMPUTE_PGM_RSRC2:TGID_Y_EN: 0
; COMPUTE_PGM_RSRC2:TGID_Z_EN: 0
; COMPUTE_PGM_RSRC2:TIDIG_COMP_CNT: 0
	.section	.text._ZN7rocprim17ROCPRIM_400000_NS6detail17trampoline_kernelINS0_14default_configENS1_32segmented_reduce_config_selectorIfEEZNS1_21segmented_reduce_implIS3_PKfPfPKifN6hipcub16HIPCUB_304000_NS6detail27convert_result_type_wrapperIS8_S9_N2at6native12_GLOBAL__N_19CustomMinEEEEE10hipError_tPvRmT0_T1_jT2_SQ_T4_T3_P12ihipStream_tbEUlT_E_NS1_11comp_targetILNS1_3genE4ELNS1_11target_archE910ELNS1_3gpuE8ELNS1_3repE0EEENS1_30default_config_static_selectorELNS0_4arch9wavefront6targetE0EEEvSP_,"axG",@progbits,_ZN7rocprim17ROCPRIM_400000_NS6detail17trampoline_kernelINS0_14default_configENS1_32segmented_reduce_config_selectorIfEEZNS1_21segmented_reduce_implIS3_PKfPfPKifN6hipcub16HIPCUB_304000_NS6detail27convert_result_type_wrapperIS8_S9_N2at6native12_GLOBAL__N_19CustomMinEEEEE10hipError_tPvRmT0_T1_jT2_SQ_T4_T3_P12ihipStream_tbEUlT_E_NS1_11comp_targetILNS1_3genE4ELNS1_11target_archE910ELNS1_3gpuE8ELNS1_3repE0EEENS1_30default_config_static_selectorELNS0_4arch9wavefront6targetE0EEEvSP_,comdat
	.globl	_ZN7rocprim17ROCPRIM_400000_NS6detail17trampoline_kernelINS0_14default_configENS1_32segmented_reduce_config_selectorIfEEZNS1_21segmented_reduce_implIS3_PKfPfPKifN6hipcub16HIPCUB_304000_NS6detail27convert_result_type_wrapperIS8_S9_N2at6native12_GLOBAL__N_19CustomMinEEEEE10hipError_tPvRmT0_T1_jT2_SQ_T4_T3_P12ihipStream_tbEUlT_E_NS1_11comp_targetILNS1_3genE4ELNS1_11target_archE910ELNS1_3gpuE8ELNS1_3repE0EEENS1_30default_config_static_selectorELNS0_4arch9wavefront6targetE0EEEvSP_ ; -- Begin function _ZN7rocprim17ROCPRIM_400000_NS6detail17trampoline_kernelINS0_14default_configENS1_32segmented_reduce_config_selectorIfEEZNS1_21segmented_reduce_implIS3_PKfPfPKifN6hipcub16HIPCUB_304000_NS6detail27convert_result_type_wrapperIS8_S9_N2at6native12_GLOBAL__N_19CustomMinEEEEE10hipError_tPvRmT0_T1_jT2_SQ_T4_T3_P12ihipStream_tbEUlT_E_NS1_11comp_targetILNS1_3genE4ELNS1_11target_archE910ELNS1_3gpuE8ELNS1_3repE0EEENS1_30default_config_static_selectorELNS0_4arch9wavefront6targetE0EEEvSP_
	.p2align	8
	.type	_ZN7rocprim17ROCPRIM_400000_NS6detail17trampoline_kernelINS0_14default_configENS1_32segmented_reduce_config_selectorIfEEZNS1_21segmented_reduce_implIS3_PKfPfPKifN6hipcub16HIPCUB_304000_NS6detail27convert_result_type_wrapperIS8_S9_N2at6native12_GLOBAL__N_19CustomMinEEEEE10hipError_tPvRmT0_T1_jT2_SQ_T4_T3_P12ihipStream_tbEUlT_E_NS1_11comp_targetILNS1_3genE4ELNS1_11target_archE910ELNS1_3gpuE8ELNS1_3repE0EEENS1_30default_config_static_selectorELNS0_4arch9wavefront6targetE0EEEvSP_,@function
_ZN7rocprim17ROCPRIM_400000_NS6detail17trampoline_kernelINS0_14default_configENS1_32segmented_reduce_config_selectorIfEEZNS1_21segmented_reduce_implIS3_PKfPfPKifN6hipcub16HIPCUB_304000_NS6detail27convert_result_type_wrapperIS8_S9_N2at6native12_GLOBAL__N_19CustomMinEEEEE10hipError_tPvRmT0_T1_jT2_SQ_T4_T3_P12ihipStream_tbEUlT_E_NS1_11comp_targetILNS1_3genE4ELNS1_11target_archE910ELNS1_3gpuE8ELNS1_3repE0EEENS1_30default_config_static_selectorELNS0_4arch9wavefront6targetE0EEEvSP_: ; @_ZN7rocprim17ROCPRIM_400000_NS6detail17trampoline_kernelINS0_14default_configENS1_32segmented_reduce_config_selectorIfEEZNS1_21segmented_reduce_implIS3_PKfPfPKifN6hipcub16HIPCUB_304000_NS6detail27convert_result_type_wrapperIS8_S9_N2at6native12_GLOBAL__N_19CustomMinEEEEE10hipError_tPvRmT0_T1_jT2_SQ_T4_T3_P12ihipStream_tbEUlT_E_NS1_11comp_targetILNS1_3genE4ELNS1_11target_archE910ELNS1_3gpuE8ELNS1_3repE0EEENS1_30default_config_static_selectorELNS0_4arch9wavefront6targetE0EEEvSP_
; %bb.0:
	.section	.rodata,"a",@progbits
	.p2align	6, 0x0
	.amdhsa_kernel _ZN7rocprim17ROCPRIM_400000_NS6detail17trampoline_kernelINS0_14default_configENS1_32segmented_reduce_config_selectorIfEEZNS1_21segmented_reduce_implIS3_PKfPfPKifN6hipcub16HIPCUB_304000_NS6detail27convert_result_type_wrapperIS8_S9_N2at6native12_GLOBAL__N_19CustomMinEEEEE10hipError_tPvRmT0_T1_jT2_SQ_T4_T3_P12ihipStream_tbEUlT_E_NS1_11comp_targetILNS1_3genE4ELNS1_11target_archE910ELNS1_3gpuE8ELNS1_3repE0EEENS1_30default_config_static_selectorELNS0_4arch9wavefront6targetE0EEEvSP_
		.amdhsa_group_segment_fixed_size 0
		.amdhsa_private_segment_fixed_size 0
		.amdhsa_kernarg_size 48
		.amdhsa_user_sgpr_count 15
		.amdhsa_user_sgpr_dispatch_ptr 0
		.amdhsa_user_sgpr_queue_ptr 0
		.amdhsa_user_sgpr_kernarg_segment_ptr 1
		.amdhsa_user_sgpr_dispatch_id 0
		.amdhsa_user_sgpr_private_segment_size 0
		.amdhsa_wavefront_size32 1
		.amdhsa_uses_dynamic_stack 0
		.amdhsa_enable_private_segment 0
		.amdhsa_system_sgpr_workgroup_id_x 1
		.amdhsa_system_sgpr_workgroup_id_y 0
		.amdhsa_system_sgpr_workgroup_id_z 0
		.amdhsa_system_sgpr_workgroup_info 0
		.amdhsa_system_vgpr_workitem_id 0
		.amdhsa_next_free_vgpr 1
		.amdhsa_next_free_sgpr 1
		.amdhsa_reserve_vcc 0
		.amdhsa_float_round_mode_32 0
		.amdhsa_float_round_mode_16_64 0
		.amdhsa_float_denorm_mode_32 3
		.amdhsa_float_denorm_mode_16_64 3
		.amdhsa_dx10_clamp 1
		.amdhsa_ieee_mode 1
		.amdhsa_fp16_overflow 0
		.amdhsa_workgroup_processor_mode 1
		.amdhsa_memory_ordered 1
		.amdhsa_forward_progress 0
		.amdhsa_shared_vgpr_count 0
		.amdhsa_exception_fp_ieee_invalid_op 0
		.amdhsa_exception_fp_denorm_src 0
		.amdhsa_exception_fp_ieee_div_zero 0
		.amdhsa_exception_fp_ieee_overflow 0
		.amdhsa_exception_fp_ieee_underflow 0
		.amdhsa_exception_fp_ieee_inexact 0
		.amdhsa_exception_int_div_zero 0
	.end_amdhsa_kernel
	.section	.text._ZN7rocprim17ROCPRIM_400000_NS6detail17trampoline_kernelINS0_14default_configENS1_32segmented_reduce_config_selectorIfEEZNS1_21segmented_reduce_implIS3_PKfPfPKifN6hipcub16HIPCUB_304000_NS6detail27convert_result_type_wrapperIS8_S9_N2at6native12_GLOBAL__N_19CustomMinEEEEE10hipError_tPvRmT0_T1_jT2_SQ_T4_T3_P12ihipStream_tbEUlT_E_NS1_11comp_targetILNS1_3genE4ELNS1_11target_archE910ELNS1_3gpuE8ELNS1_3repE0EEENS1_30default_config_static_selectorELNS0_4arch9wavefront6targetE0EEEvSP_,"axG",@progbits,_ZN7rocprim17ROCPRIM_400000_NS6detail17trampoline_kernelINS0_14default_configENS1_32segmented_reduce_config_selectorIfEEZNS1_21segmented_reduce_implIS3_PKfPfPKifN6hipcub16HIPCUB_304000_NS6detail27convert_result_type_wrapperIS8_S9_N2at6native12_GLOBAL__N_19CustomMinEEEEE10hipError_tPvRmT0_T1_jT2_SQ_T4_T3_P12ihipStream_tbEUlT_E_NS1_11comp_targetILNS1_3genE4ELNS1_11target_archE910ELNS1_3gpuE8ELNS1_3repE0EEENS1_30default_config_static_selectorELNS0_4arch9wavefront6targetE0EEEvSP_,comdat
.Lfunc_end63:
	.size	_ZN7rocprim17ROCPRIM_400000_NS6detail17trampoline_kernelINS0_14default_configENS1_32segmented_reduce_config_selectorIfEEZNS1_21segmented_reduce_implIS3_PKfPfPKifN6hipcub16HIPCUB_304000_NS6detail27convert_result_type_wrapperIS8_S9_N2at6native12_GLOBAL__N_19CustomMinEEEEE10hipError_tPvRmT0_T1_jT2_SQ_T4_T3_P12ihipStream_tbEUlT_E_NS1_11comp_targetILNS1_3genE4ELNS1_11target_archE910ELNS1_3gpuE8ELNS1_3repE0EEENS1_30default_config_static_selectorELNS0_4arch9wavefront6targetE0EEEvSP_, .Lfunc_end63-_ZN7rocprim17ROCPRIM_400000_NS6detail17trampoline_kernelINS0_14default_configENS1_32segmented_reduce_config_selectorIfEEZNS1_21segmented_reduce_implIS3_PKfPfPKifN6hipcub16HIPCUB_304000_NS6detail27convert_result_type_wrapperIS8_S9_N2at6native12_GLOBAL__N_19CustomMinEEEEE10hipError_tPvRmT0_T1_jT2_SQ_T4_T3_P12ihipStream_tbEUlT_E_NS1_11comp_targetILNS1_3genE4ELNS1_11target_archE910ELNS1_3gpuE8ELNS1_3repE0EEENS1_30default_config_static_selectorELNS0_4arch9wavefront6targetE0EEEvSP_
                                        ; -- End function
	.section	.AMDGPU.csdata,"",@progbits
; Kernel info:
; codeLenInByte = 0
; NumSgprs: 0
; NumVgprs: 0
; ScratchSize: 0
; MemoryBound: 0
; FloatMode: 240
; IeeeMode: 1
; LDSByteSize: 0 bytes/workgroup (compile time only)
; SGPRBlocks: 0
; VGPRBlocks: 0
; NumSGPRsForWavesPerEU: 1
; NumVGPRsForWavesPerEU: 1
; Occupancy: 16
; WaveLimiterHint : 0
; COMPUTE_PGM_RSRC2:SCRATCH_EN: 0
; COMPUTE_PGM_RSRC2:USER_SGPR: 15
; COMPUTE_PGM_RSRC2:TRAP_HANDLER: 0
; COMPUTE_PGM_RSRC2:TGID_X_EN: 1
; COMPUTE_PGM_RSRC2:TGID_Y_EN: 0
; COMPUTE_PGM_RSRC2:TGID_Z_EN: 0
; COMPUTE_PGM_RSRC2:TIDIG_COMP_CNT: 0
	.section	.text._ZN7rocprim17ROCPRIM_400000_NS6detail17trampoline_kernelINS0_14default_configENS1_32segmented_reduce_config_selectorIfEEZNS1_21segmented_reduce_implIS3_PKfPfPKifN6hipcub16HIPCUB_304000_NS6detail27convert_result_type_wrapperIS8_S9_N2at6native12_GLOBAL__N_19CustomMinEEEEE10hipError_tPvRmT0_T1_jT2_SQ_T4_T3_P12ihipStream_tbEUlT_E_NS1_11comp_targetILNS1_3genE3ELNS1_11target_archE908ELNS1_3gpuE7ELNS1_3repE0EEENS1_30default_config_static_selectorELNS0_4arch9wavefront6targetE0EEEvSP_,"axG",@progbits,_ZN7rocprim17ROCPRIM_400000_NS6detail17trampoline_kernelINS0_14default_configENS1_32segmented_reduce_config_selectorIfEEZNS1_21segmented_reduce_implIS3_PKfPfPKifN6hipcub16HIPCUB_304000_NS6detail27convert_result_type_wrapperIS8_S9_N2at6native12_GLOBAL__N_19CustomMinEEEEE10hipError_tPvRmT0_T1_jT2_SQ_T4_T3_P12ihipStream_tbEUlT_E_NS1_11comp_targetILNS1_3genE3ELNS1_11target_archE908ELNS1_3gpuE7ELNS1_3repE0EEENS1_30default_config_static_selectorELNS0_4arch9wavefront6targetE0EEEvSP_,comdat
	.globl	_ZN7rocprim17ROCPRIM_400000_NS6detail17trampoline_kernelINS0_14default_configENS1_32segmented_reduce_config_selectorIfEEZNS1_21segmented_reduce_implIS3_PKfPfPKifN6hipcub16HIPCUB_304000_NS6detail27convert_result_type_wrapperIS8_S9_N2at6native12_GLOBAL__N_19CustomMinEEEEE10hipError_tPvRmT0_T1_jT2_SQ_T4_T3_P12ihipStream_tbEUlT_E_NS1_11comp_targetILNS1_3genE3ELNS1_11target_archE908ELNS1_3gpuE7ELNS1_3repE0EEENS1_30default_config_static_selectorELNS0_4arch9wavefront6targetE0EEEvSP_ ; -- Begin function _ZN7rocprim17ROCPRIM_400000_NS6detail17trampoline_kernelINS0_14default_configENS1_32segmented_reduce_config_selectorIfEEZNS1_21segmented_reduce_implIS3_PKfPfPKifN6hipcub16HIPCUB_304000_NS6detail27convert_result_type_wrapperIS8_S9_N2at6native12_GLOBAL__N_19CustomMinEEEEE10hipError_tPvRmT0_T1_jT2_SQ_T4_T3_P12ihipStream_tbEUlT_E_NS1_11comp_targetILNS1_3genE3ELNS1_11target_archE908ELNS1_3gpuE7ELNS1_3repE0EEENS1_30default_config_static_selectorELNS0_4arch9wavefront6targetE0EEEvSP_
	.p2align	8
	.type	_ZN7rocprim17ROCPRIM_400000_NS6detail17trampoline_kernelINS0_14default_configENS1_32segmented_reduce_config_selectorIfEEZNS1_21segmented_reduce_implIS3_PKfPfPKifN6hipcub16HIPCUB_304000_NS6detail27convert_result_type_wrapperIS8_S9_N2at6native12_GLOBAL__N_19CustomMinEEEEE10hipError_tPvRmT0_T1_jT2_SQ_T4_T3_P12ihipStream_tbEUlT_E_NS1_11comp_targetILNS1_3genE3ELNS1_11target_archE908ELNS1_3gpuE7ELNS1_3repE0EEENS1_30default_config_static_selectorELNS0_4arch9wavefront6targetE0EEEvSP_,@function
_ZN7rocprim17ROCPRIM_400000_NS6detail17trampoline_kernelINS0_14default_configENS1_32segmented_reduce_config_selectorIfEEZNS1_21segmented_reduce_implIS3_PKfPfPKifN6hipcub16HIPCUB_304000_NS6detail27convert_result_type_wrapperIS8_S9_N2at6native12_GLOBAL__N_19CustomMinEEEEE10hipError_tPvRmT0_T1_jT2_SQ_T4_T3_P12ihipStream_tbEUlT_E_NS1_11comp_targetILNS1_3genE3ELNS1_11target_archE908ELNS1_3gpuE7ELNS1_3repE0EEENS1_30default_config_static_selectorELNS0_4arch9wavefront6targetE0EEEvSP_: ; @_ZN7rocprim17ROCPRIM_400000_NS6detail17trampoline_kernelINS0_14default_configENS1_32segmented_reduce_config_selectorIfEEZNS1_21segmented_reduce_implIS3_PKfPfPKifN6hipcub16HIPCUB_304000_NS6detail27convert_result_type_wrapperIS8_S9_N2at6native12_GLOBAL__N_19CustomMinEEEEE10hipError_tPvRmT0_T1_jT2_SQ_T4_T3_P12ihipStream_tbEUlT_E_NS1_11comp_targetILNS1_3genE3ELNS1_11target_archE908ELNS1_3gpuE7ELNS1_3repE0EEENS1_30default_config_static_selectorELNS0_4arch9wavefront6targetE0EEEvSP_
; %bb.0:
	.section	.rodata,"a",@progbits
	.p2align	6, 0x0
	.amdhsa_kernel _ZN7rocprim17ROCPRIM_400000_NS6detail17trampoline_kernelINS0_14default_configENS1_32segmented_reduce_config_selectorIfEEZNS1_21segmented_reduce_implIS3_PKfPfPKifN6hipcub16HIPCUB_304000_NS6detail27convert_result_type_wrapperIS8_S9_N2at6native12_GLOBAL__N_19CustomMinEEEEE10hipError_tPvRmT0_T1_jT2_SQ_T4_T3_P12ihipStream_tbEUlT_E_NS1_11comp_targetILNS1_3genE3ELNS1_11target_archE908ELNS1_3gpuE7ELNS1_3repE0EEENS1_30default_config_static_selectorELNS0_4arch9wavefront6targetE0EEEvSP_
		.amdhsa_group_segment_fixed_size 0
		.amdhsa_private_segment_fixed_size 0
		.amdhsa_kernarg_size 48
		.amdhsa_user_sgpr_count 15
		.amdhsa_user_sgpr_dispatch_ptr 0
		.amdhsa_user_sgpr_queue_ptr 0
		.amdhsa_user_sgpr_kernarg_segment_ptr 1
		.amdhsa_user_sgpr_dispatch_id 0
		.amdhsa_user_sgpr_private_segment_size 0
		.amdhsa_wavefront_size32 1
		.amdhsa_uses_dynamic_stack 0
		.amdhsa_enable_private_segment 0
		.amdhsa_system_sgpr_workgroup_id_x 1
		.amdhsa_system_sgpr_workgroup_id_y 0
		.amdhsa_system_sgpr_workgroup_id_z 0
		.amdhsa_system_sgpr_workgroup_info 0
		.amdhsa_system_vgpr_workitem_id 0
		.amdhsa_next_free_vgpr 1
		.amdhsa_next_free_sgpr 1
		.amdhsa_reserve_vcc 0
		.amdhsa_float_round_mode_32 0
		.amdhsa_float_round_mode_16_64 0
		.amdhsa_float_denorm_mode_32 3
		.amdhsa_float_denorm_mode_16_64 3
		.amdhsa_dx10_clamp 1
		.amdhsa_ieee_mode 1
		.amdhsa_fp16_overflow 0
		.amdhsa_workgroup_processor_mode 1
		.amdhsa_memory_ordered 1
		.amdhsa_forward_progress 0
		.amdhsa_shared_vgpr_count 0
		.amdhsa_exception_fp_ieee_invalid_op 0
		.amdhsa_exception_fp_denorm_src 0
		.amdhsa_exception_fp_ieee_div_zero 0
		.amdhsa_exception_fp_ieee_overflow 0
		.amdhsa_exception_fp_ieee_underflow 0
		.amdhsa_exception_fp_ieee_inexact 0
		.amdhsa_exception_int_div_zero 0
	.end_amdhsa_kernel
	.section	.text._ZN7rocprim17ROCPRIM_400000_NS6detail17trampoline_kernelINS0_14default_configENS1_32segmented_reduce_config_selectorIfEEZNS1_21segmented_reduce_implIS3_PKfPfPKifN6hipcub16HIPCUB_304000_NS6detail27convert_result_type_wrapperIS8_S9_N2at6native12_GLOBAL__N_19CustomMinEEEEE10hipError_tPvRmT0_T1_jT2_SQ_T4_T3_P12ihipStream_tbEUlT_E_NS1_11comp_targetILNS1_3genE3ELNS1_11target_archE908ELNS1_3gpuE7ELNS1_3repE0EEENS1_30default_config_static_selectorELNS0_4arch9wavefront6targetE0EEEvSP_,"axG",@progbits,_ZN7rocprim17ROCPRIM_400000_NS6detail17trampoline_kernelINS0_14default_configENS1_32segmented_reduce_config_selectorIfEEZNS1_21segmented_reduce_implIS3_PKfPfPKifN6hipcub16HIPCUB_304000_NS6detail27convert_result_type_wrapperIS8_S9_N2at6native12_GLOBAL__N_19CustomMinEEEEE10hipError_tPvRmT0_T1_jT2_SQ_T4_T3_P12ihipStream_tbEUlT_E_NS1_11comp_targetILNS1_3genE3ELNS1_11target_archE908ELNS1_3gpuE7ELNS1_3repE0EEENS1_30default_config_static_selectorELNS0_4arch9wavefront6targetE0EEEvSP_,comdat
.Lfunc_end64:
	.size	_ZN7rocprim17ROCPRIM_400000_NS6detail17trampoline_kernelINS0_14default_configENS1_32segmented_reduce_config_selectorIfEEZNS1_21segmented_reduce_implIS3_PKfPfPKifN6hipcub16HIPCUB_304000_NS6detail27convert_result_type_wrapperIS8_S9_N2at6native12_GLOBAL__N_19CustomMinEEEEE10hipError_tPvRmT0_T1_jT2_SQ_T4_T3_P12ihipStream_tbEUlT_E_NS1_11comp_targetILNS1_3genE3ELNS1_11target_archE908ELNS1_3gpuE7ELNS1_3repE0EEENS1_30default_config_static_selectorELNS0_4arch9wavefront6targetE0EEEvSP_, .Lfunc_end64-_ZN7rocprim17ROCPRIM_400000_NS6detail17trampoline_kernelINS0_14default_configENS1_32segmented_reduce_config_selectorIfEEZNS1_21segmented_reduce_implIS3_PKfPfPKifN6hipcub16HIPCUB_304000_NS6detail27convert_result_type_wrapperIS8_S9_N2at6native12_GLOBAL__N_19CustomMinEEEEE10hipError_tPvRmT0_T1_jT2_SQ_T4_T3_P12ihipStream_tbEUlT_E_NS1_11comp_targetILNS1_3genE3ELNS1_11target_archE908ELNS1_3gpuE7ELNS1_3repE0EEENS1_30default_config_static_selectorELNS0_4arch9wavefront6targetE0EEEvSP_
                                        ; -- End function
	.section	.AMDGPU.csdata,"",@progbits
; Kernel info:
; codeLenInByte = 0
; NumSgprs: 0
; NumVgprs: 0
; ScratchSize: 0
; MemoryBound: 0
; FloatMode: 240
; IeeeMode: 1
; LDSByteSize: 0 bytes/workgroup (compile time only)
; SGPRBlocks: 0
; VGPRBlocks: 0
; NumSGPRsForWavesPerEU: 1
; NumVGPRsForWavesPerEU: 1
; Occupancy: 16
; WaveLimiterHint : 0
; COMPUTE_PGM_RSRC2:SCRATCH_EN: 0
; COMPUTE_PGM_RSRC2:USER_SGPR: 15
; COMPUTE_PGM_RSRC2:TRAP_HANDLER: 0
; COMPUTE_PGM_RSRC2:TGID_X_EN: 1
; COMPUTE_PGM_RSRC2:TGID_Y_EN: 0
; COMPUTE_PGM_RSRC2:TGID_Z_EN: 0
; COMPUTE_PGM_RSRC2:TIDIG_COMP_CNT: 0
	.section	.text._ZN7rocprim17ROCPRIM_400000_NS6detail17trampoline_kernelINS0_14default_configENS1_32segmented_reduce_config_selectorIfEEZNS1_21segmented_reduce_implIS3_PKfPfPKifN6hipcub16HIPCUB_304000_NS6detail27convert_result_type_wrapperIS8_S9_N2at6native12_GLOBAL__N_19CustomMinEEEEE10hipError_tPvRmT0_T1_jT2_SQ_T4_T3_P12ihipStream_tbEUlT_E_NS1_11comp_targetILNS1_3genE2ELNS1_11target_archE906ELNS1_3gpuE6ELNS1_3repE0EEENS1_30default_config_static_selectorELNS0_4arch9wavefront6targetE0EEEvSP_,"axG",@progbits,_ZN7rocprim17ROCPRIM_400000_NS6detail17trampoline_kernelINS0_14default_configENS1_32segmented_reduce_config_selectorIfEEZNS1_21segmented_reduce_implIS3_PKfPfPKifN6hipcub16HIPCUB_304000_NS6detail27convert_result_type_wrapperIS8_S9_N2at6native12_GLOBAL__N_19CustomMinEEEEE10hipError_tPvRmT0_T1_jT2_SQ_T4_T3_P12ihipStream_tbEUlT_E_NS1_11comp_targetILNS1_3genE2ELNS1_11target_archE906ELNS1_3gpuE6ELNS1_3repE0EEENS1_30default_config_static_selectorELNS0_4arch9wavefront6targetE0EEEvSP_,comdat
	.globl	_ZN7rocprim17ROCPRIM_400000_NS6detail17trampoline_kernelINS0_14default_configENS1_32segmented_reduce_config_selectorIfEEZNS1_21segmented_reduce_implIS3_PKfPfPKifN6hipcub16HIPCUB_304000_NS6detail27convert_result_type_wrapperIS8_S9_N2at6native12_GLOBAL__N_19CustomMinEEEEE10hipError_tPvRmT0_T1_jT2_SQ_T4_T3_P12ihipStream_tbEUlT_E_NS1_11comp_targetILNS1_3genE2ELNS1_11target_archE906ELNS1_3gpuE6ELNS1_3repE0EEENS1_30default_config_static_selectorELNS0_4arch9wavefront6targetE0EEEvSP_ ; -- Begin function _ZN7rocprim17ROCPRIM_400000_NS6detail17trampoline_kernelINS0_14default_configENS1_32segmented_reduce_config_selectorIfEEZNS1_21segmented_reduce_implIS3_PKfPfPKifN6hipcub16HIPCUB_304000_NS6detail27convert_result_type_wrapperIS8_S9_N2at6native12_GLOBAL__N_19CustomMinEEEEE10hipError_tPvRmT0_T1_jT2_SQ_T4_T3_P12ihipStream_tbEUlT_E_NS1_11comp_targetILNS1_3genE2ELNS1_11target_archE906ELNS1_3gpuE6ELNS1_3repE0EEENS1_30default_config_static_selectorELNS0_4arch9wavefront6targetE0EEEvSP_
	.p2align	8
	.type	_ZN7rocprim17ROCPRIM_400000_NS6detail17trampoline_kernelINS0_14default_configENS1_32segmented_reduce_config_selectorIfEEZNS1_21segmented_reduce_implIS3_PKfPfPKifN6hipcub16HIPCUB_304000_NS6detail27convert_result_type_wrapperIS8_S9_N2at6native12_GLOBAL__N_19CustomMinEEEEE10hipError_tPvRmT0_T1_jT2_SQ_T4_T3_P12ihipStream_tbEUlT_E_NS1_11comp_targetILNS1_3genE2ELNS1_11target_archE906ELNS1_3gpuE6ELNS1_3repE0EEENS1_30default_config_static_selectorELNS0_4arch9wavefront6targetE0EEEvSP_,@function
_ZN7rocprim17ROCPRIM_400000_NS6detail17trampoline_kernelINS0_14default_configENS1_32segmented_reduce_config_selectorIfEEZNS1_21segmented_reduce_implIS3_PKfPfPKifN6hipcub16HIPCUB_304000_NS6detail27convert_result_type_wrapperIS8_S9_N2at6native12_GLOBAL__N_19CustomMinEEEEE10hipError_tPvRmT0_T1_jT2_SQ_T4_T3_P12ihipStream_tbEUlT_E_NS1_11comp_targetILNS1_3genE2ELNS1_11target_archE906ELNS1_3gpuE6ELNS1_3repE0EEENS1_30default_config_static_selectorELNS0_4arch9wavefront6targetE0EEEvSP_: ; @_ZN7rocprim17ROCPRIM_400000_NS6detail17trampoline_kernelINS0_14default_configENS1_32segmented_reduce_config_selectorIfEEZNS1_21segmented_reduce_implIS3_PKfPfPKifN6hipcub16HIPCUB_304000_NS6detail27convert_result_type_wrapperIS8_S9_N2at6native12_GLOBAL__N_19CustomMinEEEEE10hipError_tPvRmT0_T1_jT2_SQ_T4_T3_P12ihipStream_tbEUlT_E_NS1_11comp_targetILNS1_3genE2ELNS1_11target_archE906ELNS1_3gpuE6ELNS1_3repE0EEENS1_30default_config_static_selectorELNS0_4arch9wavefront6targetE0EEEvSP_
; %bb.0:
	.section	.rodata,"a",@progbits
	.p2align	6, 0x0
	.amdhsa_kernel _ZN7rocprim17ROCPRIM_400000_NS6detail17trampoline_kernelINS0_14default_configENS1_32segmented_reduce_config_selectorIfEEZNS1_21segmented_reduce_implIS3_PKfPfPKifN6hipcub16HIPCUB_304000_NS6detail27convert_result_type_wrapperIS8_S9_N2at6native12_GLOBAL__N_19CustomMinEEEEE10hipError_tPvRmT0_T1_jT2_SQ_T4_T3_P12ihipStream_tbEUlT_E_NS1_11comp_targetILNS1_3genE2ELNS1_11target_archE906ELNS1_3gpuE6ELNS1_3repE0EEENS1_30default_config_static_selectorELNS0_4arch9wavefront6targetE0EEEvSP_
		.amdhsa_group_segment_fixed_size 0
		.amdhsa_private_segment_fixed_size 0
		.amdhsa_kernarg_size 48
		.amdhsa_user_sgpr_count 15
		.amdhsa_user_sgpr_dispatch_ptr 0
		.amdhsa_user_sgpr_queue_ptr 0
		.amdhsa_user_sgpr_kernarg_segment_ptr 1
		.amdhsa_user_sgpr_dispatch_id 0
		.amdhsa_user_sgpr_private_segment_size 0
		.amdhsa_wavefront_size32 1
		.amdhsa_uses_dynamic_stack 0
		.amdhsa_enable_private_segment 0
		.amdhsa_system_sgpr_workgroup_id_x 1
		.amdhsa_system_sgpr_workgroup_id_y 0
		.amdhsa_system_sgpr_workgroup_id_z 0
		.amdhsa_system_sgpr_workgroup_info 0
		.amdhsa_system_vgpr_workitem_id 0
		.amdhsa_next_free_vgpr 1
		.amdhsa_next_free_sgpr 1
		.amdhsa_reserve_vcc 0
		.amdhsa_float_round_mode_32 0
		.amdhsa_float_round_mode_16_64 0
		.amdhsa_float_denorm_mode_32 3
		.amdhsa_float_denorm_mode_16_64 3
		.amdhsa_dx10_clamp 1
		.amdhsa_ieee_mode 1
		.amdhsa_fp16_overflow 0
		.amdhsa_workgroup_processor_mode 1
		.amdhsa_memory_ordered 1
		.amdhsa_forward_progress 0
		.amdhsa_shared_vgpr_count 0
		.amdhsa_exception_fp_ieee_invalid_op 0
		.amdhsa_exception_fp_denorm_src 0
		.amdhsa_exception_fp_ieee_div_zero 0
		.amdhsa_exception_fp_ieee_overflow 0
		.amdhsa_exception_fp_ieee_underflow 0
		.amdhsa_exception_fp_ieee_inexact 0
		.amdhsa_exception_int_div_zero 0
	.end_amdhsa_kernel
	.section	.text._ZN7rocprim17ROCPRIM_400000_NS6detail17trampoline_kernelINS0_14default_configENS1_32segmented_reduce_config_selectorIfEEZNS1_21segmented_reduce_implIS3_PKfPfPKifN6hipcub16HIPCUB_304000_NS6detail27convert_result_type_wrapperIS8_S9_N2at6native12_GLOBAL__N_19CustomMinEEEEE10hipError_tPvRmT0_T1_jT2_SQ_T4_T3_P12ihipStream_tbEUlT_E_NS1_11comp_targetILNS1_3genE2ELNS1_11target_archE906ELNS1_3gpuE6ELNS1_3repE0EEENS1_30default_config_static_selectorELNS0_4arch9wavefront6targetE0EEEvSP_,"axG",@progbits,_ZN7rocprim17ROCPRIM_400000_NS6detail17trampoline_kernelINS0_14default_configENS1_32segmented_reduce_config_selectorIfEEZNS1_21segmented_reduce_implIS3_PKfPfPKifN6hipcub16HIPCUB_304000_NS6detail27convert_result_type_wrapperIS8_S9_N2at6native12_GLOBAL__N_19CustomMinEEEEE10hipError_tPvRmT0_T1_jT2_SQ_T4_T3_P12ihipStream_tbEUlT_E_NS1_11comp_targetILNS1_3genE2ELNS1_11target_archE906ELNS1_3gpuE6ELNS1_3repE0EEENS1_30default_config_static_selectorELNS0_4arch9wavefront6targetE0EEEvSP_,comdat
.Lfunc_end65:
	.size	_ZN7rocprim17ROCPRIM_400000_NS6detail17trampoline_kernelINS0_14default_configENS1_32segmented_reduce_config_selectorIfEEZNS1_21segmented_reduce_implIS3_PKfPfPKifN6hipcub16HIPCUB_304000_NS6detail27convert_result_type_wrapperIS8_S9_N2at6native12_GLOBAL__N_19CustomMinEEEEE10hipError_tPvRmT0_T1_jT2_SQ_T4_T3_P12ihipStream_tbEUlT_E_NS1_11comp_targetILNS1_3genE2ELNS1_11target_archE906ELNS1_3gpuE6ELNS1_3repE0EEENS1_30default_config_static_selectorELNS0_4arch9wavefront6targetE0EEEvSP_, .Lfunc_end65-_ZN7rocprim17ROCPRIM_400000_NS6detail17trampoline_kernelINS0_14default_configENS1_32segmented_reduce_config_selectorIfEEZNS1_21segmented_reduce_implIS3_PKfPfPKifN6hipcub16HIPCUB_304000_NS6detail27convert_result_type_wrapperIS8_S9_N2at6native12_GLOBAL__N_19CustomMinEEEEE10hipError_tPvRmT0_T1_jT2_SQ_T4_T3_P12ihipStream_tbEUlT_E_NS1_11comp_targetILNS1_3genE2ELNS1_11target_archE906ELNS1_3gpuE6ELNS1_3repE0EEENS1_30default_config_static_selectorELNS0_4arch9wavefront6targetE0EEEvSP_
                                        ; -- End function
	.section	.AMDGPU.csdata,"",@progbits
; Kernel info:
; codeLenInByte = 0
; NumSgprs: 0
; NumVgprs: 0
; ScratchSize: 0
; MemoryBound: 0
; FloatMode: 240
; IeeeMode: 1
; LDSByteSize: 0 bytes/workgroup (compile time only)
; SGPRBlocks: 0
; VGPRBlocks: 0
; NumSGPRsForWavesPerEU: 1
; NumVGPRsForWavesPerEU: 1
; Occupancy: 16
; WaveLimiterHint : 0
; COMPUTE_PGM_RSRC2:SCRATCH_EN: 0
; COMPUTE_PGM_RSRC2:USER_SGPR: 15
; COMPUTE_PGM_RSRC2:TRAP_HANDLER: 0
; COMPUTE_PGM_RSRC2:TGID_X_EN: 1
; COMPUTE_PGM_RSRC2:TGID_Y_EN: 0
; COMPUTE_PGM_RSRC2:TGID_Z_EN: 0
; COMPUTE_PGM_RSRC2:TIDIG_COMP_CNT: 0
	.section	.text._ZN7rocprim17ROCPRIM_400000_NS6detail17trampoline_kernelINS0_14default_configENS1_32segmented_reduce_config_selectorIfEEZNS1_21segmented_reduce_implIS3_PKfPfPKifN6hipcub16HIPCUB_304000_NS6detail27convert_result_type_wrapperIS8_S9_N2at6native12_GLOBAL__N_19CustomMinEEEEE10hipError_tPvRmT0_T1_jT2_SQ_T4_T3_P12ihipStream_tbEUlT_E_NS1_11comp_targetILNS1_3genE9ELNS1_11target_archE1100ELNS1_3gpuE3ELNS1_3repE0EEENS1_30default_config_static_selectorELNS0_4arch9wavefront6targetE0EEEvSP_,"axG",@progbits,_ZN7rocprim17ROCPRIM_400000_NS6detail17trampoline_kernelINS0_14default_configENS1_32segmented_reduce_config_selectorIfEEZNS1_21segmented_reduce_implIS3_PKfPfPKifN6hipcub16HIPCUB_304000_NS6detail27convert_result_type_wrapperIS8_S9_N2at6native12_GLOBAL__N_19CustomMinEEEEE10hipError_tPvRmT0_T1_jT2_SQ_T4_T3_P12ihipStream_tbEUlT_E_NS1_11comp_targetILNS1_3genE9ELNS1_11target_archE1100ELNS1_3gpuE3ELNS1_3repE0EEENS1_30default_config_static_selectorELNS0_4arch9wavefront6targetE0EEEvSP_,comdat
	.globl	_ZN7rocprim17ROCPRIM_400000_NS6detail17trampoline_kernelINS0_14default_configENS1_32segmented_reduce_config_selectorIfEEZNS1_21segmented_reduce_implIS3_PKfPfPKifN6hipcub16HIPCUB_304000_NS6detail27convert_result_type_wrapperIS8_S9_N2at6native12_GLOBAL__N_19CustomMinEEEEE10hipError_tPvRmT0_T1_jT2_SQ_T4_T3_P12ihipStream_tbEUlT_E_NS1_11comp_targetILNS1_3genE9ELNS1_11target_archE1100ELNS1_3gpuE3ELNS1_3repE0EEENS1_30default_config_static_selectorELNS0_4arch9wavefront6targetE0EEEvSP_ ; -- Begin function _ZN7rocprim17ROCPRIM_400000_NS6detail17trampoline_kernelINS0_14default_configENS1_32segmented_reduce_config_selectorIfEEZNS1_21segmented_reduce_implIS3_PKfPfPKifN6hipcub16HIPCUB_304000_NS6detail27convert_result_type_wrapperIS8_S9_N2at6native12_GLOBAL__N_19CustomMinEEEEE10hipError_tPvRmT0_T1_jT2_SQ_T4_T3_P12ihipStream_tbEUlT_E_NS1_11comp_targetILNS1_3genE9ELNS1_11target_archE1100ELNS1_3gpuE3ELNS1_3repE0EEENS1_30default_config_static_selectorELNS0_4arch9wavefront6targetE0EEEvSP_
	.p2align	8
	.type	_ZN7rocprim17ROCPRIM_400000_NS6detail17trampoline_kernelINS0_14default_configENS1_32segmented_reduce_config_selectorIfEEZNS1_21segmented_reduce_implIS3_PKfPfPKifN6hipcub16HIPCUB_304000_NS6detail27convert_result_type_wrapperIS8_S9_N2at6native12_GLOBAL__N_19CustomMinEEEEE10hipError_tPvRmT0_T1_jT2_SQ_T4_T3_P12ihipStream_tbEUlT_E_NS1_11comp_targetILNS1_3genE9ELNS1_11target_archE1100ELNS1_3gpuE3ELNS1_3repE0EEENS1_30default_config_static_selectorELNS0_4arch9wavefront6targetE0EEEvSP_,@function
_ZN7rocprim17ROCPRIM_400000_NS6detail17trampoline_kernelINS0_14default_configENS1_32segmented_reduce_config_selectorIfEEZNS1_21segmented_reduce_implIS3_PKfPfPKifN6hipcub16HIPCUB_304000_NS6detail27convert_result_type_wrapperIS8_S9_N2at6native12_GLOBAL__N_19CustomMinEEEEE10hipError_tPvRmT0_T1_jT2_SQ_T4_T3_P12ihipStream_tbEUlT_E_NS1_11comp_targetILNS1_3genE9ELNS1_11target_archE1100ELNS1_3gpuE3ELNS1_3repE0EEENS1_30default_config_static_selectorELNS0_4arch9wavefront6targetE0EEEvSP_: ; @_ZN7rocprim17ROCPRIM_400000_NS6detail17trampoline_kernelINS0_14default_configENS1_32segmented_reduce_config_selectorIfEEZNS1_21segmented_reduce_implIS3_PKfPfPKifN6hipcub16HIPCUB_304000_NS6detail27convert_result_type_wrapperIS8_S9_N2at6native12_GLOBAL__N_19CustomMinEEEEE10hipError_tPvRmT0_T1_jT2_SQ_T4_T3_P12ihipStream_tbEUlT_E_NS1_11comp_targetILNS1_3genE9ELNS1_11target_archE1100ELNS1_3gpuE3ELNS1_3repE0EEENS1_30default_config_static_selectorELNS0_4arch9wavefront6targetE0EEEvSP_
; %bb.0:
	s_clause 0x2
	s_load_b256 s[4:11], s[0:1], 0x0
	s_load_b64 s[12:13], s[0:1], 0x20
	s_load_b32 s14, s[0:1], 0x2c
	s_mov_b32 s2, s15
	s_mov_b32 s3, 0
	v_cmp_eq_u32_e32 vcc_lo, 0, v0
	s_waitcnt lgkmcnt(0)
	s_lshl_b64 s[8:9], s[8:9], 2
	s_delay_alu instid0(SALU_CYCLE_1) | instskip(SKIP_4) | instid1(SALU_CYCLE_1)
	s_add_u32 s0, s10, s8
	s_addc_u32 s1, s11, s9
	s_add_u32 s12, s12, s8
	s_addc_u32 s13, s13, s9
	s_lshl_b64 s[10:11], s[2:3], 2
	s_add_u32 s0, s0, s10
	s_addc_u32 s1, s1, s11
	s_add_u32 s16, s12, s10
	s_addc_u32 s17, s13, s11
	s_load_b32 s12, s[0:1], 0x0
	s_load_b32 s2, s[16:17], 0x0
	s_waitcnt lgkmcnt(0)
	s_cmp_gt_i32 s2, s12
	s_cbranch_scc1 .LBB66_3
; %bb.1:
	s_and_b32 s3, vcc_lo, exec_lo
	s_cbranch_execz .LBB66_4
; %bb.2:
	v_mov_b32_e32 v1, s14
	s_and_saveexec_b32 s0, s3
	s_cbranch_execnz .LBB66_371
	s_branch .LBB66_372
.LBB66_3:
.LBB66_4:
	s_add_i32 s0, s12, 0x1000
	s_delay_alu instid0(SALU_CYCLE_1)
	s_cmp_le_i32 s0, s2
	s_cbranch_scc0 .LBB66_132
; %bb.5:
	s_ashr_i32 s13, s12, 31
	v_lshlrev_b32_e32 v18, 2, v0
	s_lshl_b64 s[16:17], s[12:13], 2
	s_delay_alu instid0(SALU_CYCLE_1) | instskip(SKIP_1) | instid1(VALU_DEP_1)
	s_add_u32 s16, s4, s16
	s_addc_u32 s17, s5, s17
	v_add_co_u32 v5, s1, s16, v18
	s_delay_alu instid0(VALU_DEP_1) | instskip(SKIP_1) | instid1(VALU_DEP_2)
	v_add_co_ci_u32_e64 v6, null, s17, 0, s1
	s_mov_b32 s1, exec_lo
	v_add_co_u32 v1, vcc_lo, 0x1000, v5
	s_delay_alu instid0(VALU_DEP_2)
	v_add_co_ci_u32_e32 v2, vcc_lo, 0, v6, vcc_lo
	v_add_co_u32 v19, vcc_lo, v5, 0x2000
	v_add_co_ci_u32_e32 v20, vcc_lo, 0, v6, vcc_lo
	v_add_co_u32 v3, vcc_lo, 0x2000, v5
	v_add_co_ci_u32_e32 v4, vcc_lo, 0, v6, vcc_lo
	global_load_b32 v9, v[19:20], off
	v_add_co_u32 v21, vcc_lo, 0x3000, v5
	v_add_co_ci_u32_e32 v22, vcc_lo, 0, v6, vcc_lo
	s_clause 0xe
	global_load_b32 v17, v18, s[16:17]
	global_load_b32 v16, v18, s[16:17] offset:1024
	global_load_b32 v15, v18, s[16:17] offset:2048
	;; [unrolled: 1-line block ×3, first 2 shown]
	global_load_b32 v12, v[1:2], off offset:1024
	global_load_b32 v11, v[1:2], off offset:2048
	;; [unrolled: 1-line block ×6, first 2 shown]
	global_load_b32 v4, v[21:22], off
	global_load_b32 v3, v[21:22], off offset:1024
	global_load_b32 v2, v[21:22], off offset:2048
	global_load_b32 v13, v[19:20], off offset:-4096
	global_load_b32 v1, v[21:22], off offset:3072
	s_waitcnt vmcnt(14)
	v_mov_b32_e32 v7, v17
	v_cmpx_o_f32_e32 v17, v17
	s_cbranch_execz .LBB66_9
; %bb.6:
	s_waitcnt vmcnt(13)
	v_mov_b32_e32 v7, v16
	s_mov_b32 s13, exec_lo
	v_cmpx_o_f32_e32 v16, v16
; %bb.7:
	v_cmp_lt_f32_e32 vcc_lo, v16, v17
	v_cndmask_b32_e32 v7, v17, v16, vcc_lo
; %bb.8:
	s_or_b32 exec_lo, exec_lo, s13
.LBB66_9:
	s_delay_alu instid0(SALU_CYCLE_1) | instskip(NEXT) | instid1(SALU_CYCLE_1)
	s_or_b32 exec_lo, exec_lo, s1
	s_mov_b32 s1, exec_lo
	s_delay_alu instid0(VALU_DEP_1)
	v_cmpx_o_f32_e32 v7, v7
	s_cbranch_execz .LBB66_13
; %bb.10:
	s_waitcnt vmcnt(12)
	v_mov_b32_e32 v19, v15
	s_mov_b32 s13, exec_lo
	v_cmpx_o_f32_e32 v15, v15
; %bb.11:
	v_cmp_lt_f32_e32 vcc_lo, v15, v7
	v_cndmask_b32_e32 v19, v7, v15, vcc_lo
; %bb.12:
	s_or_b32 exec_lo, exec_lo, s13
	s_delay_alu instid0(VALU_DEP_1)
	v_mov_b32_e32 v7, v19
.LBB66_13:
	s_or_b32 exec_lo, exec_lo, s1
	s_delay_alu instid0(SALU_CYCLE_1) | instskip(NEXT) | instid1(VALU_DEP_1)
	s_mov_b32 s1, exec_lo
	v_cmpx_o_f32_e32 v7, v7
	s_cbranch_execz .LBB66_17
; %bb.14:
	s_waitcnt vmcnt(11)
	v_mov_b32_e32 v19, v14
	s_mov_b32 s13, exec_lo
	v_cmpx_o_f32_e32 v14, v14
; %bb.15:
	v_cmp_lt_f32_e32 vcc_lo, v14, v7
	v_cndmask_b32_e32 v19, v7, v14, vcc_lo
; %bb.16:
	s_or_b32 exec_lo, exec_lo, s13
	s_delay_alu instid0(VALU_DEP_1)
	v_mov_b32_e32 v7, v19
.LBB66_17:
	s_or_b32 exec_lo, exec_lo, s1
	s_delay_alu instid0(SALU_CYCLE_1) | instskip(NEXT) | instid1(VALU_DEP_1)
	s_mov_b32 s1, exec_lo
	v_cmpx_o_f32_e32 v7, v7
	s_cbranch_execz .LBB66_21
; %bb.18:
	s_waitcnt vmcnt(1)
	v_mov_b32_e32 v19, v13
	s_mov_b32 s13, exec_lo
	v_cmpx_o_f32_e32 v13, v13
; %bb.19:
	v_cmp_lt_f32_e32 vcc_lo, v13, v7
	v_cndmask_b32_e32 v19, v7, v13, vcc_lo
; %bb.20:
	s_or_b32 exec_lo, exec_lo, s13
	s_delay_alu instid0(VALU_DEP_1)
	v_mov_b32_e32 v7, v19
.LBB66_21:
	s_or_b32 exec_lo, exec_lo, s1
	s_delay_alu instid0(SALU_CYCLE_1) | instskip(NEXT) | instid1(VALU_DEP_1)
	s_mov_b32 s1, exec_lo
	v_cmpx_o_f32_e32 v7, v7
	s_cbranch_execz .LBB66_25
; %bb.22:
	s_waitcnt vmcnt(10)
	v_mov_b32_e32 v19, v12
	s_mov_b32 s13, exec_lo
	v_cmpx_o_f32_e32 v12, v12
; %bb.23:
	v_cmp_lt_f32_e32 vcc_lo, v12, v7
	v_cndmask_b32_e32 v19, v7, v12, vcc_lo
; %bb.24:
	s_or_b32 exec_lo, exec_lo, s13
	s_delay_alu instid0(VALU_DEP_1)
	v_mov_b32_e32 v7, v19
.LBB66_25:
	s_or_b32 exec_lo, exec_lo, s1
	s_delay_alu instid0(SALU_CYCLE_1) | instskip(NEXT) | instid1(VALU_DEP_1)
	s_mov_b32 s1, exec_lo
	v_cmpx_o_f32_e32 v7, v7
	s_cbranch_execz .LBB66_29
; %bb.26:
	s_waitcnt vmcnt(9)
	v_mov_b32_e32 v19, v11
	s_mov_b32 s13, exec_lo
	v_cmpx_o_f32_e32 v11, v11
; %bb.27:
	v_cmp_lt_f32_e32 vcc_lo, v11, v7
	v_cndmask_b32_e32 v19, v7, v11, vcc_lo
; %bb.28:
	s_or_b32 exec_lo, exec_lo, s13
	s_delay_alu instid0(VALU_DEP_1)
	v_mov_b32_e32 v7, v19
.LBB66_29:
	s_or_b32 exec_lo, exec_lo, s1
	s_delay_alu instid0(SALU_CYCLE_1) | instskip(NEXT) | instid1(VALU_DEP_1)
	s_mov_b32 s1, exec_lo
	v_cmpx_o_f32_e32 v7, v7
	s_cbranch_execz .LBB66_33
; %bb.30:
	s_waitcnt vmcnt(8)
	v_mov_b32_e32 v19, v10
	s_mov_b32 s13, exec_lo
	v_cmpx_o_f32_e32 v10, v10
; %bb.31:
	v_cmp_lt_f32_e32 vcc_lo, v10, v7
	v_cndmask_b32_e32 v19, v7, v10, vcc_lo
; %bb.32:
	s_or_b32 exec_lo, exec_lo, s13
	s_delay_alu instid0(VALU_DEP_1)
	v_mov_b32_e32 v7, v19
.LBB66_33:
	s_or_b32 exec_lo, exec_lo, s1
	s_delay_alu instid0(SALU_CYCLE_1) | instskip(NEXT) | instid1(VALU_DEP_1)
	s_mov_b32 s1, exec_lo
	v_cmpx_o_f32_e32 v7, v7
	s_cbranch_execz .LBB66_37
; %bb.34:
	v_mov_b32_e32 v19, v9
	s_mov_b32 s13, exec_lo
	v_cmpx_o_f32_e32 v9, v9
; %bb.35:
	v_cmp_lt_f32_e32 vcc_lo, v9, v7
	v_cndmask_b32_e32 v19, v7, v9, vcc_lo
; %bb.36:
	s_or_b32 exec_lo, exec_lo, s13
	s_delay_alu instid0(VALU_DEP_1)
	v_mov_b32_e32 v7, v19
.LBB66_37:
	s_or_b32 exec_lo, exec_lo, s1
	s_delay_alu instid0(SALU_CYCLE_1) | instskip(NEXT) | instid1(VALU_DEP_1)
	s_mov_b32 s1, exec_lo
	v_cmpx_o_f32_e32 v7, v7
	s_cbranch_execz .LBB66_41
; %bb.38:
	s_waitcnt vmcnt(7)
	v_mov_b32_e32 v19, v8
	s_mov_b32 s13, exec_lo
	v_cmpx_o_f32_e32 v8, v8
; %bb.39:
	v_cmp_lt_f32_e32 vcc_lo, v8, v7
	v_cndmask_b32_e32 v19, v7, v8, vcc_lo
; %bb.40:
	s_or_b32 exec_lo, exec_lo, s13
	s_delay_alu instid0(VALU_DEP_1)
	v_mov_b32_e32 v7, v19
.LBB66_41:
	s_or_b32 exec_lo, exec_lo, s1
	s_delay_alu instid0(SALU_CYCLE_1) | instskip(NEXT) | instid1(VALU_DEP_1)
	s_mov_b32 s1, exec_lo
	v_cmpx_o_f32_e32 v7, v7
	s_cbranch_execz .LBB66_45
; %bb.42:
	s_waitcnt vmcnt(6)
	v_mov_b32_e32 v19, v6
	s_mov_b32 s13, exec_lo
	v_cmpx_o_f32_e32 v6, v6
; %bb.43:
	v_cmp_lt_f32_e32 vcc_lo, v6, v7
	v_cndmask_b32_e32 v19, v7, v6, vcc_lo
; %bb.44:
	s_or_b32 exec_lo, exec_lo, s13
	s_delay_alu instid0(VALU_DEP_1)
	v_mov_b32_e32 v7, v19
.LBB66_45:
	;; [unrolled: 18-line block ×7, first 2 shown]
	s_or_b32 exec_lo, exec_lo, s1
	s_add_i32 s1, s12, 0x2000
	s_delay_alu instid0(SALU_CYCLE_1)
	s_cmp_ge_i32 s1, s2
	s_cbranch_scc1 .LBB66_133
; %bb.66:
	v_add_co_u32 v19, s1, s4, v18
	s_delay_alu instid0(VALU_DEP_1)
	v_add_co_ci_u32_e64 v20, null, s5, 0, s1
	s_branch .LBB66_69
.LBB66_67:                              ;   in Loop: Header=BB66_69 Depth=1
	s_or_b32 exec_lo, exec_lo, s13
	s_delay_alu instid0(VALU_DEP_1)
	v_mov_b32_e32 v7, v21
.LBB66_68:                              ;   in Loop: Header=BB66_69 Depth=1
	s_or_b32 exec_lo, exec_lo, s1
	s_add_i32 s1, s0, 0x2000
	s_addk_i32 s0, 0x1000
	s_cmp_lt_i32 s1, s2
	s_cbranch_scc0 .LBB66_133
.LBB66_69:                              ; =>This Inner Loop Header: Depth=1
	s_ashr_i32 s1, s0, 31
	s_delay_alu instid0(SALU_CYCLE_1) | instskip(SKIP_4) | instid1(VALU_DEP_2)
	s_lshl_b64 s[16:17], s[0:1], 2
	s_mov_b32 s1, exec_lo
	s_waitcnt vmcnt(0)
	v_add_co_u32 v1, vcc_lo, v19, s16
	v_add_co_ci_u32_e32 v2, vcc_lo, s17, v20, vcc_lo
	v_add_co_u32 v3, vcc_lo, 0x1000, v1
	s_delay_alu instid0(VALU_DEP_2)
	v_add_co_ci_u32_e32 v4, vcc_lo, 0, v2, vcc_lo
	v_add_co_u32 v21, vcc_lo, v1, 0x2000
	v_add_co_ci_u32_e32 v22, vcc_lo, 0, v2, vcc_lo
	v_add_co_u32 v23, vcc_lo, 0x2000, v1
	v_add_co_ci_u32_e32 v24, vcc_lo, 0, v2, vcc_lo
	v_add_co_u32 v25, vcc_lo, 0x3000, v1
	global_load_b32 v9, v[21:22], off
	v_add_co_ci_u32_e32 v26, vcc_lo, 0, v2, vcc_lo
	s_clause 0xe
	global_load_b32 v17, v[1:2], off
	global_load_b32 v16, v[1:2], off offset:1024
	global_load_b32 v15, v[1:2], off offset:2048
	;; [unrolled: 1-line block ×9, first 2 shown]
	global_load_b32 v4, v[25:26], off
	global_load_b32 v3, v[25:26], off offset:1024
	global_load_b32 v2, v[25:26], off offset:2048
	global_load_b32 v13, v[21:22], off offset:-4096
	global_load_b32 v1, v[25:26], off offset:3072
	v_cmpx_o_f32_e32 v7, v7
	s_cbranch_execz .LBB66_73
; %bb.70:                               ;   in Loop: Header=BB66_69 Depth=1
	s_waitcnt vmcnt(14)
	v_mov_b32_e32 v21, v17
	s_mov_b32 s13, exec_lo
	v_cmpx_o_f32_e32 v17, v17
; %bb.71:                               ;   in Loop: Header=BB66_69 Depth=1
	v_cmp_lt_f32_e32 vcc_lo, v17, v7
	v_cndmask_b32_e32 v21, v7, v17, vcc_lo
; %bb.72:                               ;   in Loop: Header=BB66_69 Depth=1
	s_or_b32 exec_lo, exec_lo, s13
	s_delay_alu instid0(VALU_DEP_1)
	v_mov_b32_e32 v7, v21
.LBB66_73:                              ;   in Loop: Header=BB66_69 Depth=1
	s_or_b32 exec_lo, exec_lo, s1
	s_delay_alu instid0(SALU_CYCLE_1) | instskip(NEXT) | instid1(VALU_DEP_1)
	s_mov_b32 s1, exec_lo
	v_cmpx_o_f32_e32 v7, v7
	s_cbranch_execz .LBB66_77
; %bb.74:                               ;   in Loop: Header=BB66_69 Depth=1
	s_waitcnt vmcnt(13)
	v_mov_b32_e32 v21, v16
	s_mov_b32 s13, exec_lo
	v_cmpx_o_f32_e32 v16, v16
; %bb.75:                               ;   in Loop: Header=BB66_69 Depth=1
	v_cmp_lt_f32_e32 vcc_lo, v16, v7
	v_cndmask_b32_e32 v21, v7, v16, vcc_lo
; %bb.76:                               ;   in Loop: Header=BB66_69 Depth=1
	s_or_b32 exec_lo, exec_lo, s13
	s_delay_alu instid0(VALU_DEP_1)
	v_mov_b32_e32 v7, v21
.LBB66_77:                              ;   in Loop: Header=BB66_69 Depth=1
	s_or_b32 exec_lo, exec_lo, s1
	s_delay_alu instid0(SALU_CYCLE_1) | instskip(NEXT) | instid1(VALU_DEP_1)
	s_mov_b32 s1, exec_lo
	;; [unrolled: 18-line block ×7, first 2 shown]
	v_cmpx_o_f32_e32 v7, v7
	s_cbranch_execz .LBB66_101
; %bb.98:                               ;   in Loop: Header=BB66_69 Depth=1
	s_waitcnt vmcnt(8)
	v_mov_b32_e32 v21, v10
	s_mov_b32 s13, exec_lo
	v_cmpx_o_f32_e32 v10, v10
; %bb.99:                               ;   in Loop: Header=BB66_69 Depth=1
	v_cmp_lt_f32_e32 vcc_lo, v10, v7
	v_cndmask_b32_e32 v21, v7, v10, vcc_lo
; %bb.100:                              ;   in Loop: Header=BB66_69 Depth=1
	s_or_b32 exec_lo, exec_lo, s13
	s_delay_alu instid0(VALU_DEP_1)
	v_mov_b32_e32 v7, v21
.LBB66_101:                             ;   in Loop: Header=BB66_69 Depth=1
	s_or_b32 exec_lo, exec_lo, s1
	s_delay_alu instid0(SALU_CYCLE_1) | instskip(NEXT) | instid1(VALU_DEP_1)
	s_mov_b32 s1, exec_lo
	v_cmpx_o_f32_e32 v7, v7
	s_cbranch_execz .LBB66_105
; %bb.102:                              ;   in Loop: Header=BB66_69 Depth=1
	s_waitcnt vmcnt(15)
	v_mov_b32_e32 v21, v9
	s_mov_b32 s13, exec_lo
	v_cmpx_o_f32_e32 v9, v9
; %bb.103:                              ;   in Loop: Header=BB66_69 Depth=1
	v_cmp_lt_f32_e32 vcc_lo, v9, v7
	v_cndmask_b32_e32 v21, v7, v9, vcc_lo
; %bb.104:                              ;   in Loop: Header=BB66_69 Depth=1
	s_or_b32 exec_lo, exec_lo, s13
	s_delay_alu instid0(VALU_DEP_1)
	v_mov_b32_e32 v7, v21
.LBB66_105:                             ;   in Loop: Header=BB66_69 Depth=1
	s_or_b32 exec_lo, exec_lo, s1
	s_delay_alu instid0(SALU_CYCLE_1) | instskip(NEXT) | instid1(VALU_DEP_1)
	s_mov_b32 s1, exec_lo
	v_cmpx_o_f32_e32 v7, v7
	s_cbranch_execz .LBB66_109
; %bb.106:                              ;   in Loop: Header=BB66_69 Depth=1
	s_waitcnt vmcnt(7)
	v_mov_b32_e32 v21, v8
	s_mov_b32 s13, exec_lo
	v_cmpx_o_f32_e32 v8, v8
; %bb.107:                              ;   in Loop: Header=BB66_69 Depth=1
	v_cmp_lt_f32_e32 vcc_lo, v8, v7
	v_cndmask_b32_e32 v21, v7, v8, vcc_lo
; %bb.108:                              ;   in Loop: Header=BB66_69 Depth=1
	s_or_b32 exec_lo, exec_lo, s13
	s_delay_alu instid0(VALU_DEP_1)
	v_mov_b32_e32 v7, v21
.LBB66_109:                             ;   in Loop: Header=BB66_69 Depth=1
	;; [unrolled: 18-line block ×7, first 2 shown]
	s_or_b32 exec_lo, exec_lo, s1
	s_delay_alu instid0(SALU_CYCLE_1) | instskip(NEXT) | instid1(VALU_DEP_1)
	s_mov_b32 s1, exec_lo
	v_cmpx_o_f32_e32 v7, v7
	s_cbranch_execz .LBB66_68
; %bb.130:                              ;   in Loop: Header=BB66_69 Depth=1
	s_waitcnt vmcnt(0)
	v_mov_b32_e32 v21, v1
	s_mov_b32 s13, exec_lo
	v_cmpx_o_f32_e32 v1, v1
	s_cbranch_execz .LBB66_67
; %bb.131:                              ;   in Loop: Header=BB66_69 Depth=1
	v_cmp_lt_f32_e32 vcc_lo, v1, v7
	v_cndmask_b32_e32 v21, v7, v1, vcc_lo
	s_branch .LBB66_67
.LBB66_132:
                                        ; implicit-def: $vgpr2
	s_cbranch_execnz .LBB66_266
	s_branch .LBB66_364
.LBB66_133:
	s_ashr_i32 s1, s0, 31
	s_sub_i32 s13, s2, s0
	s_lshl_b64 s[0:1], s[0:1], 2
	s_mov_b32 s15, exec_lo
	s_add_u32 s0, s4, s0
	s_addc_u32 s1, s5, s1
	v_cmpx_gt_u32_e64 s13, v0
	s_cbranch_execz .LBB66_135
; %bb.134:
	global_load_b32 v17, v18, s[0:1]
.LBB66_135:
	s_or_b32 exec_lo, exec_lo, s15
	v_or_b32_e32 v32, 0x100, v0
	s_mov_b32 s15, exec_lo
	s_delay_alu instid0(VALU_DEP_1)
	v_cmpx_gt_u32_e64 s13, v32
	s_cbranch_execz .LBB66_137
; %bb.136:
	global_load_b32 v16, v18, s[0:1] offset:1024
.LBB66_137:
	s_or_b32 exec_lo, exec_lo, s15
	v_or_b32_e32 v31, 0x200, v0
	s_mov_b32 s15, exec_lo
	s_delay_alu instid0(VALU_DEP_1)
	v_cmpx_gt_u32_e64 s13, v31
	s_cbranch_execz .LBB66_139
; %bb.138:
	global_load_b32 v15, v18, s[0:1] offset:2048
.LBB66_139:
	;; [unrolled: 9-line block ×3, first 2 shown]
	s_or_b32 exec_lo, exec_lo, s15
	v_or_b32_e32 v29, 0x400, v0
	s_mov_b32 s15, exec_lo
	s_delay_alu instid0(VALU_DEP_1)
	v_cmpx_gt_u32_e64 s13, v29
	s_cbranch_execz .LBB66_143
; %bb.142:
	s_waitcnt vmcnt(1)
	v_lshlrev_b32_e32 v13, 2, v29
	global_load_b32 v13, v13, s[0:1]
.LBB66_143:
	s_or_b32 exec_lo, exec_lo, s15
	v_or_b32_e32 v28, 0x500, v0
	s_mov_b32 s15, exec_lo
	s_delay_alu instid0(VALU_DEP_1)
	v_cmpx_gt_u32_e64 s13, v28
	s_cbranch_execz .LBB66_145
; %bb.144:
	s_waitcnt vmcnt(10)
	v_lshlrev_b32_e32 v12, 2, v28
	global_load_b32 v12, v12, s[0:1]
.LBB66_145:
	;; [unrolled: 11-line block ×12, first 2 shown]
	s_or_b32 exec_lo, exec_lo, s15
	v_cmp_gt_u32_e32 vcc_lo, s13, v0
	v_cmp_o_f32_e64 s0, v7, v7
	s_delay_alu instid0(VALU_DEP_1) | instskip(NEXT) | instid1(SALU_CYCLE_1)
	s_and_b32 s1, vcc_lo, s0
	s_and_saveexec_b32 s0, s1
	s_cbranch_execz .LBB66_169
; %bb.166:
	s_mov_b32 s1, exec_lo
	s_waitcnt vmcnt(0)
	v_cmpx_o_f32_e32 v17, v17
; %bb.167:
	v_cmp_lt_f32_e32 vcc_lo, v17, v7
	v_cndmask_b32_e32 v17, v7, v17, vcc_lo
; %bb.168:
	s_or_b32 exec_lo, exec_lo, s1
	s_delay_alu instid0(VALU_DEP_1)
	v_mov_b32_e32 v7, v17
.LBB66_169:
	s_or_b32 exec_lo, exec_lo, s0
	v_cmp_gt_u32_e32 vcc_lo, s13, v32
	s_delay_alu instid0(VALU_DEP_2) | instskip(NEXT) | instid1(VALU_DEP_1)
	v_cmp_o_f32_e64 s0, v7, v7
	s_and_b32 s1, vcc_lo, s0
	s_delay_alu instid0(SALU_CYCLE_1)
	s_and_saveexec_b32 s0, s1
	s_cbranch_execz .LBB66_173
; %bb.170:
	s_mov_b32 s1, exec_lo
	s_waitcnt vmcnt(0)
	v_cmpx_o_f32_e32 v16, v16
; %bb.171:
	v_cmp_lt_f32_e32 vcc_lo, v16, v7
	v_cndmask_b32_e32 v16, v7, v16, vcc_lo
; %bb.172:
	s_or_b32 exec_lo, exec_lo, s1
	s_delay_alu instid0(VALU_DEP_1)
	v_mov_b32_e32 v7, v16
.LBB66_173:
	s_or_b32 exec_lo, exec_lo, s0
	v_cmp_gt_u32_e32 vcc_lo, s13, v31
	s_delay_alu instid0(VALU_DEP_2) | instskip(NEXT) | instid1(VALU_DEP_1)
	v_cmp_o_f32_e64 s0, v7, v7
	s_and_b32 s1, vcc_lo, s0
	s_delay_alu instid0(SALU_CYCLE_1)
	;; [unrolled: 20-line block ×15, first 2 shown]
	s_and_saveexec_b32 s0, s1
	s_cbranch_execz .LBB66_229
; %bb.226:
	s_mov_b32 s1, exec_lo
	s_waitcnt vmcnt(0)
	v_cmpx_o_f32_e32 v1, v1
; %bb.227:
	v_cmp_lt_f32_e32 vcc_lo, v1, v7
	v_cndmask_b32_e32 v1, v7, v1, vcc_lo
; %bb.228:
	s_or_b32 exec_lo, exec_lo, s1
	s_delay_alu instid0(VALU_DEP_1)
	v_mov_b32_e32 v7, v1
.LBB66_229:
	s_or_b32 exec_lo, exec_lo, s0
	s_waitcnt vmcnt(0)
	s_delay_alu instid0(VALU_DEP_1) | instskip(SKIP_1) | instid1(VALU_DEP_1)
	v_mov_b32_dpp v1, v7 quad_perm:[1,0,3,2] row_mask:0xf bank_mask:0xf
	s_mov_b32 s0, exec_lo
	v_cmpx_o_f32_e32 v1, v1
	s_xor_b32 s0, exec_lo, s0
	s_cbranch_execz .LBB66_233
; %bb.230:
	s_mov_b32 s1, exec_lo
	v_cmpx_o_f32_e32 v7, v7
; %bb.231:
	v_cmp_lt_f32_e32 vcc_lo, v7, v1
	v_cndmask_b32_e32 v7, v1, v7, vcc_lo
; %bb.232:
	s_or_b32 exec_lo, exec_lo, s1
	s_delay_alu instid0(VALU_DEP_1)
	v_mov_b32_e32 v1, v7
.LBB66_233:
	s_or_b32 exec_lo, exec_lo, s0
	s_delay_alu instid0(VALU_DEP_1) | instskip(SKIP_1) | instid1(VALU_DEP_1)
	v_mov_b32_dpp v2, v1 quad_perm:[2,3,0,1] row_mask:0xf bank_mask:0xf
	s_mov_b32 s0, exec_lo
	v_cmpx_o_f32_e32 v2, v2
	s_cbranch_execz .LBB66_237
; %bb.234:
	s_mov_b32 s1, exec_lo
	v_cmpx_o_f32_e32 v1, v1
; %bb.235:
	v_cmp_lt_f32_e32 vcc_lo, v1, v2
	v_cndmask_b32_e32 v1, v2, v1, vcc_lo
; %bb.236:
	s_or_b32 exec_lo, exec_lo, s1
	s_delay_alu instid0(VALU_DEP_1)
	v_mov_b32_e32 v2, v1
.LBB66_237:
	s_or_b32 exec_lo, exec_lo, s0
	s_delay_alu instid0(VALU_DEP_1) | instskip(SKIP_1) | instid1(VALU_DEP_1)
	v_mov_b32_dpp v1, v2 row_ror:4 row_mask:0xf bank_mask:0xf
	s_mov_b32 s0, exec_lo
	v_cmpx_o_f32_e32 v1, v1
	s_cbranch_execz .LBB66_241
; %bb.238:
	s_mov_b32 s1, exec_lo
	v_cmpx_o_f32_e32 v2, v2
; %bb.239:
	v_cmp_lt_f32_e32 vcc_lo, v2, v1
	v_cndmask_b32_e32 v2, v1, v2, vcc_lo
; %bb.240:
	s_or_b32 exec_lo, exec_lo, s1
	s_delay_alu instid0(VALU_DEP_1)
	v_mov_b32_e32 v1, v2
.LBB66_241:
	s_or_b32 exec_lo, exec_lo, s0
	s_delay_alu instid0(VALU_DEP_1) | instskip(SKIP_1) | instid1(VALU_DEP_1)
	v_mov_b32_dpp v2, v1 row_ror:8 row_mask:0xf bank_mask:0xf
	s_mov_b32 s0, exec_lo
	v_cmpx_o_f32_e32 v2, v2
	s_cbranch_execz .LBB66_245
; %bb.242:
	s_mov_b32 s1, exec_lo
	v_cmpx_o_f32_e32 v1, v1
; %bb.243:
	v_cmp_lt_f32_e32 vcc_lo, v1, v2
	v_cndmask_b32_e32 v1, v2, v1, vcc_lo
; %bb.244:
	s_or_b32 exec_lo, exec_lo, s1
	s_delay_alu instid0(VALU_DEP_1)
	v_mov_b32_e32 v2, v1
.LBB66_245:
	s_or_b32 exec_lo, exec_lo, s0
	ds_swizzle_b32 v1, v2 offset:swizzle(BROADCAST,32,15)
	s_mov_b32 s0, exec_lo
	s_waitcnt lgkmcnt(0)
	v_cmpx_o_f32_e32 v1, v1
	s_cbranch_execz .LBB66_249
; %bb.246:
	s_mov_b32 s1, exec_lo
	v_cmpx_o_f32_e32 v2, v2
; %bb.247:
	v_cmp_lt_f32_e32 vcc_lo, v2, v1
	v_cndmask_b32_e32 v2, v1, v2, vcc_lo
; %bb.248:
	s_or_b32 exec_lo, exec_lo, s1
	s_delay_alu instid0(VALU_DEP_1)
	v_mov_b32_e32 v1, v2
.LBB66_249:
	s_or_b32 exec_lo, exec_lo, s0
	v_mov_b32_e32 v2, 0
	s_mov_b32 s0, exec_lo
	ds_bpermute_b32 v2, v2, v1 offset:124
	v_mbcnt_lo_u32_b32 v1, -1, 0
	s_delay_alu instid0(VALU_DEP_1)
	v_cmpx_eq_u32_e32 0, v1
	s_cbranch_execz .LBB66_251
; %bb.250:
	v_lshrrev_b32_e32 v3, 3, v0
	s_delay_alu instid0(VALU_DEP_1)
	v_and_b32_e32 v3, 28, v3
	s_waitcnt lgkmcnt(0)
	ds_store_b32 v3, v2
.LBB66_251:
	s_or_b32 exec_lo, exec_lo, s0
	s_delay_alu instid0(SALU_CYCLE_1)
	s_mov_b32 s0, exec_lo
	s_waitcnt lgkmcnt(0)
	s_barrier
	buffer_gl0_inv
	v_cmpx_gt_u32_e32 32, v0
	s_cbranch_execz .LBB66_265
; %bb.252:
	v_and_b32_e32 v3, 7, v1
	s_mov_b32 s1, exec_lo
	s_delay_alu instid0(VALU_DEP_1) | instskip(SKIP_3) | instid1(VALU_DEP_1)
	v_lshlrev_b32_e32 v2, 2, v3
	v_cmp_ne_u32_e32 vcc_lo, 7, v3
	ds_load_b32 v2, v2
	v_add_co_ci_u32_e32 v4, vcc_lo, 0, v1, vcc_lo
	v_lshlrev_b32_e32 v4, 2, v4
	s_waitcnt lgkmcnt(0)
	ds_bpermute_b32 v4, v4, v2
	v_cmpx_o_f32_e32 v2, v2
	s_cbranch_execz .LBB66_256
; %bb.253:
	s_mov_b32 s13, exec_lo
	s_waitcnt lgkmcnt(0)
	v_cmpx_o_f32_e32 v4, v4
; %bb.254:
	v_cmp_gt_f32_e32 vcc_lo, v2, v4
	v_cndmask_b32_e32 v4, v2, v4, vcc_lo
; %bb.255:
	s_or_b32 exec_lo, exec_lo, s13
	s_delay_alu instid0(VALU_DEP_1)
	v_mov_b32_e32 v2, v4
.LBB66_256:
	s_or_b32 exec_lo, exec_lo, s1
	v_cmp_gt_u32_e32 vcc_lo, 6, v3
	s_mov_b32 s1, exec_lo
	s_waitcnt lgkmcnt(0)
	v_cndmask_b32_e64 v4, 0, 1, vcc_lo
	s_delay_alu instid0(VALU_DEP_1) | instskip(NEXT) | instid1(VALU_DEP_1)
	v_lshlrev_b32_e32 v4, 1, v4
	v_add_lshl_u32 v4, v4, v1, 2
	ds_bpermute_b32 v4, v4, v2
	v_cmpx_o_f32_e32 v2, v2
	s_cbranch_execz .LBB66_260
; %bb.257:
	s_mov_b32 s13, exec_lo
	s_waitcnt lgkmcnt(0)
	v_cmpx_o_f32_e32 v4, v4
; %bb.258:
	v_cmp_gt_f32_e32 vcc_lo, v2, v4
	v_cndmask_b32_e32 v4, v2, v4, vcc_lo
; %bb.259:
	s_or_b32 exec_lo, exec_lo, s13
	s_delay_alu instid0(VALU_DEP_1)
	v_mov_b32_e32 v2, v4
.LBB66_260:
	s_or_b32 exec_lo, exec_lo, s1
	v_cmp_gt_u32_e32 vcc_lo, 4, v3
	s_mov_b32 s1, exec_lo
	v_cndmask_b32_e64 v3, 0, 1, vcc_lo
	s_delay_alu instid0(VALU_DEP_1) | instskip(NEXT) | instid1(VALU_DEP_1)
	v_lshlrev_b32_e32 v3, 2, v3
	v_add_lshl_u32 v1, v3, v1, 2
	ds_bpermute_b32 v1, v1, v2
	v_cmpx_o_f32_e32 v2, v2
	s_cbranch_execz .LBB66_264
; %bb.261:
	s_mov_b32 s13, exec_lo
	s_waitcnt lgkmcnt(0)
	v_cmpx_o_f32_e32 v1, v1
; %bb.262:
	v_cmp_gt_f32_e32 vcc_lo, v2, v1
	v_cndmask_b32_e32 v1, v2, v1, vcc_lo
; %bb.263:
	s_or_b32 exec_lo, exec_lo, s13
	s_delay_alu instid0(VALU_DEP_1)
	v_mov_b32_e32 v2, v1
.LBB66_264:
	s_or_b32 exec_lo, exec_lo, s1
.LBB66_265:
	s_delay_alu instid0(SALU_CYCLE_1)
	s_or_b32 exec_lo, exec_lo, s0
	s_branch .LBB66_364
.LBB66_266:
	s_sub_i32 s1, s2, s12
	s_mov_b32 s0, exec_lo
                                        ; implicit-def: $vgpr4
	v_cmpx_gt_u32_e64 s1, v0
	s_cbranch_execz .LBB66_276
; %bb.267:
	s_waitcnt lgkmcnt(0)
	v_add_nc_u32_e32 v1, s12, v0
	s_mov_b32 s12, exec_lo
	s_delay_alu instid0(VALU_DEP_1) | instskip(NEXT) | instid1(VALU_DEP_1)
	v_ashrrev_i32_e32 v2, 31, v1
	v_lshlrev_b64 v[2:3], 2, v[1:2]
	v_add_nc_u32_e32 v1, 0x100, v1
	s_delay_alu instid0(VALU_DEP_2) | instskip(NEXT) | instid1(VALU_DEP_3)
	v_add_co_u32 v2, vcc_lo, s4, v2
	v_add_co_ci_u32_e32 v3, vcc_lo, s5, v3, vcc_lo
	global_load_b32 v4, v[2:3], off
	v_cmpx_gt_i32_e64 s2, v1
	s_cbranch_execz .LBB66_275
; %bb.268:
	s_mov_b32 s13, 0
	s_set_inst_prefetch_distance 0x1
	s_branch .LBB66_271
	.p2align	6
.LBB66_269:                             ;   in Loop: Header=BB66_271 Depth=1
	s_or_b32 exec_lo, exec_lo, s16
	s_delay_alu instid0(VALU_DEP_1)
	v_mov_b32_e32 v4, v2
.LBB66_270:                             ;   in Loop: Header=BB66_271 Depth=1
	s_or_b32 exec_lo, exec_lo, s15
	v_add_nc_u32_e32 v1, 0x100, v1
	s_delay_alu instid0(VALU_DEP_1) | instskip(SKIP_1) | instid1(SALU_CYCLE_1)
	v_cmp_le_i32_e32 vcc_lo, s2, v1
	s_or_b32 s13, vcc_lo, s13
	s_and_not1_b32 exec_lo, exec_lo, s13
	s_cbranch_execz .LBB66_274
.LBB66_271:                             ; =>This Inner Loop Header: Depth=1
	s_mov_b32 s15, exec_lo
	s_waitcnt vmcnt(0)
	v_cmpx_o_f32_e32 v4, v4
	s_cbranch_execz .LBB66_270
; %bb.272:                              ;   in Loop: Header=BB66_271 Depth=1
	v_ashrrev_i32_e32 v2, 31, v1
	s_mov_b32 s16, exec_lo
	s_delay_alu instid0(VALU_DEP_1) | instskip(NEXT) | instid1(VALU_DEP_1)
	v_lshlrev_b64 v[2:3], 2, v[1:2]
	v_add_co_u32 v2, vcc_lo, s4, v2
	s_delay_alu instid0(VALU_DEP_2)
	v_add_co_ci_u32_e32 v3, vcc_lo, s5, v3, vcc_lo
	global_load_b32 v2, v[2:3], off
	s_waitcnt vmcnt(0)
	v_cmpx_o_f32_e32 v2, v2
	s_cbranch_execz .LBB66_269
; %bb.273:                              ;   in Loop: Header=BB66_271 Depth=1
	v_cmp_lt_f32_e32 vcc_lo, v2, v4
	v_cndmask_b32_e32 v2, v4, v2, vcc_lo
	s_branch .LBB66_269
.LBB66_274:
	s_set_inst_prefetch_distance 0x2
	s_or_b32 exec_lo, exec_lo, s13
.LBB66_275:
	s_delay_alu instid0(SALU_CYCLE_1)
	s_or_b32 exec_lo, exec_lo, s12
.LBB66_276:
	s_delay_alu instid0(SALU_CYCLE_1)
	s_or_b32 exec_lo, exec_lo, s0
	v_lshrrev_b32_e32 v3, 5, v0
	s_waitcnt lgkmcnt(0)
	v_mbcnt_lo_u32_b32 v1, -1, 0
	s_cmpk_lt_u32 s1, 0x100
	s_mov_b32 s0, -1
	s_cbranch_scc0 .LBB66_326
; %bb.277:
	s_delay_alu instid0(VALU_DEP_1) | instskip(SKIP_1) | instid1(VALU_DEP_1)
	v_cmp_ne_u32_e32 vcc_lo, 31, v1
	v_add_co_ci_u32_e32 v2, vcc_lo, 0, v1, vcc_lo
	v_lshlrev_b32_e32 v2, 2, v2
	s_waitcnt vmcnt(0)
	ds_bpermute_b32 v6, v2, v4
	v_and_b32_e32 v2, 0xe0, v0
	s_delay_alu instid0(VALU_DEP_1) | instskip(SKIP_1) | instid1(VALU_DEP_1)
	v_sub_nc_u32_e64 v5, s1, v2 clamp
	v_add_nc_u32_e32 v2, 1, v1
	v_cmp_lt_u32_e32 vcc_lo, v2, v5
	v_mov_b32_e32 v2, v4
	s_and_saveexec_b32 s0, vcc_lo
	s_cbranch_execz .LBB66_283
; %bb.278:
	v_mov_b32_e32 v2, v4
	s_mov_b32 s2, exec_lo
	v_cmpx_o_f32_e32 v4, v4
	s_cbranch_execz .LBB66_282
; %bb.279:
	s_mov_b32 s4, exec_lo
	s_waitcnt lgkmcnt(0)
	v_cmpx_o_f32_e32 v6, v6
; %bb.280:
	v_cmp_gt_f32_e32 vcc_lo, v4, v6
	v_cndmask_b32_e32 v6, v4, v6, vcc_lo
; %bb.281:
	s_or_b32 exec_lo, exec_lo, s4
	s_delay_alu instid0(VALU_DEP_1)
	v_mov_b32_e32 v2, v6
.LBB66_282:
	s_or_b32 exec_lo, exec_lo, s2
.LBB66_283:
	s_delay_alu instid0(SALU_CYCLE_1)
	s_or_b32 exec_lo, exec_lo, s0
	v_cmp_gt_u32_e32 vcc_lo, 30, v1
	v_add_nc_u32_e32 v7, 2, v1
	s_mov_b32 s0, exec_lo
	s_waitcnt lgkmcnt(0)
	v_cndmask_b32_e64 v6, 0, 1, vcc_lo
	s_delay_alu instid0(VALU_DEP_1) | instskip(NEXT) | instid1(VALU_DEP_1)
	v_lshlrev_b32_e32 v6, 1, v6
	v_add_lshl_u32 v6, v6, v1, 2
	ds_bpermute_b32 v6, v6, v2
	v_cmpx_lt_u32_e64 v7, v5
	s_cbranch_execz .LBB66_289
; %bb.284:
	s_mov_b32 s2, exec_lo
	v_cmpx_o_f32_e32 v2, v2
	s_cbranch_execz .LBB66_288
; %bb.285:
	s_mov_b32 s4, exec_lo
	s_waitcnt lgkmcnt(0)
	v_cmpx_o_f32_e32 v6, v6
; %bb.286:
	v_cmp_gt_f32_e32 vcc_lo, v2, v6
	v_cndmask_b32_e32 v6, v2, v6, vcc_lo
; %bb.287:
	s_or_b32 exec_lo, exec_lo, s4
	s_delay_alu instid0(VALU_DEP_1)
	v_mov_b32_e32 v2, v6
.LBB66_288:
	s_or_b32 exec_lo, exec_lo, s2
.LBB66_289:
	s_delay_alu instid0(SALU_CYCLE_1)
	s_or_b32 exec_lo, exec_lo, s0
	v_cmp_gt_u32_e32 vcc_lo, 28, v1
	v_add_nc_u32_e32 v7, 4, v1
	s_mov_b32 s0, exec_lo
	s_waitcnt lgkmcnt(0)
	v_cndmask_b32_e64 v6, 0, 1, vcc_lo
	s_delay_alu instid0(VALU_DEP_1) | instskip(NEXT) | instid1(VALU_DEP_1)
	v_lshlrev_b32_e32 v6, 2, v6
	v_add_lshl_u32 v6, v6, v1, 2
	ds_bpermute_b32 v6, v6, v2
	v_cmpx_lt_u32_e64 v7, v5
	s_cbranch_execz .LBB66_295
; %bb.290:
	s_mov_b32 s2, exec_lo
	v_cmpx_o_f32_e32 v2, v2
	s_cbranch_execz .LBB66_294
; %bb.291:
	s_mov_b32 s4, exec_lo
	s_waitcnt lgkmcnt(0)
	v_cmpx_o_f32_e32 v6, v6
; %bb.292:
	v_cmp_gt_f32_e32 vcc_lo, v2, v6
	v_cndmask_b32_e32 v6, v2, v6, vcc_lo
; %bb.293:
	s_or_b32 exec_lo, exec_lo, s4
	s_delay_alu instid0(VALU_DEP_1)
	v_mov_b32_e32 v2, v6
.LBB66_294:
	s_or_b32 exec_lo, exec_lo, s2
.LBB66_295:
	;; [unrolled: 31-line block ×3, first 2 shown]
	s_delay_alu instid0(SALU_CYCLE_1)
	s_or_b32 exec_lo, exec_lo, s0
	v_cmp_gt_u32_e32 vcc_lo, 16, v1
	v_add_nc_u32_e32 v7, 16, v1
	v_cmp_o_f32_e64 s0, v2, v2
	s_waitcnt lgkmcnt(0)
	v_cndmask_b32_e64 v6, 0, 1, vcc_lo
	s_delay_alu instid0(VALU_DEP_3) | instskip(NEXT) | instid1(VALU_DEP_2)
	v_cmp_lt_u32_e32 vcc_lo, v7, v5
	v_lshlrev_b32_e32 v6, 4, v6
	s_and_b32 s2, vcc_lo, s0
	s_delay_alu instid0(VALU_DEP_1)
	v_add_lshl_u32 v6, v6, v1, 2
	ds_bpermute_b32 v6, v6, v2
	s_and_saveexec_b32 s0, s2
	s_cbranch_execz .LBB66_305
; %bb.302:
	s_mov_b32 s2, exec_lo
	s_waitcnt lgkmcnt(0)
	v_cmpx_o_f32_e32 v6, v6
; %bb.303:
	v_cmp_gt_f32_e32 vcc_lo, v2, v6
	v_cndmask_b32_e32 v6, v2, v6, vcc_lo
; %bb.304:
	s_or_b32 exec_lo, exec_lo, s2
	s_delay_alu instid0(VALU_DEP_1)
	v_mov_b32_e32 v2, v6
.LBB66_305:
	s_or_b32 exec_lo, exec_lo, s0
	s_delay_alu instid0(SALU_CYCLE_1)
	s_mov_b32 s0, exec_lo
	v_cmpx_eq_u32_e32 0, v1
	s_cbranch_execz .LBB66_307
; %bb.306:
	v_lshlrev_b32_e32 v5, 2, v3
	ds_store_b32 v5, v2
.LBB66_307:
	s_or_b32 exec_lo, exec_lo, s0
	s_delay_alu instid0(SALU_CYCLE_1)
	s_mov_b32 s2, exec_lo
	s_waitcnt lgkmcnt(0)
	s_barrier
	buffer_gl0_inv
	v_cmpx_gt_u32_e32 8, v0
	s_cbranch_execz .LBB66_325
; %bb.308:
	v_lshlrev_b32_e32 v2, 2, v1
	v_and_b32_e32 v5, 7, v1
	s_add_i32 s1, s1, 31
	s_delay_alu instid0(SALU_CYCLE_1)
	s_lshr_b32 s0, s1, 5
	ds_load_b32 v2, v2
	v_cmp_ne_u32_e32 vcc_lo, 7, v5
	v_add_nc_u32_e32 v7, 1, v5
	s_mov_b32 s1, exec_lo
	v_add_co_ci_u32_e32 v6, vcc_lo, 0, v1, vcc_lo
	s_delay_alu instid0(VALU_DEP_1)
	v_lshlrev_b32_e32 v6, 2, v6
	s_waitcnt lgkmcnt(0)
	ds_bpermute_b32 v6, v6, v2
	v_cmpx_gt_u32_e64 s0, v7
	s_cbranch_execz .LBB66_314
; %bb.309:
	s_mov_b32 s4, exec_lo
	v_cmpx_o_f32_e32 v2, v2
	s_cbranch_execz .LBB66_313
; %bb.310:
	s_mov_b32 s5, exec_lo
	s_waitcnt lgkmcnt(0)
	v_cmpx_o_f32_e32 v6, v6
; %bb.311:
	v_cmp_gt_f32_e32 vcc_lo, v2, v6
	v_cndmask_b32_e32 v6, v2, v6, vcc_lo
; %bb.312:
	s_or_b32 exec_lo, exec_lo, s5
	s_delay_alu instid0(VALU_DEP_1)
	v_mov_b32_e32 v2, v6
.LBB66_313:
	s_or_b32 exec_lo, exec_lo, s4
.LBB66_314:
	s_delay_alu instid0(SALU_CYCLE_1)
	s_or_b32 exec_lo, exec_lo, s1
	v_cmp_gt_u32_e32 vcc_lo, 6, v5
	v_add_nc_u32_e32 v7, 2, v5
	s_mov_b32 s1, exec_lo
	s_waitcnt lgkmcnt(0)
	v_cndmask_b32_e64 v6, 0, 1, vcc_lo
	s_delay_alu instid0(VALU_DEP_1) | instskip(NEXT) | instid1(VALU_DEP_1)
	v_lshlrev_b32_e32 v6, 1, v6
	v_add_lshl_u32 v6, v6, v1, 2
	ds_bpermute_b32 v6, v6, v2
	v_cmpx_gt_u32_e64 s0, v7
	s_cbranch_execz .LBB66_320
; %bb.315:
	s_mov_b32 s4, exec_lo
	v_cmpx_o_f32_e32 v2, v2
	s_cbranch_execz .LBB66_319
; %bb.316:
	s_mov_b32 s5, exec_lo
	s_waitcnt lgkmcnt(0)
	v_cmpx_o_f32_e32 v6, v6
; %bb.317:
	v_cmp_gt_f32_e32 vcc_lo, v2, v6
	v_cndmask_b32_e32 v6, v2, v6, vcc_lo
; %bb.318:
	s_or_b32 exec_lo, exec_lo, s5
	s_delay_alu instid0(VALU_DEP_1)
	v_mov_b32_e32 v2, v6
.LBB66_319:
	s_or_b32 exec_lo, exec_lo, s4
.LBB66_320:
	s_delay_alu instid0(SALU_CYCLE_1) | instskip(SKIP_4) | instid1(VALU_DEP_2)
	s_or_b32 exec_lo, exec_lo, s1
	v_cmp_gt_u32_e32 vcc_lo, 4, v5
	v_add_nc_u32_e32 v5, 4, v5
	s_waitcnt lgkmcnt(0)
	v_cndmask_b32_e64 v6, 0, 1, vcc_lo
	v_cmp_gt_u32_e32 vcc_lo, s0, v5
	v_cmp_o_f32_e64 s0, v2, v2
	s_delay_alu instid0(VALU_DEP_3) | instskip(NEXT) | instid1(VALU_DEP_2)
	v_lshlrev_b32_e32 v6, 2, v6
	s_and_b32 s1, vcc_lo, s0
	s_delay_alu instid0(VALU_DEP_1)
	v_add_lshl_u32 v6, v6, v1, 2
	ds_bpermute_b32 v6, v6, v2
	s_and_saveexec_b32 s0, s1
	s_cbranch_execz .LBB66_324
; %bb.321:
	s_mov_b32 s1, exec_lo
	s_waitcnt lgkmcnt(0)
	v_cmpx_o_f32_e32 v6, v6
; %bb.322:
	v_cmp_gt_f32_e32 vcc_lo, v2, v6
	v_cndmask_b32_e32 v6, v2, v6, vcc_lo
; %bb.323:
	s_or_b32 exec_lo, exec_lo, s1
	s_delay_alu instid0(VALU_DEP_1)
	v_mov_b32_e32 v2, v6
.LBB66_324:
	s_or_b32 exec_lo, exec_lo, s0
.LBB66_325:
	s_delay_alu instid0(SALU_CYCLE_1)
	s_or_b32 exec_lo, exec_lo, s2
	s_branch .LBB66_364
.LBB66_326:
                                        ; implicit-def: $vgpr2
	s_and_b32 vcc_lo, exec_lo, s0
	s_cbranch_vccz .LBB66_364
; %bb.327:
	s_waitcnt vmcnt(0)
	v_mov_b32_dpp v2, v4 quad_perm:[1,0,3,2] row_mask:0xf bank_mask:0xf
	s_mov_b32 s0, exec_lo
	s_delay_alu instid0(VALU_DEP_1)
	v_cmpx_o_f32_e32 v2, v2
	s_cbranch_execz .LBB66_331
; %bb.328:
	s_mov_b32 s1, exec_lo
	v_cmpx_o_f32_e32 v4, v4
; %bb.329:
	v_cmp_lt_f32_e32 vcc_lo, v4, v2
	v_cndmask_b32_e32 v4, v2, v4, vcc_lo
; %bb.330:
	s_or_b32 exec_lo, exec_lo, s1
	s_delay_alu instid0(VALU_DEP_1)
	v_mov_b32_e32 v2, v4
.LBB66_331:
	s_or_b32 exec_lo, exec_lo, s0
	s_delay_alu instid0(VALU_DEP_1) | instskip(SKIP_1) | instid1(VALU_DEP_1)
	v_mov_b32_dpp v4, v2 quad_perm:[2,3,0,1] row_mask:0xf bank_mask:0xf
	s_mov_b32 s0, exec_lo
	v_cmpx_o_f32_e32 v4, v4
	s_cbranch_execz .LBB66_335
; %bb.332:
	s_mov_b32 s1, exec_lo
	v_cmpx_o_f32_e32 v2, v2
; %bb.333:
	v_cmp_lt_f32_e32 vcc_lo, v2, v4
	v_cndmask_b32_e32 v2, v4, v2, vcc_lo
; %bb.334:
	s_or_b32 exec_lo, exec_lo, s1
	s_delay_alu instid0(VALU_DEP_1)
	v_mov_b32_e32 v4, v2
.LBB66_335:
	s_or_b32 exec_lo, exec_lo, s0
	s_delay_alu instid0(VALU_DEP_1) | instskip(SKIP_1) | instid1(VALU_DEP_1)
	v_mov_b32_dpp v2, v4 row_ror:4 row_mask:0xf bank_mask:0xf
	s_mov_b32 s0, exec_lo
	v_cmpx_o_f32_e32 v2, v2
	s_cbranch_execz .LBB66_339
; %bb.336:
	s_mov_b32 s1, exec_lo
	v_cmpx_o_f32_e32 v4, v4
; %bb.337:
	v_cmp_lt_f32_e32 vcc_lo, v4, v2
	v_cndmask_b32_e32 v4, v2, v4, vcc_lo
; %bb.338:
	s_or_b32 exec_lo, exec_lo, s1
	s_delay_alu instid0(VALU_DEP_1)
	v_mov_b32_e32 v2, v4
.LBB66_339:
	s_or_b32 exec_lo, exec_lo, s0
	s_delay_alu instid0(VALU_DEP_1) | instskip(SKIP_1) | instid1(VALU_DEP_1)
	v_mov_b32_dpp v4, v2 row_ror:8 row_mask:0xf bank_mask:0xf
	s_mov_b32 s0, exec_lo
	v_cmpx_o_f32_e32 v4, v4
	s_cbranch_execz .LBB66_343
; %bb.340:
	s_mov_b32 s1, exec_lo
	v_cmpx_o_f32_e32 v2, v2
; %bb.341:
	v_cmp_lt_f32_e32 vcc_lo, v2, v4
	v_cndmask_b32_e32 v2, v4, v2, vcc_lo
; %bb.342:
	s_or_b32 exec_lo, exec_lo, s1
	s_delay_alu instid0(VALU_DEP_1)
	v_mov_b32_e32 v4, v2
.LBB66_343:
	s_or_b32 exec_lo, exec_lo, s0
	ds_swizzle_b32 v2, v4 offset:swizzle(BROADCAST,32,15)
	s_mov_b32 s0, exec_lo
	s_waitcnt lgkmcnt(0)
	v_cmpx_o_f32_e32 v2, v2
	s_cbranch_execz .LBB66_347
; %bb.344:
	s_mov_b32 s1, exec_lo
	v_cmpx_o_f32_e32 v4, v4
; %bb.345:
	v_cmp_lt_f32_e32 vcc_lo, v4, v2
	v_cndmask_b32_e32 v4, v2, v4, vcc_lo
; %bb.346:
	s_or_b32 exec_lo, exec_lo, s1
	s_delay_alu instid0(VALU_DEP_1)
	v_mov_b32_e32 v2, v4
.LBB66_347:
	s_or_b32 exec_lo, exec_lo, s0
	v_mov_b32_e32 v4, 0
	s_mov_b32 s0, exec_lo
	ds_bpermute_b32 v2, v4, v2 offset:124
	v_cmpx_eq_u32_e32 0, v1
	s_cbranch_execz .LBB66_349
; %bb.348:
	v_lshlrev_b32_e32 v3, 2, v3
	s_waitcnt lgkmcnt(0)
	ds_store_b32 v3, v2
.LBB66_349:
	s_or_b32 exec_lo, exec_lo, s0
	s_delay_alu instid0(SALU_CYCLE_1)
	s_mov_b32 s0, exec_lo
	s_waitcnt lgkmcnt(0)
	s_barrier
	buffer_gl0_inv
	v_cmpx_gt_u32_e32 32, v0
	s_cbranch_execz .LBB66_363
; %bb.350:
	v_and_b32_e32 v3, 7, v1
	s_mov_b32 s1, exec_lo
	s_delay_alu instid0(VALU_DEP_1) | instskip(SKIP_3) | instid1(VALU_DEP_1)
	v_lshlrev_b32_e32 v2, 2, v3
	v_cmp_ne_u32_e32 vcc_lo, 7, v3
	ds_load_b32 v2, v2
	v_add_co_ci_u32_e32 v4, vcc_lo, 0, v1, vcc_lo
	v_lshlrev_b32_e32 v4, 2, v4
	s_waitcnt lgkmcnt(0)
	ds_bpermute_b32 v4, v4, v2
	v_cmpx_o_f32_e32 v2, v2
	s_cbranch_execz .LBB66_354
; %bb.351:
	s_mov_b32 s2, exec_lo
	s_waitcnt lgkmcnt(0)
	v_cmpx_o_f32_e32 v4, v4
; %bb.352:
	v_cmp_gt_f32_e32 vcc_lo, v2, v4
	v_cndmask_b32_e32 v4, v2, v4, vcc_lo
; %bb.353:
	s_or_b32 exec_lo, exec_lo, s2
	s_delay_alu instid0(VALU_DEP_1)
	v_mov_b32_e32 v2, v4
.LBB66_354:
	s_or_b32 exec_lo, exec_lo, s1
	v_cmp_gt_u32_e32 vcc_lo, 6, v3
	s_mov_b32 s1, exec_lo
	s_waitcnt lgkmcnt(0)
	v_cndmask_b32_e64 v4, 0, 1, vcc_lo
	s_delay_alu instid0(VALU_DEP_1) | instskip(NEXT) | instid1(VALU_DEP_1)
	v_lshlrev_b32_e32 v4, 1, v4
	v_add_lshl_u32 v4, v4, v1, 2
	ds_bpermute_b32 v4, v4, v2
	v_cmpx_o_f32_e32 v2, v2
	s_cbranch_execz .LBB66_358
; %bb.355:
	s_mov_b32 s2, exec_lo
	s_waitcnt lgkmcnt(0)
	v_cmpx_o_f32_e32 v4, v4
; %bb.356:
	v_cmp_gt_f32_e32 vcc_lo, v2, v4
	v_cndmask_b32_e32 v4, v2, v4, vcc_lo
; %bb.357:
	s_or_b32 exec_lo, exec_lo, s2
	s_delay_alu instid0(VALU_DEP_1)
	v_mov_b32_e32 v2, v4
.LBB66_358:
	s_or_b32 exec_lo, exec_lo, s1
	v_cmp_gt_u32_e32 vcc_lo, 4, v3
	s_mov_b32 s1, exec_lo
	v_cndmask_b32_e64 v3, 0, 1, vcc_lo
	s_delay_alu instid0(VALU_DEP_1) | instskip(NEXT) | instid1(VALU_DEP_1)
	v_lshlrev_b32_e32 v3, 2, v3
	v_add_lshl_u32 v1, v3, v1, 2
	ds_bpermute_b32 v1, v1, v2
	v_cmpx_o_f32_e32 v2, v2
	s_cbranch_execz .LBB66_362
; %bb.359:
	s_mov_b32 s2, exec_lo
	s_waitcnt lgkmcnt(0)
	v_cmpx_o_f32_e32 v1, v1
; %bb.360:
	v_cmp_gt_f32_e32 vcc_lo, v2, v1
	v_cndmask_b32_e32 v1, v2, v1, vcc_lo
; %bb.361:
	s_or_b32 exec_lo, exec_lo, s2
	s_delay_alu instid0(VALU_DEP_1)
	v_mov_b32_e32 v2, v1
.LBB66_362:
	s_or_b32 exec_lo, exec_lo, s1
.LBB66_363:
	s_delay_alu instid0(SALU_CYCLE_1)
	s_or_b32 exec_lo, exec_lo, s0
.LBB66_364:
	s_delay_alu instid0(SALU_CYCLE_1)
	s_mov_b32 s0, exec_lo
                                        ; implicit-def: $vgpr1
	v_cmpx_eq_u32_e32 0, v0
	s_cbranch_execz .LBB66_370
; %bb.365:
	v_cmp_u_f32_e64 s1, s14, s14
	s_waitcnt lgkmcnt(0)
	v_mov_b32_e32 v1, s14
	s_delay_alu instid0(VALU_DEP_2)
	s_and_b32 vcc_lo, exec_lo, s1
	s_cbranch_vccnz .LBB66_369
; %bb.366:
	s_mov_b32 s1, exec_lo
	v_cmpx_o_f32_e32 v2, v2
; %bb.367:
	v_cmp_gt_f32_e32 vcc_lo, s14, v2
	v_cndmask_b32_e32 v2, s14, v2, vcc_lo
; %bb.368:
	s_or_b32 exec_lo, exec_lo, s1
	s_delay_alu instid0(VALU_DEP_1)
	v_mov_b32_e32 v1, v2
.LBB66_369:
	s_or_b32 s3, s3, exec_lo
.LBB66_370:
	s_or_b32 exec_lo, exec_lo, s0
	s_and_saveexec_b32 s0, s3
	s_cbranch_execz .LBB66_372
.LBB66_371:
	s_add_u32 s0, s6, s8
	v_mov_b32_e32 v0, 0
	s_addc_u32 s1, s7, s9
	s_add_u32 s0, s0, s10
	s_addc_u32 s1, s1, s11
	s_waitcnt lgkmcnt(0)
	global_store_b32 v0, v1, s[0:1]
.LBB66_372:
	s_nop 0
	s_sendmsg sendmsg(MSG_DEALLOC_VGPRS)
	s_endpgm
	.section	.rodata,"a",@progbits
	.p2align	6, 0x0
	.amdhsa_kernel _ZN7rocprim17ROCPRIM_400000_NS6detail17trampoline_kernelINS0_14default_configENS1_32segmented_reduce_config_selectorIfEEZNS1_21segmented_reduce_implIS3_PKfPfPKifN6hipcub16HIPCUB_304000_NS6detail27convert_result_type_wrapperIS8_S9_N2at6native12_GLOBAL__N_19CustomMinEEEEE10hipError_tPvRmT0_T1_jT2_SQ_T4_T3_P12ihipStream_tbEUlT_E_NS1_11comp_targetILNS1_3genE9ELNS1_11target_archE1100ELNS1_3gpuE3ELNS1_3repE0EEENS1_30default_config_static_selectorELNS0_4arch9wavefront6targetE0EEEvSP_
		.amdhsa_group_segment_fixed_size 32
		.amdhsa_private_segment_fixed_size 0
		.amdhsa_kernarg_size 48
		.amdhsa_user_sgpr_count 15
		.amdhsa_user_sgpr_dispatch_ptr 0
		.amdhsa_user_sgpr_queue_ptr 0
		.amdhsa_user_sgpr_kernarg_segment_ptr 1
		.amdhsa_user_sgpr_dispatch_id 0
		.amdhsa_user_sgpr_private_segment_size 0
		.amdhsa_wavefront_size32 1
		.amdhsa_uses_dynamic_stack 0
		.amdhsa_enable_private_segment 0
		.amdhsa_system_sgpr_workgroup_id_x 1
		.amdhsa_system_sgpr_workgroup_id_y 0
		.amdhsa_system_sgpr_workgroup_id_z 0
		.amdhsa_system_sgpr_workgroup_info 0
		.amdhsa_system_vgpr_workitem_id 0
		.amdhsa_next_free_vgpr 33
		.amdhsa_next_free_sgpr 18
		.amdhsa_reserve_vcc 1
		.amdhsa_float_round_mode_32 0
		.amdhsa_float_round_mode_16_64 0
		.amdhsa_float_denorm_mode_32 3
		.amdhsa_float_denorm_mode_16_64 3
		.amdhsa_dx10_clamp 1
		.amdhsa_ieee_mode 1
		.amdhsa_fp16_overflow 0
		.amdhsa_workgroup_processor_mode 1
		.amdhsa_memory_ordered 1
		.amdhsa_forward_progress 0
		.amdhsa_shared_vgpr_count 0
		.amdhsa_exception_fp_ieee_invalid_op 0
		.amdhsa_exception_fp_denorm_src 0
		.amdhsa_exception_fp_ieee_div_zero 0
		.amdhsa_exception_fp_ieee_overflow 0
		.amdhsa_exception_fp_ieee_underflow 0
		.amdhsa_exception_fp_ieee_inexact 0
		.amdhsa_exception_int_div_zero 0
	.end_amdhsa_kernel
	.section	.text._ZN7rocprim17ROCPRIM_400000_NS6detail17trampoline_kernelINS0_14default_configENS1_32segmented_reduce_config_selectorIfEEZNS1_21segmented_reduce_implIS3_PKfPfPKifN6hipcub16HIPCUB_304000_NS6detail27convert_result_type_wrapperIS8_S9_N2at6native12_GLOBAL__N_19CustomMinEEEEE10hipError_tPvRmT0_T1_jT2_SQ_T4_T3_P12ihipStream_tbEUlT_E_NS1_11comp_targetILNS1_3genE9ELNS1_11target_archE1100ELNS1_3gpuE3ELNS1_3repE0EEENS1_30default_config_static_selectorELNS0_4arch9wavefront6targetE0EEEvSP_,"axG",@progbits,_ZN7rocprim17ROCPRIM_400000_NS6detail17trampoline_kernelINS0_14default_configENS1_32segmented_reduce_config_selectorIfEEZNS1_21segmented_reduce_implIS3_PKfPfPKifN6hipcub16HIPCUB_304000_NS6detail27convert_result_type_wrapperIS8_S9_N2at6native12_GLOBAL__N_19CustomMinEEEEE10hipError_tPvRmT0_T1_jT2_SQ_T4_T3_P12ihipStream_tbEUlT_E_NS1_11comp_targetILNS1_3genE9ELNS1_11target_archE1100ELNS1_3gpuE3ELNS1_3repE0EEENS1_30default_config_static_selectorELNS0_4arch9wavefront6targetE0EEEvSP_,comdat
.Lfunc_end66:
	.size	_ZN7rocprim17ROCPRIM_400000_NS6detail17trampoline_kernelINS0_14default_configENS1_32segmented_reduce_config_selectorIfEEZNS1_21segmented_reduce_implIS3_PKfPfPKifN6hipcub16HIPCUB_304000_NS6detail27convert_result_type_wrapperIS8_S9_N2at6native12_GLOBAL__N_19CustomMinEEEEE10hipError_tPvRmT0_T1_jT2_SQ_T4_T3_P12ihipStream_tbEUlT_E_NS1_11comp_targetILNS1_3genE9ELNS1_11target_archE1100ELNS1_3gpuE3ELNS1_3repE0EEENS1_30default_config_static_selectorELNS0_4arch9wavefront6targetE0EEEvSP_, .Lfunc_end66-_ZN7rocprim17ROCPRIM_400000_NS6detail17trampoline_kernelINS0_14default_configENS1_32segmented_reduce_config_selectorIfEEZNS1_21segmented_reduce_implIS3_PKfPfPKifN6hipcub16HIPCUB_304000_NS6detail27convert_result_type_wrapperIS8_S9_N2at6native12_GLOBAL__N_19CustomMinEEEEE10hipError_tPvRmT0_T1_jT2_SQ_T4_T3_P12ihipStream_tbEUlT_E_NS1_11comp_targetILNS1_3genE9ELNS1_11target_archE1100ELNS1_3gpuE3ELNS1_3repE0EEENS1_30default_config_static_selectorELNS0_4arch9wavefront6targetE0EEEvSP_
                                        ; -- End function
	.section	.AMDGPU.csdata,"",@progbits
; Kernel info:
; codeLenInByte = 7000
; NumSgprs: 20
; NumVgprs: 33
; ScratchSize: 0
; MemoryBound: 0
; FloatMode: 240
; IeeeMode: 1
; LDSByteSize: 32 bytes/workgroup (compile time only)
; SGPRBlocks: 2
; VGPRBlocks: 4
; NumSGPRsForWavesPerEU: 20
; NumVGPRsForWavesPerEU: 33
; Occupancy: 16
; WaveLimiterHint : 1
; COMPUTE_PGM_RSRC2:SCRATCH_EN: 0
; COMPUTE_PGM_RSRC2:USER_SGPR: 15
; COMPUTE_PGM_RSRC2:TRAP_HANDLER: 0
; COMPUTE_PGM_RSRC2:TGID_X_EN: 1
; COMPUTE_PGM_RSRC2:TGID_Y_EN: 0
; COMPUTE_PGM_RSRC2:TGID_Z_EN: 0
; COMPUTE_PGM_RSRC2:TIDIG_COMP_CNT: 0
	.section	.text._ZN7rocprim17ROCPRIM_400000_NS6detail17trampoline_kernelINS0_14default_configENS1_32segmented_reduce_config_selectorIfEEZNS1_21segmented_reduce_implIS3_PKfPfPKifN6hipcub16HIPCUB_304000_NS6detail27convert_result_type_wrapperIS8_S9_N2at6native12_GLOBAL__N_19CustomMinEEEEE10hipError_tPvRmT0_T1_jT2_SQ_T4_T3_P12ihipStream_tbEUlT_E_NS1_11comp_targetILNS1_3genE8ELNS1_11target_archE1030ELNS1_3gpuE2ELNS1_3repE0EEENS1_30default_config_static_selectorELNS0_4arch9wavefront6targetE0EEEvSP_,"axG",@progbits,_ZN7rocprim17ROCPRIM_400000_NS6detail17trampoline_kernelINS0_14default_configENS1_32segmented_reduce_config_selectorIfEEZNS1_21segmented_reduce_implIS3_PKfPfPKifN6hipcub16HIPCUB_304000_NS6detail27convert_result_type_wrapperIS8_S9_N2at6native12_GLOBAL__N_19CustomMinEEEEE10hipError_tPvRmT0_T1_jT2_SQ_T4_T3_P12ihipStream_tbEUlT_E_NS1_11comp_targetILNS1_3genE8ELNS1_11target_archE1030ELNS1_3gpuE2ELNS1_3repE0EEENS1_30default_config_static_selectorELNS0_4arch9wavefront6targetE0EEEvSP_,comdat
	.globl	_ZN7rocprim17ROCPRIM_400000_NS6detail17trampoline_kernelINS0_14default_configENS1_32segmented_reduce_config_selectorIfEEZNS1_21segmented_reduce_implIS3_PKfPfPKifN6hipcub16HIPCUB_304000_NS6detail27convert_result_type_wrapperIS8_S9_N2at6native12_GLOBAL__N_19CustomMinEEEEE10hipError_tPvRmT0_T1_jT2_SQ_T4_T3_P12ihipStream_tbEUlT_E_NS1_11comp_targetILNS1_3genE8ELNS1_11target_archE1030ELNS1_3gpuE2ELNS1_3repE0EEENS1_30default_config_static_selectorELNS0_4arch9wavefront6targetE0EEEvSP_ ; -- Begin function _ZN7rocprim17ROCPRIM_400000_NS6detail17trampoline_kernelINS0_14default_configENS1_32segmented_reduce_config_selectorIfEEZNS1_21segmented_reduce_implIS3_PKfPfPKifN6hipcub16HIPCUB_304000_NS6detail27convert_result_type_wrapperIS8_S9_N2at6native12_GLOBAL__N_19CustomMinEEEEE10hipError_tPvRmT0_T1_jT2_SQ_T4_T3_P12ihipStream_tbEUlT_E_NS1_11comp_targetILNS1_3genE8ELNS1_11target_archE1030ELNS1_3gpuE2ELNS1_3repE0EEENS1_30default_config_static_selectorELNS0_4arch9wavefront6targetE0EEEvSP_
	.p2align	8
	.type	_ZN7rocprim17ROCPRIM_400000_NS6detail17trampoline_kernelINS0_14default_configENS1_32segmented_reduce_config_selectorIfEEZNS1_21segmented_reduce_implIS3_PKfPfPKifN6hipcub16HIPCUB_304000_NS6detail27convert_result_type_wrapperIS8_S9_N2at6native12_GLOBAL__N_19CustomMinEEEEE10hipError_tPvRmT0_T1_jT2_SQ_T4_T3_P12ihipStream_tbEUlT_E_NS1_11comp_targetILNS1_3genE8ELNS1_11target_archE1030ELNS1_3gpuE2ELNS1_3repE0EEENS1_30default_config_static_selectorELNS0_4arch9wavefront6targetE0EEEvSP_,@function
_ZN7rocprim17ROCPRIM_400000_NS6detail17trampoline_kernelINS0_14default_configENS1_32segmented_reduce_config_selectorIfEEZNS1_21segmented_reduce_implIS3_PKfPfPKifN6hipcub16HIPCUB_304000_NS6detail27convert_result_type_wrapperIS8_S9_N2at6native12_GLOBAL__N_19CustomMinEEEEE10hipError_tPvRmT0_T1_jT2_SQ_T4_T3_P12ihipStream_tbEUlT_E_NS1_11comp_targetILNS1_3genE8ELNS1_11target_archE1030ELNS1_3gpuE2ELNS1_3repE0EEENS1_30default_config_static_selectorELNS0_4arch9wavefront6targetE0EEEvSP_: ; @_ZN7rocprim17ROCPRIM_400000_NS6detail17trampoline_kernelINS0_14default_configENS1_32segmented_reduce_config_selectorIfEEZNS1_21segmented_reduce_implIS3_PKfPfPKifN6hipcub16HIPCUB_304000_NS6detail27convert_result_type_wrapperIS8_S9_N2at6native12_GLOBAL__N_19CustomMinEEEEE10hipError_tPvRmT0_T1_jT2_SQ_T4_T3_P12ihipStream_tbEUlT_E_NS1_11comp_targetILNS1_3genE8ELNS1_11target_archE1030ELNS1_3gpuE2ELNS1_3repE0EEENS1_30default_config_static_selectorELNS0_4arch9wavefront6targetE0EEEvSP_
; %bb.0:
	.section	.rodata,"a",@progbits
	.p2align	6, 0x0
	.amdhsa_kernel _ZN7rocprim17ROCPRIM_400000_NS6detail17trampoline_kernelINS0_14default_configENS1_32segmented_reduce_config_selectorIfEEZNS1_21segmented_reduce_implIS3_PKfPfPKifN6hipcub16HIPCUB_304000_NS6detail27convert_result_type_wrapperIS8_S9_N2at6native12_GLOBAL__N_19CustomMinEEEEE10hipError_tPvRmT0_T1_jT2_SQ_T4_T3_P12ihipStream_tbEUlT_E_NS1_11comp_targetILNS1_3genE8ELNS1_11target_archE1030ELNS1_3gpuE2ELNS1_3repE0EEENS1_30default_config_static_selectorELNS0_4arch9wavefront6targetE0EEEvSP_
		.amdhsa_group_segment_fixed_size 0
		.amdhsa_private_segment_fixed_size 0
		.amdhsa_kernarg_size 48
		.amdhsa_user_sgpr_count 15
		.amdhsa_user_sgpr_dispatch_ptr 0
		.amdhsa_user_sgpr_queue_ptr 0
		.amdhsa_user_sgpr_kernarg_segment_ptr 1
		.amdhsa_user_sgpr_dispatch_id 0
		.amdhsa_user_sgpr_private_segment_size 0
		.amdhsa_wavefront_size32 1
		.amdhsa_uses_dynamic_stack 0
		.amdhsa_enable_private_segment 0
		.amdhsa_system_sgpr_workgroup_id_x 1
		.amdhsa_system_sgpr_workgroup_id_y 0
		.amdhsa_system_sgpr_workgroup_id_z 0
		.amdhsa_system_sgpr_workgroup_info 0
		.amdhsa_system_vgpr_workitem_id 0
		.amdhsa_next_free_vgpr 1
		.amdhsa_next_free_sgpr 1
		.amdhsa_reserve_vcc 0
		.amdhsa_float_round_mode_32 0
		.amdhsa_float_round_mode_16_64 0
		.amdhsa_float_denorm_mode_32 3
		.amdhsa_float_denorm_mode_16_64 3
		.amdhsa_dx10_clamp 1
		.amdhsa_ieee_mode 1
		.amdhsa_fp16_overflow 0
		.amdhsa_workgroup_processor_mode 1
		.amdhsa_memory_ordered 1
		.amdhsa_forward_progress 0
		.amdhsa_shared_vgpr_count 0
		.amdhsa_exception_fp_ieee_invalid_op 0
		.amdhsa_exception_fp_denorm_src 0
		.amdhsa_exception_fp_ieee_div_zero 0
		.amdhsa_exception_fp_ieee_overflow 0
		.amdhsa_exception_fp_ieee_underflow 0
		.amdhsa_exception_fp_ieee_inexact 0
		.amdhsa_exception_int_div_zero 0
	.end_amdhsa_kernel
	.section	.text._ZN7rocprim17ROCPRIM_400000_NS6detail17trampoline_kernelINS0_14default_configENS1_32segmented_reduce_config_selectorIfEEZNS1_21segmented_reduce_implIS3_PKfPfPKifN6hipcub16HIPCUB_304000_NS6detail27convert_result_type_wrapperIS8_S9_N2at6native12_GLOBAL__N_19CustomMinEEEEE10hipError_tPvRmT0_T1_jT2_SQ_T4_T3_P12ihipStream_tbEUlT_E_NS1_11comp_targetILNS1_3genE8ELNS1_11target_archE1030ELNS1_3gpuE2ELNS1_3repE0EEENS1_30default_config_static_selectorELNS0_4arch9wavefront6targetE0EEEvSP_,"axG",@progbits,_ZN7rocprim17ROCPRIM_400000_NS6detail17trampoline_kernelINS0_14default_configENS1_32segmented_reduce_config_selectorIfEEZNS1_21segmented_reduce_implIS3_PKfPfPKifN6hipcub16HIPCUB_304000_NS6detail27convert_result_type_wrapperIS8_S9_N2at6native12_GLOBAL__N_19CustomMinEEEEE10hipError_tPvRmT0_T1_jT2_SQ_T4_T3_P12ihipStream_tbEUlT_E_NS1_11comp_targetILNS1_3genE8ELNS1_11target_archE1030ELNS1_3gpuE2ELNS1_3repE0EEENS1_30default_config_static_selectorELNS0_4arch9wavefront6targetE0EEEvSP_,comdat
.Lfunc_end67:
	.size	_ZN7rocprim17ROCPRIM_400000_NS6detail17trampoline_kernelINS0_14default_configENS1_32segmented_reduce_config_selectorIfEEZNS1_21segmented_reduce_implIS3_PKfPfPKifN6hipcub16HIPCUB_304000_NS6detail27convert_result_type_wrapperIS8_S9_N2at6native12_GLOBAL__N_19CustomMinEEEEE10hipError_tPvRmT0_T1_jT2_SQ_T4_T3_P12ihipStream_tbEUlT_E_NS1_11comp_targetILNS1_3genE8ELNS1_11target_archE1030ELNS1_3gpuE2ELNS1_3repE0EEENS1_30default_config_static_selectorELNS0_4arch9wavefront6targetE0EEEvSP_, .Lfunc_end67-_ZN7rocprim17ROCPRIM_400000_NS6detail17trampoline_kernelINS0_14default_configENS1_32segmented_reduce_config_selectorIfEEZNS1_21segmented_reduce_implIS3_PKfPfPKifN6hipcub16HIPCUB_304000_NS6detail27convert_result_type_wrapperIS8_S9_N2at6native12_GLOBAL__N_19CustomMinEEEEE10hipError_tPvRmT0_T1_jT2_SQ_T4_T3_P12ihipStream_tbEUlT_E_NS1_11comp_targetILNS1_3genE8ELNS1_11target_archE1030ELNS1_3gpuE2ELNS1_3repE0EEENS1_30default_config_static_selectorELNS0_4arch9wavefront6targetE0EEEvSP_
                                        ; -- End function
	.section	.AMDGPU.csdata,"",@progbits
; Kernel info:
; codeLenInByte = 0
; NumSgprs: 0
; NumVgprs: 0
; ScratchSize: 0
; MemoryBound: 0
; FloatMode: 240
; IeeeMode: 1
; LDSByteSize: 0 bytes/workgroup (compile time only)
; SGPRBlocks: 0
; VGPRBlocks: 0
; NumSGPRsForWavesPerEU: 1
; NumVGPRsForWavesPerEU: 1
; Occupancy: 16
; WaveLimiterHint : 0
; COMPUTE_PGM_RSRC2:SCRATCH_EN: 0
; COMPUTE_PGM_RSRC2:USER_SGPR: 15
; COMPUTE_PGM_RSRC2:TRAP_HANDLER: 0
; COMPUTE_PGM_RSRC2:TGID_X_EN: 1
; COMPUTE_PGM_RSRC2:TGID_Y_EN: 0
; COMPUTE_PGM_RSRC2:TGID_Z_EN: 0
; COMPUTE_PGM_RSRC2:TIDIG_COMP_CNT: 0
	.section	.text._ZN7rocprim17ROCPRIM_400000_NS6detail17trampoline_kernelINS0_14default_configENS1_32segmented_reduce_config_selectorIfEEZNS1_21segmented_reduce_implIS3_PKfPfPKifN6hipcub16HIPCUB_304000_NS6detail27convert_result_type_wrapperIS8_S9_N2at6native12_GLOBAL__N_110CustomProdEEEEE10hipError_tPvRmT0_T1_jT2_SQ_T4_T3_P12ihipStream_tbEUlT_E_NS1_11comp_targetILNS1_3genE0ELNS1_11target_archE4294967295ELNS1_3gpuE0ELNS1_3repE0EEENS1_30default_config_static_selectorELNS0_4arch9wavefront6targetE0EEEvSP_,"axG",@progbits,_ZN7rocprim17ROCPRIM_400000_NS6detail17trampoline_kernelINS0_14default_configENS1_32segmented_reduce_config_selectorIfEEZNS1_21segmented_reduce_implIS3_PKfPfPKifN6hipcub16HIPCUB_304000_NS6detail27convert_result_type_wrapperIS8_S9_N2at6native12_GLOBAL__N_110CustomProdEEEEE10hipError_tPvRmT0_T1_jT2_SQ_T4_T3_P12ihipStream_tbEUlT_E_NS1_11comp_targetILNS1_3genE0ELNS1_11target_archE4294967295ELNS1_3gpuE0ELNS1_3repE0EEENS1_30default_config_static_selectorELNS0_4arch9wavefront6targetE0EEEvSP_,comdat
	.globl	_ZN7rocprim17ROCPRIM_400000_NS6detail17trampoline_kernelINS0_14default_configENS1_32segmented_reduce_config_selectorIfEEZNS1_21segmented_reduce_implIS3_PKfPfPKifN6hipcub16HIPCUB_304000_NS6detail27convert_result_type_wrapperIS8_S9_N2at6native12_GLOBAL__N_110CustomProdEEEEE10hipError_tPvRmT0_T1_jT2_SQ_T4_T3_P12ihipStream_tbEUlT_E_NS1_11comp_targetILNS1_3genE0ELNS1_11target_archE4294967295ELNS1_3gpuE0ELNS1_3repE0EEENS1_30default_config_static_selectorELNS0_4arch9wavefront6targetE0EEEvSP_ ; -- Begin function _ZN7rocprim17ROCPRIM_400000_NS6detail17trampoline_kernelINS0_14default_configENS1_32segmented_reduce_config_selectorIfEEZNS1_21segmented_reduce_implIS3_PKfPfPKifN6hipcub16HIPCUB_304000_NS6detail27convert_result_type_wrapperIS8_S9_N2at6native12_GLOBAL__N_110CustomProdEEEEE10hipError_tPvRmT0_T1_jT2_SQ_T4_T3_P12ihipStream_tbEUlT_E_NS1_11comp_targetILNS1_3genE0ELNS1_11target_archE4294967295ELNS1_3gpuE0ELNS1_3repE0EEENS1_30default_config_static_selectorELNS0_4arch9wavefront6targetE0EEEvSP_
	.p2align	8
	.type	_ZN7rocprim17ROCPRIM_400000_NS6detail17trampoline_kernelINS0_14default_configENS1_32segmented_reduce_config_selectorIfEEZNS1_21segmented_reduce_implIS3_PKfPfPKifN6hipcub16HIPCUB_304000_NS6detail27convert_result_type_wrapperIS8_S9_N2at6native12_GLOBAL__N_110CustomProdEEEEE10hipError_tPvRmT0_T1_jT2_SQ_T4_T3_P12ihipStream_tbEUlT_E_NS1_11comp_targetILNS1_3genE0ELNS1_11target_archE4294967295ELNS1_3gpuE0ELNS1_3repE0EEENS1_30default_config_static_selectorELNS0_4arch9wavefront6targetE0EEEvSP_,@function
_ZN7rocprim17ROCPRIM_400000_NS6detail17trampoline_kernelINS0_14default_configENS1_32segmented_reduce_config_selectorIfEEZNS1_21segmented_reduce_implIS3_PKfPfPKifN6hipcub16HIPCUB_304000_NS6detail27convert_result_type_wrapperIS8_S9_N2at6native12_GLOBAL__N_110CustomProdEEEEE10hipError_tPvRmT0_T1_jT2_SQ_T4_T3_P12ihipStream_tbEUlT_E_NS1_11comp_targetILNS1_3genE0ELNS1_11target_archE4294967295ELNS1_3gpuE0ELNS1_3repE0EEENS1_30default_config_static_selectorELNS0_4arch9wavefront6targetE0EEEvSP_: ; @_ZN7rocprim17ROCPRIM_400000_NS6detail17trampoline_kernelINS0_14default_configENS1_32segmented_reduce_config_selectorIfEEZNS1_21segmented_reduce_implIS3_PKfPfPKifN6hipcub16HIPCUB_304000_NS6detail27convert_result_type_wrapperIS8_S9_N2at6native12_GLOBAL__N_110CustomProdEEEEE10hipError_tPvRmT0_T1_jT2_SQ_T4_T3_P12ihipStream_tbEUlT_E_NS1_11comp_targetILNS1_3genE0ELNS1_11target_archE4294967295ELNS1_3gpuE0ELNS1_3repE0EEENS1_30default_config_static_selectorELNS0_4arch9wavefront6targetE0EEEvSP_
; %bb.0:
	.section	.rodata,"a",@progbits
	.p2align	6, 0x0
	.amdhsa_kernel _ZN7rocprim17ROCPRIM_400000_NS6detail17trampoline_kernelINS0_14default_configENS1_32segmented_reduce_config_selectorIfEEZNS1_21segmented_reduce_implIS3_PKfPfPKifN6hipcub16HIPCUB_304000_NS6detail27convert_result_type_wrapperIS8_S9_N2at6native12_GLOBAL__N_110CustomProdEEEEE10hipError_tPvRmT0_T1_jT2_SQ_T4_T3_P12ihipStream_tbEUlT_E_NS1_11comp_targetILNS1_3genE0ELNS1_11target_archE4294967295ELNS1_3gpuE0ELNS1_3repE0EEENS1_30default_config_static_selectorELNS0_4arch9wavefront6targetE0EEEvSP_
		.amdhsa_group_segment_fixed_size 0
		.amdhsa_private_segment_fixed_size 0
		.amdhsa_kernarg_size 48
		.amdhsa_user_sgpr_count 15
		.amdhsa_user_sgpr_dispatch_ptr 0
		.amdhsa_user_sgpr_queue_ptr 0
		.amdhsa_user_sgpr_kernarg_segment_ptr 1
		.amdhsa_user_sgpr_dispatch_id 0
		.amdhsa_user_sgpr_private_segment_size 0
		.amdhsa_wavefront_size32 1
		.amdhsa_uses_dynamic_stack 0
		.amdhsa_enable_private_segment 0
		.amdhsa_system_sgpr_workgroup_id_x 1
		.amdhsa_system_sgpr_workgroup_id_y 0
		.amdhsa_system_sgpr_workgroup_id_z 0
		.amdhsa_system_sgpr_workgroup_info 0
		.amdhsa_system_vgpr_workitem_id 0
		.amdhsa_next_free_vgpr 1
		.amdhsa_next_free_sgpr 1
		.amdhsa_reserve_vcc 0
		.amdhsa_float_round_mode_32 0
		.amdhsa_float_round_mode_16_64 0
		.amdhsa_float_denorm_mode_32 3
		.amdhsa_float_denorm_mode_16_64 3
		.amdhsa_dx10_clamp 1
		.amdhsa_ieee_mode 1
		.amdhsa_fp16_overflow 0
		.amdhsa_workgroup_processor_mode 1
		.amdhsa_memory_ordered 1
		.amdhsa_forward_progress 0
		.amdhsa_shared_vgpr_count 0
		.amdhsa_exception_fp_ieee_invalid_op 0
		.amdhsa_exception_fp_denorm_src 0
		.amdhsa_exception_fp_ieee_div_zero 0
		.amdhsa_exception_fp_ieee_overflow 0
		.amdhsa_exception_fp_ieee_underflow 0
		.amdhsa_exception_fp_ieee_inexact 0
		.amdhsa_exception_int_div_zero 0
	.end_amdhsa_kernel
	.section	.text._ZN7rocprim17ROCPRIM_400000_NS6detail17trampoline_kernelINS0_14default_configENS1_32segmented_reduce_config_selectorIfEEZNS1_21segmented_reduce_implIS3_PKfPfPKifN6hipcub16HIPCUB_304000_NS6detail27convert_result_type_wrapperIS8_S9_N2at6native12_GLOBAL__N_110CustomProdEEEEE10hipError_tPvRmT0_T1_jT2_SQ_T4_T3_P12ihipStream_tbEUlT_E_NS1_11comp_targetILNS1_3genE0ELNS1_11target_archE4294967295ELNS1_3gpuE0ELNS1_3repE0EEENS1_30default_config_static_selectorELNS0_4arch9wavefront6targetE0EEEvSP_,"axG",@progbits,_ZN7rocprim17ROCPRIM_400000_NS6detail17trampoline_kernelINS0_14default_configENS1_32segmented_reduce_config_selectorIfEEZNS1_21segmented_reduce_implIS3_PKfPfPKifN6hipcub16HIPCUB_304000_NS6detail27convert_result_type_wrapperIS8_S9_N2at6native12_GLOBAL__N_110CustomProdEEEEE10hipError_tPvRmT0_T1_jT2_SQ_T4_T3_P12ihipStream_tbEUlT_E_NS1_11comp_targetILNS1_3genE0ELNS1_11target_archE4294967295ELNS1_3gpuE0ELNS1_3repE0EEENS1_30default_config_static_selectorELNS0_4arch9wavefront6targetE0EEEvSP_,comdat
.Lfunc_end68:
	.size	_ZN7rocprim17ROCPRIM_400000_NS6detail17trampoline_kernelINS0_14default_configENS1_32segmented_reduce_config_selectorIfEEZNS1_21segmented_reduce_implIS3_PKfPfPKifN6hipcub16HIPCUB_304000_NS6detail27convert_result_type_wrapperIS8_S9_N2at6native12_GLOBAL__N_110CustomProdEEEEE10hipError_tPvRmT0_T1_jT2_SQ_T4_T3_P12ihipStream_tbEUlT_E_NS1_11comp_targetILNS1_3genE0ELNS1_11target_archE4294967295ELNS1_3gpuE0ELNS1_3repE0EEENS1_30default_config_static_selectorELNS0_4arch9wavefront6targetE0EEEvSP_, .Lfunc_end68-_ZN7rocprim17ROCPRIM_400000_NS6detail17trampoline_kernelINS0_14default_configENS1_32segmented_reduce_config_selectorIfEEZNS1_21segmented_reduce_implIS3_PKfPfPKifN6hipcub16HIPCUB_304000_NS6detail27convert_result_type_wrapperIS8_S9_N2at6native12_GLOBAL__N_110CustomProdEEEEE10hipError_tPvRmT0_T1_jT2_SQ_T4_T3_P12ihipStream_tbEUlT_E_NS1_11comp_targetILNS1_3genE0ELNS1_11target_archE4294967295ELNS1_3gpuE0ELNS1_3repE0EEENS1_30default_config_static_selectorELNS0_4arch9wavefront6targetE0EEEvSP_
                                        ; -- End function
	.section	.AMDGPU.csdata,"",@progbits
; Kernel info:
; codeLenInByte = 0
; NumSgprs: 0
; NumVgprs: 0
; ScratchSize: 0
; MemoryBound: 0
; FloatMode: 240
; IeeeMode: 1
; LDSByteSize: 0 bytes/workgroup (compile time only)
; SGPRBlocks: 0
; VGPRBlocks: 0
; NumSGPRsForWavesPerEU: 1
; NumVGPRsForWavesPerEU: 1
; Occupancy: 16
; WaveLimiterHint : 0
; COMPUTE_PGM_RSRC2:SCRATCH_EN: 0
; COMPUTE_PGM_RSRC2:USER_SGPR: 15
; COMPUTE_PGM_RSRC2:TRAP_HANDLER: 0
; COMPUTE_PGM_RSRC2:TGID_X_EN: 1
; COMPUTE_PGM_RSRC2:TGID_Y_EN: 0
; COMPUTE_PGM_RSRC2:TGID_Z_EN: 0
; COMPUTE_PGM_RSRC2:TIDIG_COMP_CNT: 0
	.section	.text._ZN7rocprim17ROCPRIM_400000_NS6detail17trampoline_kernelINS0_14default_configENS1_32segmented_reduce_config_selectorIfEEZNS1_21segmented_reduce_implIS3_PKfPfPKifN6hipcub16HIPCUB_304000_NS6detail27convert_result_type_wrapperIS8_S9_N2at6native12_GLOBAL__N_110CustomProdEEEEE10hipError_tPvRmT0_T1_jT2_SQ_T4_T3_P12ihipStream_tbEUlT_E_NS1_11comp_targetILNS1_3genE5ELNS1_11target_archE942ELNS1_3gpuE9ELNS1_3repE0EEENS1_30default_config_static_selectorELNS0_4arch9wavefront6targetE0EEEvSP_,"axG",@progbits,_ZN7rocprim17ROCPRIM_400000_NS6detail17trampoline_kernelINS0_14default_configENS1_32segmented_reduce_config_selectorIfEEZNS1_21segmented_reduce_implIS3_PKfPfPKifN6hipcub16HIPCUB_304000_NS6detail27convert_result_type_wrapperIS8_S9_N2at6native12_GLOBAL__N_110CustomProdEEEEE10hipError_tPvRmT0_T1_jT2_SQ_T4_T3_P12ihipStream_tbEUlT_E_NS1_11comp_targetILNS1_3genE5ELNS1_11target_archE942ELNS1_3gpuE9ELNS1_3repE0EEENS1_30default_config_static_selectorELNS0_4arch9wavefront6targetE0EEEvSP_,comdat
	.globl	_ZN7rocprim17ROCPRIM_400000_NS6detail17trampoline_kernelINS0_14default_configENS1_32segmented_reduce_config_selectorIfEEZNS1_21segmented_reduce_implIS3_PKfPfPKifN6hipcub16HIPCUB_304000_NS6detail27convert_result_type_wrapperIS8_S9_N2at6native12_GLOBAL__N_110CustomProdEEEEE10hipError_tPvRmT0_T1_jT2_SQ_T4_T3_P12ihipStream_tbEUlT_E_NS1_11comp_targetILNS1_3genE5ELNS1_11target_archE942ELNS1_3gpuE9ELNS1_3repE0EEENS1_30default_config_static_selectorELNS0_4arch9wavefront6targetE0EEEvSP_ ; -- Begin function _ZN7rocprim17ROCPRIM_400000_NS6detail17trampoline_kernelINS0_14default_configENS1_32segmented_reduce_config_selectorIfEEZNS1_21segmented_reduce_implIS3_PKfPfPKifN6hipcub16HIPCUB_304000_NS6detail27convert_result_type_wrapperIS8_S9_N2at6native12_GLOBAL__N_110CustomProdEEEEE10hipError_tPvRmT0_T1_jT2_SQ_T4_T3_P12ihipStream_tbEUlT_E_NS1_11comp_targetILNS1_3genE5ELNS1_11target_archE942ELNS1_3gpuE9ELNS1_3repE0EEENS1_30default_config_static_selectorELNS0_4arch9wavefront6targetE0EEEvSP_
	.p2align	8
	.type	_ZN7rocprim17ROCPRIM_400000_NS6detail17trampoline_kernelINS0_14default_configENS1_32segmented_reduce_config_selectorIfEEZNS1_21segmented_reduce_implIS3_PKfPfPKifN6hipcub16HIPCUB_304000_NS6detail27convert_result_type_wrapperIS8_S9_N2at6native12_GLOBAL__N_110CustomProdEEEEE10hipError_tPvRmT0_T1_jT2_SQ_T4_T3_P12ihipStream_tbEUlT_E_NS1_11comp_targetILNS1_3genE5ELNS1_11target_archE942ELNS1_3gpuE9ELNS1_3repE0EEENS1_30default_config_static_selectorELNS0_4arch9wavefront6targetE0EEEvSP_,@function
_ZN7rocprim17ROCPRIM_400000_NS6detail17trampoline_kernelINS0_14default_configENS1_32segmented_reduce_config_selectorIfEEZNS1_21segmented_reduce_implIS3_PKfPfPKifN6hipcub16HIPCUB_304000_NS6detail27convert_result_type_wrapperIS8_S9_N2at6native12_GLOBAL__N_110CustomProdEEEEE10hipError_tPvRmT0_T1_jT2_SQ_T4_T3_P12ihipStream_tbEUlT_E_NS1_11comp_targetILNS1_3genE5ELNS1_11target_archE942ELNS1_3gpuE9ELNS1_3repE0EEENS1_30default_config_static_selectorELNS0_4arch9wavefront6targetE0EEEvSP_: ; @_ZN7rocprim17ROCPRIM_400000_NS6detail17trampoline_kernelINS0_14default_configENS1_32segmented_reduce_config_selectorIfEEZNS1_21segmented_reduce_implIS3_PKfPfPKifN6hipcub16HIPCUB_304000_NS6detail27convert_result_type_wrapperIS8_S9_N2at6native12_GLOBAL__N_110CustomProdEEEEE10hipError_tPvRmT0_T1_jT2_SQ_T4_T3_P12ihipStream_tbEUlT_E_NS1_11comp_targetILNS1_3genE5ELNS1_11target_archE942ELNS1_3gpuE9ELNS1_3repE0EEENS1_30default_config_static_selectorELNS0_4arch9wavefront6targetE0EEEvSP_
; %bb.0:
	.section	.rodata,"a",@progbits
	.p2align	6, 0x0
	.amdhsa_kernel _ZN7rocprim17ROCPRIM_400000_NS6detail17trampoline_kernelINS0_14default_configENS1_32segmented_reduce_config_selectorIfEEZNS1_21segmented_reduce_implIS3_PKfPfPKifN6hipcub16HIPCUB_304000_NS6detail27convert_result_type_wrapperIS8_S9_N2at6native12_GLOBAL__N_110CustomProdEEEEE10hipError_tPvRmT0_T1_jT2_SQ_T4_T3_P12ihipStream_tbEUlT_E_NS1_11comp_targetILNS1_3genE5ELNS1_11target_archE942ELNS1_3gpuE9ELNS1_3repE0EEENS1_30default_config_static_selectorELNS0_4arch9wavefront6targetE0EEEvSP_
		.amdhsa_group_segment_fixed_size 0
		.amdhsa_private_segment_fixed_size 0
		.amdhsa_kernarg_size 48
		.amdhsa_user_sgpr_count 15
		.amdhsa_user_sgpr_dispatch_ptr 0
		.amdhsa_user_sgpr_queue_ptr 0
		.amdhsa_user_sgpr_kernarg_segment_ptr 1
		.amdhsa_user_sgpr_dispatch_id 0
		.amdhsa_user_sgpr_private_segment_size 0
		.amdhsa_wavefront_size32 1
		.amdhsa_uses_dynamic_stack 0
		.amdhsa_enable_private_segment 0
		.amdhsa_system_sgpr_workgroup_id_x 1
		.amdhsa_system_sgpr_workgroup_id_y 0
		.amdhsa_system_sgpr_workgroup_id_z 0
		.amdhsa_system_sgpr_workgroup_info 0
		.amdhsa_system_vgpr_workitem_id 0
		.amdhsa_next_free_vgpr 1
		.amdhsa_next_free_sgpr 1
		.amdhsa_reserve_vcc 0
		.amdhsa_float_round_mode_32 0
		.amdhsa_float_round_mode_16_64 0
		.amdhsa_float_denorm_mode_32 3
		.amdhsa_float_denorm_mode_16_64 3
		.amdhsa_dx10_clamp 1
		.amdhsa_ieee_mode 1
		.amdhsa_fp16_overflow 0
		.amdhsa_workgroup_processor_mode 1
		.amdhsa_memory_ordered 1
		.amdhsa_forward_progress 0
		.amdhsa_shared_vgpr_count 0
		.amdhsa_exception_fp_ieee_invalid_op 0
		.amdhsa_exception_fp_denorm_src 0
		.amdhsa_exception_fp_ieee_div_zero 0
		.amdhsa_exception_fp_ieee_overflow 0
		.amdhsa_exception_fp_ieee_underflow 0
		.amdhsa_exception_fp_ieee_inexact 0
		.amdhsa_exception_int_div_zero 0
	.end_amdhsa_kernel
	.section	.text._ZN7rocprim17ROCPRIM_400000_NS6detail17trampoline_kernelINS0_14default_configENS1_32segmented_reduce_config_selectorIfEEZNS1_21segmented_reduce_implIS3_PKfPfPKifN6hipcub16HIPCUB_304000_NS6detail27convert_result_type_wrapperIS8_S9_N2at6native12_GLOBAL__N_110CustomProdEEEEE10hipError_tPvRmT0_T1_jT2_SQ_T4_T3_P12ihipStream_tbEUlT_E_NS1_11comp_targetILNS1_3genE5ELNS1_11target_archE942ELNS1_3gpuE9ELNS1_3repE0EEENS1_30default_config_static_selectorELNS0_4arch9wavefront6targetE0EEEvSP_,"axG",@progbits,_ZN7rocprim17ROCPRIM_400000_NS6detail17trampoline_kernelINS0_14default_configENS1_32segmented_reduce_config_selectorIfEEZNS1_21segmented_reduce_implIS3_PKfPfPKifN6hipcub16HIPCUB_304000_NS6detail27convert_result_type_wrapperIS8_S9_N2at6native12_GLOBAL__N_110CustomProdEEEEE10hipError_tPvRmT0_T1_jT2_SQ_T4_T3_P12ihipStream_tbEUlT_E_NS1_11comp_targetILNS1_3genE5ELNS1_11target_archE942ELNS1_3gpuE9ELNS1_3repE0EEENS1_30default_config_static_selectorELNS0_4arch9wavefront6targetE0EEEvSP_,comdat
.Lfunc_end69:
	.size	_ZN7rocprim17ROCPRIM_400000_NS6detail17trampoline_kernelINS0_14default_configENS1_32segmented_reduce_config_selectorIfEEZNS1_21segmented_reduce_implIS3_PKfPfPKifN6hipcub16HIPCUB_304000_NS6detail27convert_result_type_wrapperIS8_S9_N2at6native12_GLOBAL__N_110CustomProdEEEEE10hipError_tPvRmT0_T1_jT2_SQ_T4_T3_P12ihipStream_tbEUlT_E_NS1_11comp_targetILNS1_3genE5ELNS1_11target_archE942ELNS1_3gpuE9ELNS1_3repE0EEENS1_30default_config_static_selectorELNS0_4arch9wavefront6targetE0EEEvSP_, .Lfunc_end69-_ZN7rocprim17ROCPRIM_400000_NS6detail17trampoline_kernelINS0_14default_configENS1_32segmented_reduce_config_selectorIfEEZNS1_21segmented_reduce_implIS3_PKfPfPKifN6hipcub16HIPCUB_304000_NS6detail27convert_result_type_wrapperIS8_S9_N2at6native12_GLOBAL__N_110CustomProdEEEEE10hipError_tPvRmT0_T1_jT2_SQ_T4_T3_P12ihipStream_tbEUlT_E_NS1_11comp_targetILNS1_3genE5ELNS1_11target_archE942ELNS1_3gpuE9ELNS1_3repE0EEENS1_30default_config_static_selectorELNS0_4arch9wavefront6targetE0EEEvSP_
                                        ; -- End function
	.section	.AMDGPU.csdata,"",@progbits
; Kernel info:
; codeLenInByte = 0
; NumSgprs: 0
; NumVgprs: 0
; ScratchSize: 0
; MemoryBound: 0
; FloatMode: 240
; IeeeMode: 1
; LDSByteSize: 0 bytes/workgroup (compile time only)
; SGPRBlocks: 0
; VGPRBlocks: 0
; NumSGPRsForWavesPerEU: 1
; NumVGPRsForWavesPerEU: 1
; Occupancy: 16
; WaveLimiterHint : 0
; COMPUTE_PGM_RSRC2:SCRATCH_EN: 0
; COMPUTE_PGM_RSRC2:USER_SGPR: 15
; COMPUTE_PGM_RSRC2:TRAP_HANDLER: 0
; COMPUTE_PGM_RSRC2:TGID_X_EN: 1
; COMPUTE_PGM_RSRC2:TGID_Y_EN: 0
; COMPUTE_PGM_RSRC2:TGID_Z_EN: 0
; COMPUTE_PGM_RSRC2:TIDIG_COMP_CNT: 0
	.section	.text._ZN7rocprim17ROCPRIM_400000_NS6detail17trampoline_kernelINS0_14default_configENS1_32segmented_reduce_config_selectorIfEEZNS1_21segmented_reduce_implIS3_PKfPfPKifN6hipcub16HIPCUB_304000_NS6detail27convert_result_type_wrapperIS8_S9_N2at6native12_GLOBAL__N_110CustomProdEEEEE10hipError_tPvRmT0_T1_jT2_SQ_T4_T3_P12ihipStream_tbEUlT_E_NS1_11comp_targetILNS1_3genE10ELNS1_11target_archE1201ELNS1_3gpuE5ELNS1_3repE0EEENS1_30default_config_static_selectorELNS0_4arch9wavefront6targetE0EEEvSP_,"axG",@progbits,_ZN7rocprim17ROCPRIM_400000_NS6detail17trampoline_kernelINS0_14default_configENS1_32segmented_reduce_config_selectorIfEEZNS1_21segmented_reduce_implIS3_PKfPfPKifN6hipcub16HIPCUB_304000_NS6detail27convert_result_type_wrapperIS8_S9_N2at6native12_GLOBAL__N_110CustomProdEEEEE10hipError_tPvRmT0_T1_jT2_SQ_T4_T3_P12ihipStream_tbEUlT_E_NS1_11comp_targetILNS1_3genE10ELNS1_11target_archE1201ELNS1_3gpuE5ELNS1_3repE0EEENS1_30default_config_static_selectorELNS0_4arch9wavefront6targetE0EEEvSP_,comdat
	.globl	_ZN7rocprim17ROCPRIM_400000_NS6detail17trampoline_kernelINS0_14default_configENS1_32segmented_reduce_config_selectorIfEEZNS1_21segmented_reduce_implIS3_PKfPfPKifN6hipcub16HIPCUB_304000_NS6detail27convert_result_type_wrapperIS8_S9_N2at6native12_GLOBAL__N_110CustomProdEEEEE10hipError_tPvRmT0_T1_jT2_SQ_T4_T3_P12ihipStream_tbEUlT_E_NS1_11comp_targetILNS1_3genE10ELNS1_11target_archE1201ELNS1_3gpuE5ELNS1_3repE0EEENS1_30default_config_static_selectorELNS0_4arch9wavefront6targetE0EEEvSP_ ; -- Begin function _ZN7rocprim17ROCPRIM_400000_NS6detail17trampoline_kernelINS0_14default_configENS1_32segmented_reduce_config_selectorIfEEZNS1_21segmented_reduce_implIS3_PKfPfPKifN6hipcub16HIPCUB_304000_NS6detail27convert_result_type_wrapperIS8_S9_N2at6native12_GLOBAL__N_110CustomProdEEEEE10hipError_tPvRmT0_T1_jT2_SQ_T4_T3_P12ihipStream_tbEUlT_E_NS1_11comp_targetILNS1_3genE10ELNS1_11target_archE1201ELNS1_3gpuE5ELNS1_3repE0EEENS1_30default_config_static_selectorELNS0_4arch9wavefront6targetE0EEEvSP_
	.p2align	8
	.type	_ZN7rocprim17ROCPRIM_400000_NS6detail17trampoline_kernelINS0_14default_configENS1_32segmented_reduce_config_selectorIfEEZNS1_21segmented_reduce_implIS3_PKfPfPKifN6hipcub16HIPCUB_304000_NS6detail27convert_result_type_wrapperIS8_S9_N2at6native12_GLOBAL__N_110CustomProdEEEEE10hipError_tPvRmT0_T1_jT2_SQ_T4_T3_P12ihipStream_tbEUlT_E_NS1_11comp_targetILNS1_3genE10ELNS1_11target_archE1201ELNS1_3gpuE5ELNS1_3repE0EEENS1_30default_config_static_selectorELNS0_4arch9wavefront6targetE0EEEvSP_,@function
_ZN7rocprim17ROCPRIM_400000_NS6detail17trampoline_kernelINS0_14default_configENS1_32segmented_reduce_config_selectorIfEEZNS1_21segmented_reduce_implIS3_PKfPfPKifN6hipcub16HIPCUB_304000_NS6detail27convert_result_type_wrapperIS8_S9_N2at6native12_GLOBAL__N_110CustomProdEEEEE10hipError_tPvRmT0_T1_jT2_SQ_T4_T3_P12ihipStream_tbEUlT_E_NS1_11comp_targetILNS1_3genE10ELNS1_11target_archE1201ELNS1_3gpuE5ELNS1_3repE0EEENS1_30default_config_static_selectorELNS0_4arch9wavefront6targetE0EEEvSP_: ; @_ZN7rocprim17ROCPRIM_400000_NS6detail17trampoline_kernelINS0_14default_configENS1_32segmented_reduce_config_selectorIfEEZNS1_21segmented_reduce_implIS3_PKfPfPKifN6hipcub16HIPCUB_304000_NS6detail27convert_result_type_wrapperIS8_S9_N2at6native12_GLOBAL__N_110CustomProdEEEEE10hipError_tPvRmT0_T1_jT2_SQ_T4_T3_P12ihipStream_tbEUlT_E_NS1_11comp_targetILNS1_3genE10ELNS1_11target_archE1201ELNS1_3gpuE5ELNS1_3repE0EEENS1_30default_config_static_selectorELNS0_4arch9wavefront6targetE0EEEvSP_
; %bb.0:
	.section	.rodata,"a",@progbits
	.p2align	6, 0x0
	.amdhsa_kernel _ZN7rocprim17ROCPRIM_400000_NS6detail17trampoline_kernelINS0_14default_configENS1_32segmented_reduce_config_selectorIfEEZNS1_21segmented_reduce_implIS3_PKfPfPKifN6hipcub16HIPCUB_304000_NS6detail27convert_result_type_wrapperIS8_S9_N2at6native12_GLOBAL__N_110CustomProdEEEEE10hipError_tPvRmT0_T1_jT2_SQ_T4_T3_P12ihipStream_tbEUlT_E_NS1_11comp_targetILNS1_3genE10ELNS1_11target_archE1201ELNS1_3gpuE5ELNS1_3repE0EEENS1_30default_config_static_selectorELNS0_4arch9wavefront6targetE0EEEvSP_
		.amdhsa_group_segment_fixed_size 0
		.amdhsa_private_segment_fixed_size 0
		.amdhsa_kernarg_size 48
		.amdhsa_user_sgpr_count 15
		.amdhsa_user_sgpr_dispatch_ptr 0
		.amdhsa_user_sgpr_queue_ptr 0
		.amdhsa_user_sgpr_kernarg_segment_ptr 1
		.amdhsa_user_sgpr_dispatch_id 0
		.amdhsa_user_sgpr_private_segment_size 0
		.amdhsa_wavefront_size32 1
		.amdhsa_uses_dynamic_stack 0
		.amdhsa_enable_private_segment 0
		.amdhsa_system_sgpr_workgroup_id_x 1
		.amdhsa_system_sgpr_workgroup_id_y 0
		.amdhsa_system_sgpr_workgroup_id_z 0
		.amdhsa_system_sgpr_workgroup_info 0
		.amdhsa_system_vgpr_workitem_id 0
		.amdhsa_next_free_vgpr 1
		.amdhsa_next_free_sgpr 1
		.amdhsa_reserve_vcc 0
		.amdhsa_float_round_mode_32 0
		.amdhsa_float_round_mode_16_64 0
		.amdhsa_float_denorm_mode_32 3
		.amdhsa_float_denorm_mode_16_64 3
		.amdhsa_dx10_clamp 1
		.amdhsa_ieee_mode 1
		.amdhsa_fp16_overflow 0
		.amdhsa_workgroup_processor_mode 1
		.amdhsa_memory_ordered 1
		.amdhsa_forward_progress 0
		.amdhsa_shared_vgpr_count 0
		.amdhsa_exception_fp_ieee_invalid_op 0
		.amdhsa_exception_fp_denorm_src 0
		.amdhsa_exception_fp_ieee_div_zero 0
		.amdhsa_exception_fp_ieee_overflow 0
		.amdhsa_exception_fp_ieee_underflow 0
		.amdhsa_exception_fp_ieee_inexact 0
		.amdhsa_exception_int_div_zero 0
	.end_amdhsa_kernel
	.section	.text._ZN7rocprim17ROCPRIM_400000_NS6detail17trampoline_kernelINS0_14default_configENS1_32segmented_reduce_config_selectorIfEEZNS1_21segmented_reduce_implIS3_PKfPfPKifN6hipcub16HIPCUB_304000_NS6detail27convert_result_type_wrapperIS8_S9_N2at6native12_GLOBAL__N_110CustomProdEEEEE10hipError_tPvRmT0_T1_jT2_SQ_T4_T3_P12ihipStream_tbEUlT_E_NS1_11comp_targetILNS1_3genE10ELNS1_11target_archE1201ELNS1_3gpuE5ELNS1_3repE0EEENS1_30default_config_static_selectorELNS0_4arch9wavefront6targetE0EEEvSP_,"axG",@progbits,_ZN7rocprim17ROCPRIM_400000_NS6detail17trampoline_kernelINS0_14default_configENS1_32segmented_reduce_config_selectorIfEEZNS1_21segmented_reduce_implIS3_PKfPfPKifN6hipcub16HIPCUB_304000_NS6detail27convert_result_type_wrapperIS8_S9_N2at6native12_GLOBAL__N_110CustomProdEEEEE10hipError_tPvRmT0_T1_jT2_SQ_T4_T3_P12ihipStream_tbEUlT_E_NS1_11comp_targetILNS1_3genE10ELNS1_11target_archE1201ELNS1_3gpuE5ELNS1_3repE0EEENS1_30default_config_static_selectorELNS0_4arch9wavefront6targetE0EEEvSP_,comdat
.Lfunc_end70:
	.size	_ZN7rocprim17ROCPRIM_400000_NS6detail17trampoline_kernelINS0_14default_configENS1_32segmented_reduce_config_selectorIfEEZNS1_21segmented_reduce_implIS3_PKfPfPKifN6hipcub16HIPCUB_304000_NS6detail27convert_result_type_wrapperIS8_S9_N2at6native12_GLOBAL__N_110CustomProdEEEEE10hipError_tPvRmT0_T1_jT2_SQ_T4_T3_P12ihipStream_tbEUlT_E_NS1_11comp_targetILNS1_3genE10ELNS1_11target_archE1201ELNS1_3gpuE5ELNS1_3repE0EEENS1_30default_config_static_selectorELNS0_4arch9wavefront6targetE0EEEvSP_, .Lfunc_end70-_ZN7rocprim17ROCPRIM_400000_NS6detail17trampoline_kernelINS0_14default_configENS1_32segmented_reduce_config_selectorIfEEZNS1_21segmented_reduce_implIS3_PKfPfPKifN6hipcub16HIPCUB_304000_NS6detail27convert_result_type_wrapperIS8_S9_N2at6native12_GLOBAL__N_110CustomProdEEEEE10hipError_tPvRmT0_T1_jT2_SQ_T4_T3_P12ihipStream_tbEUlT_E_NS1_11comp_targetILNS1_3genE10ELNS1_11target_archE1201ELNS1_3gpuE5ELNS1_3repE0EEENS1_30default_config_static_selectorELNS0_4arch9wavefront6targetE0EEEvSP_
                                        ; -- End function
	.section	.AMDGPU.csdata,"",@progbits
; Kernel info:
; codeLenInByte = 0
; NumSgprs: 0
; NumVgprs: 0
; ScratchSize: 0
; MemoryBound: 0
; FloatMode: 240
; IeeeMode: 1
; LDSByteSize: 0 bytes/workgroup (compile time only)
; SGPRBlocks: 0
; VGPRBlocks: 0
; NumSGPRsForWavesPerEU: 1
; NumVGPRsForWavesPerEU: 1
; Occupancy: 16
; WaveLimiterHint : 0
; COMPUTE_PGM_RSRC2:SCRATCH_EN: 0
; COMPUTE_PGM_RSRC2:USER_SGPR: 15
; COMPUTE_PGM_RSRC2:TRAP_HANDLER: 0
; COMPUTE_PGM_RSRC2:TGID_X_EN: 1
; COMPUTE_PGM_RSRC2:TGID_Y_EN: 0
; COMPUTE_PGM_RSRC2:TGID_Z_EN: 0
; COMPUTE_PGM_RSRC2:TIDIG_COMP_CNT: 0
	.section	.text._ZN7rocprim17ROCPRIM_400000_NS6detail17trampoline_kernelINS0_14default_configENS1_32segmented_reduce_config_selectorIfEEZNS1_21segmented_reduce_implIS3_PKfPfPKifN6hipcub16HIPCUB_304000_NS6detail27convert_result_type_wrapperIS8_S9_N2at6native12_GLOBAL__N_110CustomProdEEEEE10hipError_tPvRmT0_T1_jT2_SQ_T4_T3_P12ihipStream_tbEUlT_E_NS1_11comp_targetILNS1_3genE4ELNS1_11target_archE910ELNS1_3gpuE8ELNS1_3repE0EEENS1_30default_config_static_selectorELNS0_4arch9wavefront6targetE0EEEvSP_,"axG",@progbits,_ZN7rocprim17ROCPRIM_400000_NS6detail17trampoline_kernelINS0_14default_configENS1_32segmented_reduce_config_selectorIfEEZNS1_21segmented_reduce_implIS3_PKfPfPKifN6hipcub16HIPCUB_304000_NS6detail27convert_result_type_wrapperIS8_S9_N2at6native12_GLOBAL__N_110CustomProdEEEEE10hipError_tPvRmT0_T1_jT2_SQ_T4_T3_P12ihipStream_tbEUlT_E_NS1_11comp_targetILNS1_3genE4ELNS1_11target_archE910ELNS1_3gpuE8ELNS1_3repE0EEENS1_30default_config_static_selectorELNS0_4arch9wavefront6targetE0EEEvSP_,comdat
	.globl	_ZN7rocprim17ROCPRIM_400000_NS6detail17trampoline_kernelINS0_14default_configENS1_32segmented_reduce_config_selectorIfEEZNS1_21segmented_reduce_implIS3_PKfPfPKifN6hipcub16HIPCUB_304000_NS6detail27convert_result_type_wrapperIS8_S9_N2at6native12_GLOBAL__N_110CustomProdEEEEE10hipError_tPvRmT0_T1_jT2_SQ_T4_T3_P12ihipStream_tbEUlT_E_NS1_11comp_targetILNS1_3genE4ELNS1_11target_archE910ELNS1_3gpuE8ELNS1_3repE0EEENS1_30default_config_static_selectorELNS0_4arch9wavefront6targetE0EEEvSP_ ; -- Begin function _ZN7rocprim17ROCPRIM_400000_NS6detail17trampoline_kernelINS0_14default_configENS1_32segmented_reduce_config_selectorIfEEZNS1_21segmented_reduce_implIS3_PKfPfPKifN6hipcub16HIPCUB_304000_NS6detail27convert_result_type_wrapperIS8_S9_N2at6native12_GLOBAL__N_110CustomProdEEEEE10hipError_tPvRmT0_T1_jT2_SQ_T4_T3_P12ihipStream_tbEUlT_E_NS1_11comp_targetILNS1_3genE4ELNS1_11target_archE910ELNS1_3gpuE8ELNS1_3repE0EEENS1_30default_config_static_selectorELNS0_4arch9wavefront6targetE0EEEvSP_
	.p2align	8
	.type	_ZN7rocprim17ROCPRIM_400000_NS6detail17trampoline_kernelINS0_14default_configENS1_32segmented_reduce_config_selectorIfEEZNS1_21segmented_reduce_implIS3_PKfPfPKifN6hipcub16HIPCUB_304000_NS6detail27convert_result_type_wrapperIS8_S9_N2at6native12_GLOBAL__N_110CustomProdEEEEE10hipError_tPvRmT0_T1_jT2_SQ_T4_T3_P12ihipStream_tbEUlT_E_NS1_11comp_targetILNS1_3genE4ELNS1_11target_archE910ELNS1_3gpuE8ELNS1_3repE0EEENS1_30default_config_static_selectorELNS0_4arch9wavefront6targetE0EEEvSP_,@function
_ZN7rocprim17ROCPRIM_400000_NS6detail17trampoline_kernelINS0_14default_configENS1_32segmented_reduce_config_selectorIfEEZNS1_21segmented_reduce_implIS3_PKfPfPKifN6hipcub16HIPCUB_304000_NS6detail27convert_result_type_wrapperIS8_S9_N2at6native12_GLOBAL__N_110CustomProdEEEEE10hipError_tPvRmT0_T1_jT2_SQ_T4_T3_P12ihipStream_tbEUlT_E_NS1_11comp_targetILNS1_3genE4ELNS1_11target_archE910ELNS1_3gpuE8ELNS1_3repE0EEENS1_30default_config_static_selectorELNS0_4arch9wavefront6targetE0EEEvSP_: ; @_ZN7rocprim17ROCPRIM_400000_NS6detail17trampoline_kernelINS0_14default_configENS1_32segmented_reduce_config_selectorIfEEZNS1_21segmented_reduce_implIS3_PKfPfPKifN6hipcub16HIPCUB_304000_NS6detail27convert_result_type_wrapperIS8_S9_N2at6native12_GLOBAL__N_110CustomProdEEEEE10hipError_tPvRmT0_T1_jT2_SQ_T4_T3_P12ihipStream_tbEUlT_E_NS1_11comp_targetILNS1_3genE4ELNS1_11target_archE910ELNS1_3gpuE8ELNS1_3repE0EEENS1_30default_config_static_selectorELNS0_4arch9wavefront6targetE0EEEvSP_
; %bb.0:
	.section	.rodata,"a",@progbits
	.p2align	6, 0x0
	.amdhsa_kernel _ZN7rocprim17ROCPRIM_400000_NS6detail17trampoline_kernelINS0_14default_configENS1_32segmented_reduce_config_selectorIfEEZNS1_21segmented_reduce_implIS3_PKfPfPKifN6hipcub16HIPCUB_304000_NS6detail27convert_result_type_wrapperIS8_S9_N2at6native12_GLOBAL__N_110CustomProdEEEEE10hipError_tPvRmT0_T1_jT2_SQ_T4_T3_P12ihipStream_tbEUlT_E_NS1_11comp_targetILNS1_3genE4ELNS1_11target_archE910ELNS1_3gpuE8ELNS1_3repE0EEENS1_30default_config_static_selectorELNS0_4arch9wavefront6targetE0EEEvSP_
		.amdhsa_group_segment_fixed_size 0
		.amdhsa_private_segment_fixed_size 0
		.amdhsa_kernarg_size 48
		.amdhsa_user_sgpr_count 15
		.amdhsa_user_sgpr_dispatch_ptr 0
		.amdhsa_user_sgpr_queue_ptr 0
		.amdhsa_user_sgpr_kernarg_segment_ptr 1
		.amdhsa_user_sgpr_dispatch_id 0
		.amdhsa_user_sgpr_private_segment_size 0
		.amdhsa_wavefront_size32 1
		.amdhsa_uses_dynamic_stack 0
		.amdhsa_enable_private_segment 0
		.amdhsa_system_sgpr_workgroup_id_x 1
		.amdhsa_system_sgpr_workgroup_id_y 0
		.amdhsa_system_sgpr_workgroup_id_z 0
		.amdhsa_system_sgpr_workgroup_info 0
		.amdhsa_system_vgpr_workitem_id 0
		.amdhsa_next_free_vgpr 1
		.amdhsa_next_free_sgpr 1
		.amdhsa_reserve_vcc 0
		.amdhsa_float_round_mode_32 0
		.amdhsa_float_round_mode_16_64 0
		.amdhsa_float_denorm_mode_32 3
		.amdhsa_float_denorm_mode_16_64 3
		.amdhsa_dx10_clamp 1
		.amdhsa_ieee_mode 1
		.amdhsa_fp16_overflow 0
		.amdhsa_workgroup_processor_mode 1
		.amdhsa_memory_ordered 1
		.amdhsa_forward_progress 0
		.amdhsa_shared_vgpr_count 0
		.amdhsa_exception_fp_ieee_invalid_op 0
		.amdhsa_exception_fp_denorm_src 0
		.amdhsa_exception_fp_ieee_div_zero 0
		.amdhsa_exception_fp_ieee_overflow 0
		.amdhsa_exception_fp_ieee_underflow 0
		.amdhsa_exception_fp_ieee_inexact 0
		.amdhsa_exception_int_div_zero 0
	.end_amdhsa_kernel
	.section	.text._ZN7rocprim17ROCPRIM_400000_NS6detail17trampoline_kernelINS0_14default_configENS1_32segmented_reduce_config_selectorIfEEZNS1_21segmented_reduce_implIS3_PKfPfPKifN6hipcub16HIPCUB_304000_NS6detail27convert_result_type_wrapperIS8_S9_N2at6native12_GLOBAL__N_110CustomProdEEEEE10hipError_tPvRmT0_T1_jT2_SQ_T4_T3_P12ihipStream_tbEUlT_E_NS1_11comp_targetILNS1_3genE4ELNS1_11target_archE910ELNS1_3gpuE8ELNS1_3repE0EEENS1_30default_config_static_selectorELNS0_4arch9wavefront6targetE0EEEvSP_,"axG",@progbits,_ZN7rocprim17ROCPRIM_400000_NS6detail17trampoline_kernelINS0_14default_configENS1_32segmented_reduce_config_selectorIfEEZNS1_21segmented_reduce_implIS3_PKfPfPKifN6hipcub16HIPCUB_304000_NS6detail27convert_result_type_wrapperIS8_S9_N2at6native12_GLOBAL__N_110CustomProdEEEEE10hipError_tPvRmT0_T1_jT2_SQ_T4_T3_P12ihipStream_tbEUlT_E_NS1_11comp_targetILNS1_3genE4ELNS1_11target_archE910ELNS1_3gpuE8ELNS1_3repE0EEENS1_30default_config_static_selectorELNS0_4arch9wavefront6targetE0EEEvSP_,comdat
.Lfunc_end71:
	.size	_ZN7rocprim17ROCPRIM_400000_NS6detail17trampoline_kernelINS0_14default_configENS1_32segmented_reduce_config_selectorIfEEZNS1_21segmented_reduce_implIS3_PKfPfPKifN6hipcub16HIPCUB_304000_NS6detail27convert_result_type_wrapperIS8_S9_N2at6native12_GLOBAL__N_110CustomProdEEEEE10hipError_tPvRmT0_T1_jT2_SQ_T4_T3_P12ihipStream_tbEUlT_E_NS1_11comp_targetILNS1_3genE4ELNS1_11target_archE910ELNS1_3gpuE8ELNS1_3repE0EEENS1_30default_config_static_selectorELNS0_4arch9wavefront6targetE0EEEvSP_, .Lfunc_end71-_ZN7rocprim17ROCPRIM_400000_NS6detail17trampoline_kernelINS0_14default_configENS1_32segmented_reduce_config_selectorIfEEZNS1_21segmented_reduce_implIS3_PKfPfPKifN6hipcub16HIPCUB_304000_NS6detail27convert_result_type_wrapperIS8_S9_N2at6native12_GLOBAL__N_110CustomProdEEEEE10hipError_tPvRmT0_T1_jT2_SQ_T4_T3_P12ihipStream_tbEUlT_E_NS1_11comp_targetILNS1_3genE4ELNS1_11target_archE910ELNS1_3gpuE8ELNS1_3repE0EEENS1_30default_config_static_selectorELNS0_4arch9wavefront6targetE0EEEvSP_
                                        ; -- End function
	.section	.AMDGPU.csdata,"",@progbits
; Kernel info:
; codeLenInByte = 0
; NumSgprs: 0
; NumVgprs: 0
; ScratchSize: 0
; MemoryBound: 0
; FloatMode: 240
; IeeeMode: 1
; LDSByteSize: 0 bytes/workgroup (compile time only)
; SGPRBlocks: 0
; VGPRBlocks: 0
; NumSGPRsForWavesPerEU: 1
; NumVGPRsForWavesPerEU: 1
; Occupancy: 16
; WaveLimiterHint : 0
; COMPUTE_PGM_RSRC2:SCRATCH_EN: 0
; COMPUTE_PGM_RSRC2:USER_SGPR: 15
; COMPUTE_PGM_RSRC2:TRAP_HANDLER: 0
; COMPUTE_PGM_RSRC2:TGID_X_EN: 1
; COMPUTE_PGM_RSRC2:TGID_Y_EN: 0
; COMPUTE_PGM_RSRC2:TGID_Z_EN: 0
; COMPUTE_PGM_RSRC2:TIDIG_COMP_CNT: 0
	.section	.text._ZN7rocprim17ROCPRIM_400000_NS6detail17trampoline_kernelINS0_14default_configENS1_32segmented_reduce_config_selectorIfEEZNS1_21segmented_reduce_implIS3_PKfPfPKifN6hipcub16HIPCUB_304000_NS6detail27convert_result_type_wrapperIS8_S9_N2at6native12_GLOBAL__N_110CustomProdEEEEE10hipError_tPvRmT0_T1_jT2_SQ_T4_T3_P12ihipStream_tbEUlT_E_NS1_11comp_targetILNS1_3genE3ELNS1_11target_archE908ELNS1_3gpuE7ELNS1_3repE0EEENS1_30default_config_static_selectorELNS0_4arch9wavefront6targetE0EEEvSP_,"axG",@progbits,_ZN7rocprim17ROCPRIM_400000_NS6detail17trampoline_kernelINS0_14default_configENS1_32segmented_reduce_config_selectorIfEEZNS1_21segmented_reduce_implIS3_PKfPfPKifN6hipcub16HIPCUB_304000_NS6detail27convert_result_type_wrapperIS8_S9_N2at6native12_GLOBAL__N_110CustomProdEEEEE10hipError_tPvRmT0_T1_jT2_SQ_T4_T3_P12ihipStream_tbEUlT_E_NS1_11comp_targetILNS1_3genE3ELNS1_11target_archE908ELNS1_3gpuE7ELNS1_3repE0EEENS1_30default_config_static_selectorELNS0_4arch9wavefront6targetE0EEEvSP_,comdat
	.globl	_ZN7rocprim17ROCPRIM_400000_NS6detail17trampoline_kernelINS0_14default_configENS1_32segmented_reduce_config_selectorIfEEZNS1_21segmented_reduce_implIS3_PKfPfPKifN6hipcub16HIPCUB_304000_NS6detail27convert_result_type_wrapperIS8_S9_N2at6native12_GLOBAL__N_110CustomProdEEEEE10hipError_tPvRmT0_T1_jT2_SQ_T4_T3_P12ihipStream_tbEUlT_E_NS1_11comp_targetILNS1_3genE3ELNS1_11target_archE908ELNS1_3gpuE7ELNS1_3repE0EEENS1_30default_config_static_selectorELNS0_4arch9wavefront6targetE0EEEvSP_ ; -- Begin function _ZN7rocprim17ROCPRIM_400000_NS6detail17trampoline_kernelINS0_14default_configENS1_32segmented_reduce_config_selectorIfEEZNS1_21segmented_reduce_implIS3_PKfPfPKifN6hipcub16HIPCUB_304000_NS6detail27convert_result_type_wrapperIS8_S9_N2at6native12_GLOBAL__N_110CustomProdEEEEE10hipError_tPvRmT0_T1_jT2_SQ_T4_T3_P12ihipStream_tbEUlT_E_NS1_11comp_targetILNS1_3genE3ELNS1_11target_archE908ELNS1_3gpuE7ELNS1_3repE0EEENS1_30default_config_static_selectorELNS0_4arch9wavefront6targetE0EEEvSP_
	.p2align	8
	.type	_ZN7rocprim17ROCPRIM_400000_NS6detail17trampoline_kernelINS0_14default_configENS1_32segmented_reduce_config_selectorIfEEZNS1_21segmented_reduce_implIS3_PKfPfPKifN6hipcub16HIPCUB_304000_NS6detail27convert_result_type_wrapperIS8_S9_N2at6native12_GLOBAL__N_110CustomProdEEEEE10hipError_tPvRmT0_T1_jT2_SQ_T4_T3_P12ihipStream_tbEUlT_E_NS1_11comp_targetILNS1_3genE3ELNS1_11target_archE908ELNS1_3gpuE7ELNS1_3repE0EEENS1_30default_config_static_selectorELNS0_4arch9wavefront6targetE0EEEvSP_,@function
_ZN7rocprim17ROCPRIM_400000_NS6detail17trampoline_kernelINS0_14default_configENS1_32segmented_reduce_config_selectorIfEEZNS1_21segmented_reduce_implIS3_PKfPfPKifN6hipcub16HIPCUB_304000_NS6detail27convert_result_type_wrapperIS8_S9_N2at6native12_GLOBAL__N_110CustomProdEEEEE10hipError_tPvRmT0_T1_jT2_SQ_T4_T3_P12ihipStream_tbEUlT_E_NS1_11comp_targetILNS1_3genE3ELNS1_11target_archE908ELNS1_3gpuE7ELNS1_3repE0EEENS1_30default_config_static_selectorELNS0_4arch9wavefront6targetE0EEEvSP_: ; @_ZN7rocprim17ROCPRIM_400000_NS6detail17trampoline_kernelINS0_14default_configENS1_32segmented_reduce_config_selectorIfEEZNS1_21segmented_reduce_implIS3_PKfPfPKifN6hipcub16HIPCUB_304000_NS6detail27convert_result_type_wrapperIS8_S9_N2at6native12_GLOBAL__N_110CustomProdEEEEE10hipError_tPvRmT0_T1_jT2_SQ_T4_T3_P12ihipStream_tbEUlT_E_NS1_11comp_targetILNS1_3genE3ELNS1_11target_archE908ELNS1_3gpuE7ELNS1_3repE0EEENS1_30default_config_static_selectorELNS0_4arch9wavefront6targetE0EEEvSP_
; %bb.0:
	.section	.rodata,"a",@progbits
	.p2align	6, 0x0
	.amdhsa_kernel _ZN7rocprim17ROCPRIM_400000_NS6detail17trampoline_kernelINS0_14default_configENS1_32segmented_reduce_config_selectorIfEEZNS1_21segmented_reduce_implIS3_PKfPfPKifN6hipcub16HIPCUB_304000_NS6detail27convert_result_type_wrapperIS8_S9_N2at6native12_GLOBAL__N_110CustomProdEEEEE10hipError_tPvRmT0_T1_jT2_SQ_T4_T3_P12ihipStream_tbEUlT_E_NS1_11comp_targetILNS1_3genE3ELNS1_11target_archE908ELNS1_3gpuE7ELNS1_3repE0EEENS1_30default_config_static_selectorELNS0_4arch9wavefront6targetE0EEEvSP_
		.amdhsa_group_segment_fixed_size 0
		.amdhsa_private_segment_fixed_size 0
		.amdhsa_kernarg_size 48
		.amdhsa_user_sgpr_count 15
		.amdhsa_user_sgpr_dispatch_ptr 0
		.amdhsa_user_sgpr_queue_ptr 0
		.amdhsa_user_sgpr_kernarg_segment_ptr 1
		.amdhsa_user_sgpr_dispatch_id 0
		.amdhsa_user_sgpr_private_segment_size 0
		.amdhsa_wavefront_size32 1
		.amdhsa_uses_dynamic_stack 0
		.amdhsa_enable_private_segment 0
		.amdhsa_system_sgpr_workgroup_id_x 1
		.amdhsa_system_sgpr_workgroup_id_y 0
		.amdhsa_system_sgpr_workgroup_id_z 0
		.amdhsa_system_sgpr_workgroup_info 0
		.amdhsa_system_vgpr_workitem_id 0
		.amdhsa_next_free_vgpr 1
		.amdhsa_next_free_sgpr 1
		.amdhsa_reserve_vcc 0
		.amdhsa_float_round_mode_32 0
		.amdhsa_float_round_mode_16_64 0
		.amdhsa_float_denorm_mode_32 3
		.amdhsa_float_denorm_mode_16_64 3
		.amdhsa_dx10_clamp 1
		.amdhsa_ieee_mode 1
		.amdhsa_fp16_overflow 0
		.amdhsa_workgroup_processor_mode 1
		.amdhsa_memory_ordered 1
		.amdhsa_forward_progress 0
		.amdhsa_shared_vgpr_count 0
		.amdhsa_exception_fp_ieee_invalid_op 0
		.amdhsa_exception_fp_denorm_src 0
		.amdhsa_exception_fp_ieee_div_zero 0
		.amdhsa_exception_fp_ieee_overflow 0
		.amdhsa_exception_fp_ieee_underflow 0
		.amdhsa_exception_fp_ieee_inexact 0
		.amdhsa_exception_int_div_zero 0
	.end_amdhsa_kernel
	.section	.text._ZN7rocprim17ROCPRIM_400000_NS6detail17trampoline_kernelINS0_14default_configENS1_32segmented_reduce_config_selectorIfEEZNS1_21segmented_reduce_implIS3_PKfPfPKifN6hipcub16HIPCUB_304000_NS6detail27convert_result_type_wrapperIS8_S9_N2at6native12_GLOBAL__N_110CustomProdEEEEE10hipError_tPvRmT0_T1_jT2_SQ_T4_T3_P12ihipStream_tbEUlT_E_NS1_11comp_targetILNS1_3genE3ELNS1_11target_archE908ELNS1_3gpuE7ELNS1_3repE0EEENS1_30default_config_static_selectorELNS0_4arch9wavefront6targetE0EEEvSP_,"axG",@progbits,_ZN7rocprim17ROCPRIM_400000_NS6detail17trampoline_kernelINS0_14default_configENS1_32segmented_reduce_config_selectorIfEEZNS1_21segmented_reduce_implIS3_PKfPfPKifN6hipcub16HIPCUB_304000_NS6detail27convert_result_type_wrapperIS8_S9_N2at6native12_GLOBAL__N_110CustomProdEEEEE10hipError_tPvRmT0_T1_jT2_SQ_T4_T3_P12ihipStream_tbEUlT_E_NS1_11comp_targetILNS1_3genE3ELNS1_11target_archE908ELNS1_3gpuE7ELNS1_3repE0EEENS1_30default_config_static_selectorELNS0_4arch9wavefront6targetE0EEEvSP_,comdat
.Lfunc_end72:
	.size	_ZN7rocprim17ROCPRIM_400000_NS6detail17trampoline_kernelINS0_14default_configENS1_32segmented_reduce_config_selectorIfEEZNS1_21segmented_reduce_implIS3_PKfPfPKifN6hipcub16HIPCUB_304000_NS6detail27convert_result_type_wrapperIS8_S9_N2at6native12_GLOBAL__N_110CustomProdEEEEE10hipError_tPvRmT0_T1_jT2_SQ_T4_T3_P12ihipStream_tbEUlT_E_NS1_11comp_targetILNS1_3genE3ELNS1_11target_archE908ELNS1_3gpuE7ELNS1_3repE0EEENS1_30default_config_static_selectorELNS0_4arch9wavefront6targetE0EEEvSP_, .Lfunc_end72-_ZN7rocprim17ROCPRIM_400000_NS6detail17trampoline_kernelINS0_14default_configENS1_32segmented_reduce_config_selectorIfEEZNS1_21segmented_reduce_implIS3_PKfPfPKifN6hipcub16HIPCUB_304000_NS6detail27convert_result_type_wrapperIS8_S9_N2at6native12_GLOBAL__N_110CustomProdEEEEE10hipError_tPvRmT0_T1_jT2_SQ_T4_T3_P12ihipStream_tbEUlT_E_NS1_11comp_targetILNS1_3genE3ELNS1_11target_archE908ELNS1_3gpuE7ELNS1_3repE0EEENS1_30default_config_static_selectorELNS0_4arch9wavefront6targetE0EEEvSP_
                                        ; -- End function
	.section	.AMDGPU.csdata,"",@progbits
; Kernel info:
; codeLenInByte = 0
; NumSgprs: 0
; NumVgprs: 0
; ScratchSize: 0
; MemoryBound: 0
; FloatMode: 240
; IeeeMode: 1
; LDSByteSize: 0 bytes/workgroup (compile time only)
; SGPRBlocks: 0
; VGPRBlocks: 0
; NumSGPRsForWavesPerEU: 1
; NumVGPRsForWavesPerEU: 1
; Occupancy: 16
; WaveLimiterHint : 0
; COMPUTE_PGM_RSRC2:SCRATCH_EN: 0
; COMPUTE_PGM_RSRC2:USER_SGPR: 15
; COMPUTE_PGM_RSRC2:TRAP_HANDLER: 0
; COMPUTE_PGM_RSRC2:TGID_X_EN: 1
; COMPUTE_PGM_RSRC2:TGID_Y_EN: 0
; COMPUTE_PGM_RSRC2:TGID_Z_EN: 0
; COMPUTE_PGM_RSRC2:TIDIG_COMP_CNT: 0
	.section	.text._ZN7rocprim17ROCPRIM_400000_NS6detail17trampoline_kernelINS0_14default_configENS1_32segmented_reduce_config_selectorIfEEZNS1_21segmented_reduce_implIS3_PKfPfPKifN6hipcub16HIPCUB_304000_NS6detail27convert_result_type_wrapperIS8_S9_N2at6native12_GLOBAL__N_110CustomProdEEEEE10hipError_tPvRmT0_T1_jT2_SQ_T4_T3_P12ihipStream_tbEUlT_E_NS1_11comp_targetILNS1_3genE2ELNS1_11target_archE906ELNS1_3gpuE6ELNS1_3repE0EEENS1_30default_config_static_selectorELNS0_4arch9wavefront6targetE0EEEvSP_,"axG",@progbits,_ZN7rocprim17ROCPRIM_400000_NS6detail17trampoline_kernelINS0_14default_configENS1_32segmented_reduce_config_selectorIfEEZNS1_21segmented_reduce_implIS3_PKfPfPKifN6hipcub16HIPCUB_304000_NS6detail27convert_result_type_wrapperIS8_S9_N2at6native12_GLOBAL__N_110CustomProdEEEEE10hipError_tPvRmT0_T1_jT2_SQ_T4_T3_P12ihipStream_tbEUlT_E_NS1_11comp_targetILNS1_3genE2ELNS1_11target_archE906ELNS1_3gpuE6ELNS1_3repE0EEENS1_30default_config_static_selectorELNS0_4arch9wavefront6targetE0EEEvSP_,comdat
	.globl	_ZN7rocprim17ROCPRIM_400000_NS6detail17trampoline_kernelINS0_14default_configENS1_32segmented_reduce_config_selectorIfEEZNS1_21segmented_reduce_implIS3_PKfPfPKifN6hipcub16HIPCUB_304000_NS6detail27convert_result_type_wrapperIS8_S9_N2at6native12_GLOBAL__N_110CustomProdEEEEE10hipError_tPvRmT0_T1_jT2_SQ_T4_T3_P12ihipStream_tbEUlT_E_NS1_11comp_targetILNS1_3genE2ELNS1_11target_archE906ELNS1_3gpuE6ELNS1_3repE0EEENS1_30default_config_static_selectorELNS0_4arch9wavefront6targetE0EEEvSP_ ; -- Begin function _ZN7rocprim17ROCPRIM_400000_NS6detail17trampoline_kernelINS0_14default_configENS1_32segmented_reduce_config_selectorIfEEZNS1_21segmented_reduce_implIS3_PKfPfPKifN6hipcub16HIPCUB_304000_NS6detail27convert_result_type_wrapperIS8_S9_N2at6native12_GLOBAL__N_110CustomProdEEEEE10hipError_tPvRmT0_T1_jT2_SQ_T4_T3_P12ihipStream_tbEUlT_E_NS1_11comp_targetILNS1_3genE2ELNS1_11target_archE906ELNS1_3gpuE6ELNS1_3repE0EEENS1_30default_config_static_selectorELNS0_4arch9wavefront6targetE0EEEvSP_
	.p2align	8
	.type	_ZN7rocprim17ROCPRIM_400000_NS6detail17trampoline_kernelINS0_14default_configENS1_32segmented_reduce_config_selectorIfEEZNS1_21segmented_reduce_implIS3_PKfPfPKifN6hipcub16HIPCUB_304000_NS6detail27convert_result_type_wrapperIS8_S9_N2at6native12_GLOBAL__N_110CustomProdEEEEE10hipError_tPvRmT0_T1_jT2_SQ_T4_T3_P12ihipStream_tbEUlT_E_NS1_11comp_targetILNS1_3genE2ELNS1_11target_archE906ELNS1_3gpuE6ELNS1_3repE0EEENS1_30default_config_static_selectorELNS0_4arch9wavefront6targetE0EEEvSP_,@function
_ZN7rocprim17ROCPRIM_400000_NS6detail17trampoline_kernelINS0_14default_configENS1_32segmented_reduce_config_selectorIfEEZNS1_21segmented_reduce_implIS3_PKfPfPKifN6hipcub16HIPCUB_304000_NS6detail27convert_result_type_wrapperIS8_S9_N2at6native12_GLOBAL__N_110CustomProdEEEEE10hipError_tPvRmT0_T1_jT2_SQ_T4_T3_P12ihipStream_tbEUlT_E_NS1_11comp_targetILNS1_3genE2ELNS1_11target_archE906ELNS1_3gpuE6ELNS1_3repE0EEENS1_30default_config_static_selectorELNS0_4arch9wavefront6targetE0EEEvSP_: ; @_ZN7rocprim17ROCPRIM_400000_NS6detail17trampoline_kernelINS0_14default_configENS1_32segmented_reduce_config_selectorIfEEZNS1_21segmented_reduce_implIS3_PKfPfPKifN6hipcub16HIPCUB_304000_NS6detail27convert_result_type_wrapperIS8_S9_N2at6native12_GLOBAL__N_110CustomProdEEEEE10hipError_tPvRmT0_T1_jT2_SQ_T4_T3_P12ihipStream_tbEUlT_E_NS1_11comp_targetILNS1_3genE2ELNS1_11target_archE906ELNS1_3gpuE6ELNS1_3repE0EEENS1_30default_config_static_selectorELNS0_4arch9wavefront6targetE0EEEvSP_
; %bb.0:
	.section	.rodata,"a",@progbits
	.p2align	6, 0x0
	.amdhsa_kernel _ZN7rocprim17ROCPRIM_400000_NS6detail17trampoline_kernelINS0_14default_configENS1_32segmented_reduce_config_selectorIfEEZNS1_21segmented_reduce_implIS3_PKfPfPKifN6hipcub16HIPCUB_304000_NS6detail27convert_result_type_wrapperIS8_S9_N2at6native12_GLOBAL__N_110CustomProdEEEEE10hipError_tPvRmT0_T1_jT2_SQ_T4_T3_P12ihipStream_tbEUlT_E_NS1_11comp_targetILNS1_3genE2ELNS1_11target_archE906ELNS1_3gpuE6ELNS1_3repE0EEENS1_30default_config_static_selectorELNS0_4arch9wavefront6targetE0EEEvSP_
		.amdhsa_group_segment_fixed_size 0
		.amdhsa_private_segment_fixed_size 0
		.amdhsa_kernarg_size 48
		.amdhsa_user_sgpr_count 15
		.amdhsa_user_sgpr_dispatch_ptr 0
		.amdhsa_user_sgpr_queue_ptr 0
		.amdhsa_user_sgpr_kernarg_segment_ptr 1
		.amdhsa_user_sgpr_dispatch_id 0
		.amdhsa_user_sgpr_private_segment_size 0
		.amdhsa_wavefront_size32 1
		.amdhsa_uses_dynamic_stack 0
		.amdhsa_enable_private_segment 0
		.amdhsa_system_sgpr_workgroup_id_x 1
		.amdhsa_system_sgpr_workgroup_id_y 0
		.amdhsa_system_sgpr_workgroup_id_z 0
		.amdhsa_system_sgpr_workgroup_info 0
		.amdhsa_system_vgpr_workitem_id 0
		.amdhsa_next_free_vgpr 1
		.amdhsa_next_free_sgpr 1
		.amdhsa_reserve_vcc 0
		.amdhsa_float_round_mode_32 0
		.amdhsa_float_round_mode_16_64 0
		.amdhsa_float_denorm_mode_32 3
		.amdhsa_float_denorm_mode_16_64 3
		.amdhsa_dx10_clamp 1
		.amdhsa_ieee_mode 1
		.amdhsa_fp16_overflow 0
		.amdhsa_workgroup_processor_mode 1
		.amdhsa_memory_ordered 1
		.amdhsa_forward_progress 0
		.amdhsa_shared_vgpr_count 0
		.amdhsa_exception_fp_ieee_invalid_op 0
		.amdhsa_exception_fp_denorm_src 0
		.amdhsa_exception_fp_ieee_div_zero 0
		.amdhsa_exception_fp_ieee_overflow 0
		.amdhsa_exception_fp_ieee_underflow 0
		.amdhsa_exception_fp_ieee_inexact 0
		.amdhsa_exception_int_div_zero 0
	.end_amdhsa_kernel
	.section	.text._ZN7rocprim17ROCPRIM_400000_NS6detail17trampoline_kernelINS0_14default_configENS1_32segmented_reduce_config_selectorIfEEZNS1_21segmented_reduce_implIS3_PKfPfPKifN6hipcub16HIPCUB_304000_NS6detail27convert_result_type_wrapperIS8_S9_N2at6native12_GLOBAL__N_110CustomProdEEEEE10hipError_tPvRmT0_T1_jT2_SQ_T4_T3_P12ihipStream_tbEUlT_E_NS1_11comp_targetILNS1_3genE2ELNS1_11target_archE906ELNS1_3gpuE6ELNS1_3repE0EEENS1_30default_config_static_selectorELNS0_4arch9wavefront6targetE0EEEvSP_,"axG",@progbits,_ZN7rocprim17ROCPRIM_400000_NS6detail17trampoline_kernelINS0_14default_configENS1_32segmented_reduce_config_selectorIfEEZNS1_21segmented_reduce_implIS3_PKfPfPKifN6hipcub16HIPCUB_304000_NS6detail27convert_result_type_wrapperIS8_S9_N2at6native12_GLOBAL__N_110CustomProdEEEEE10hipError_tPvRmT0_T1_jT2_SQ_T4_T3_P12ihipStream_tbEUlT_E_NS1_11comp_targetILNS1_3genE2ELNS1_11target_archE906ELNS1_3gpuE6ELNS1_3repE0EEENS1_30default_config_static_selectorELNS0_4arch9wavefront6targetE0EEEvSP_,comdat
.Lfunc_end73:
	.size	_ZN7rocprim17ROCPRIM_400000_NS6detail17trampoline_kernelINS0_14default_configENS1_32segmented_reduce_config_selectorIfEEZNS1_21segmented_reduce_implIS3_PKfPfPKifN6hipcub16HIPCUB_304000_NS6detail27convert_result_type_wrapperIS8_S9_N2at6native12_GLOBAL__N_110CustomProdEEEEE10hipError_tPvRmT0_T1_jT2_SQ_T4_T3_P12ihipStream_tbEUlT_E_NS1_11comp_targetILNS1_3genE2ELNS1_11target_archE906ELNS1_3gpuE6ELNS1_3repE0EEENS1_30default_config_static_selectorELNS0_4arch9wavefront6targetE0EEEvSP_, .Lfunc_end73-_ZN7rocprim17ROCPRIM_400000_NS6detail17trampoline_kernelINS0_14default_configENS1_32segmented_reduce_config_selectorIfEEZNS1_21segmented_reduce_implIS3_PKfPfPKifN6hipcub16HIPCUB_304000_NS6detail27convert_result_type_wrapperIS8_S9_N2at6native12_GLOBAL__N_110CustomProdEEEEE10hipError_tPvRmT0_T1_jT2_SQ_T4_T3_P12ihipStream_tbEUlT_E_NS1_11comp_targetILNS1_3genE2ELNS1_11target_archE906ELNS1_3gpuE6ELNS1_3repE0EEENS1_30default_config_static_selectorELNS0_4arch9wavefront6targetE0EEEvSP_
                                        ; -- End function
	.section	.AMDGPU.csdata,"",@progbits
; Kernel info:
; codeLenInByte = 0
; NumSgprs: 0
; NumVgprs: 0
; ScratchSize: 0
; MemoryBound: 0
; FloatMode: 240
; IeeeMode: 1
; LDSByteSize: 0 bytes/workgroup (compile time only)
; SGPRBlocks: 0
; VGPRBlocks: 0
; NumSGPRsForWavesPerEU: 1
; NumVGPRsForWavesPerEU: 1
; Occupancy: 16
; WaveLimiterHint : 0
; COMPUTE_PGM_RSRC2:SCRATCH_EN: 0
; COMPUTE_PGM_RSRC2:USER_SGPR: 15
; COMPUTE_PGM_RSRC2:TRAP_HANDLER: 0
; COMPUTE_PGM_RSRC2:TGID_X_EN: 1
; COMPUTE_PGM_RSRC2:TGID_Y_EN: 0
; COMPUTE_PGM_RSRC2:TGID_Z_EN: 0
; COMPUTE_PGM_RSRC2:TIDIG_COMP_CNT: 0
	.section	.text._ZN7rocprim17ROCPRIM_400000_NS6detail17trampoline_kernelINS0_14default_configENS1_32segmented_reduce_config_selectorIfEEZNS1_21segmented_reduce_implIS3_PKfPfPKifN6hipcub16HIPCUB_304000_NS6detail27convert_result_type_wrapperIS8_S9_N2at6native12_GLOBAL__N_110CustomProdEEEEE10hipError_tPvRmT0_T1_jT2_SQ_T4_T3_P12ihipStream_tbEUlT_E_NS1_11comp_targetILNS1_3genE9ELNS1_11target_archE1100ELNS1_3gpuE3ELNS1_3repE0EEENS1_30default_config_static_selectorELNS0_4arch9wavefront6targetE0EEEvSP_,"axG",@progbits,_ZN7rocprim17ROCPRIM_400000_NS6detail17trampoline_kernelINS0_14default_configENS1_32segmented_reduce_config_selectorIfEEZNS1_21segmented_reduce_implIS3_PKfPfPKifN6hipcub16HIPCUB_304000_NS6detail27convert_result_type_wrapperIS8_S9_N2at6native12_GLOBAL__N_110CustomProdEEEEE10hipError_tPvRmT0_T1_jT2_SQ_T4_T3_P12ihipStream_tbEUlT_E_NS1_11comp_targetILNS1_3genE9ELNS1_11target_archE1100ELNS1_3gpuE3ELNS1_3repE0EEENS1_30default_config_static_selectorELNS0_4arch9wavefront6targetE0EEEvSP_,comdat
	.globl	_ZN7rocprim17ROCPRIM_400000_NS6detail17trampoline_kernelINS0_14default_configENS1_32segmented_reduce_config_selectorIfEEZNS1_21segmented_reduce_implIS3_PKfPfPKifN6hipcub16HIPCUB_304000_NS6detail27convert_result_type_wrapperIS8_S9_N2at6native12_GLOBAL__N_110CustomProdEEEEE10hipError_tPvRmT0_T1_jT2_SQ_T4_T3_P12ihipStream_tbEUlT_E_NS1_11comp_targetILNS1_3genE9ELNS1_11target_archE1100ELNS1_3gpuE3ELNS1_3repE0EEENS1_30default_config_static_selectorELNS0_4arch9wavefront6targetE0EEEvSP_ ; -- Begin function _ZN7rocprim17ROCPRIM_400000_NS6detail17trampoline_kernelINS0_14default_configENS1_32segmented_reduce_config_selectorIfEEZNS1_21segmented_reduce_implIS3_PKfPfPKifN6hipcub16HIPCUB_304000_NS6detail27convert_result_type_wrapperIS8_S9_N2at6native12_GLOBAL__N_110CustomProdEEEEE10hipError_tPvRmT0_T1_jT2_SQ_T4_T3_P12ihipStream_tbEUlT_E_NS1_11comp_targetILNS1_3genE9ELNS1_11target_archE1100ELNS1_3gpuE3ELNS1_3repE0EEENS1_30default_config_static_selectorELNS0_4arch9wavefront6targetE0EEEvSP_
	.p2align	8
	.type	_ZN7rocprim17ROCPRIM_400000_NS6detail17trampoline_kernelINS0_14default_configENS1_32segmented_reduce_config_selectorIfEEZNS1_21segmented_reduce_implIS3_PKfPfPKifN6hipcub16HIPCUB_304000_NS6detail27convert_result_type_wrapperIS8_S9_N2at6native12_GLOBAL__N_110CustomProdEEEEE10hipError_tPvRmT0_T1_jT2_SQ_T4_T3_P12ihipStream_tbEUlT_E_NS1_11comp_targetILNS1_3genE9ELNS1_11target_archE1100ELNS1_3gpuE3ELNS1_3repE0EEENS1_30default_config_static_selectorELNS0_4arch9wavefront6targetE0EEEvSP_,@function
_ZN7rocprim17ROCPRIM_400000_NS6detail17trampoline_kernelINS0_14default_configENS1_32segmented_reduce_config_selectorIfEEZNS1_21segmented_reduce_implIS3_PKfPfPKifN6hipcub16HIPCUB_304000_NS6detail27convert_result_type_wrapperIS8_S9_N2at6native12_GLOBAL__N_110CustomProdEEEEE10hipError_tPvRmT0_T1_jT2_SQ_T4_T3_P12ihipStream_tbEUlT_E_NS1_11comp_targetILNS1_3genE9ELNS1_11target_archE1100ELNS1_3gpuE3ELNS1_3repE0EEENS1_30default_config_static_selectorELNS0_4arch9wavefront6targetE0EEEvSP_: ; @_ZN7rocprim17ROCPRIM_400000_NS6detail17trampoline_kernelINS0_14default_configENS1_32segmented_reduce_config_selectorIfEEZNS1_21segmented_reduce_implIS3_PKfPfPKifN6hipcub16HIPCUB_304000_NS6detail27convert_result_type_wrapperIS8_S9_N2at6native12_GLOBAL__N_110CustomProdEEEEE10hipError_tPvRmT0_T1_jT2_SQ_T4_T3_P12ihipStream_tbEUlT_E_NS1_11comp_targetILNS1_3genE9ELNS1_11target_archE1100ELNS1_3gpuE3ELNS1_3repE0EEENS1_30default_config_static_selectorELNS0_4arch9wavefront6targetE0EEEvSP_
; %bb.0:
	s_clause 0x2
	s_load_b256 s[16:23], s[0:1], 0x0
	s_load_b64 s[2:3], s[0:1], 0x20
	s_load_b32 s28, s[0:1], 0x2c
	s_mov_b32 s14, s15
	s_mov_b32 s15, 0
	v_cmp_eq_u32_e32 vcc_lo, 0, v0
	s_waitcnt lgkmcnt(0)
	s_lshl_b64 s[20:21], s[20:21], 2
	s_delay_alu instid0(SALU_CYCLE_1) | instskip(SKIP_4) | instid1(SALU_CYCLE_1)
	s_add_u32 s0, s22, s20
	s_addc_u32 s1, s23, s21
	s_add_u32 s2, s2, s20
	s_addc_u32 s3, s3, s21
	s_lshl_b64 s[22:23], s[14:15], 2
	s_add_u32 s0, s0, s22
	s_addc_u32 s1, s1, s23
	s_add_u32 s2, s2, s22
	s_addc_u32 s3, s3, s23
	s_load_b32 s24, s[0:1], 0x0
	s_load_b32 s29, s[2:3], 0x0
	s_waitcnt lgkmcnt(0)
	s_cmp_gt_i32 s29, s24
	s_cbranch_scc1 .LBB74_3
; %bb.1:
	s_and_b32 s15, vcc_lo, exec_lo
	s_cbranch_execz .LBB74_4
; %bb.2:
	v_mov_b32_e32 v1, s28
	s_and_saveexec_b32 s0, s15
	s_cbranch_execnz .LBB74_67
	s_branch .LBB74_68
.LBB74_3:
.LBB74_4:
	s_add_i32 s0, s24, 0x1000
	s_delay_alu instid0(SALU_CYCLE_1)
	s_cmp_le_i32 s0, s29
	s_cbranch_scc0 .LBB74_45
; %bb.5:
	s_ashr_i32 s25, s24, 31
	v_lshlrev_b32_e32 v18, 2, v0
	s_lshl_b64 s[2:3], s[24:25], 2
	s_delay_alu instid0(SALU_CYCLE_1) | instskip(SKIP_1) | instid1(VALU_DEP_1)
	s_add_u32 s2, s16, s2
	s_addc_u32 s3, s17, s3
	v_add_co_u32 v14, s1, s2, v18
	s_clause 0x1
	global_load_b32 v2, v18, s[2:3]
	global_load_b32 v1, v18, s[2:3] offset:1024
	v_add_co_ci_u32_e64 v15, null, s3, 0, s1
	s_clause 0x1
	global_load_b32 v4, v18, s[2:3] offset:2048
	global_load_b32 v3, v18, s[2:3] offset:3072
	v_add_co_u32 v9, vcc_lo, v14, 0x2000
	v_add_co_ci_u32_e32 v10, vcc_lo, 0, v15, vcc_lo
	v_add_co_u32 v11, vcc_lo, 0x1000, v14
	v_add_co_ci_u32_e32 v12, vcc_lo, 0, v15, vcc_lo
	s_clause 0x3
	global_load_b32 v8, v[9:10], off offset:-4096
	global_load_b32 v7, v[11:12], off offset:1024
	global_load_b32 v6, v[11:12], off offset:2048
	;; [unrolled: 1-line block ×3, first 2 shown]
	v_add_co_u32 v12, vcc_lo, 0x2000, v14
	v_add_co_ci_u32_e32 v13, vcc_lo, 0, v15, vcc_lo
	s_clause 0x2
	global_load_b32 v11, v[9:10], off
	global_load_b32 v10, v[12:13], off offset:1024
	global_load_b32 v9, v[12:13], off offset:2048
	v_add_co_u32 v16, vcc_lo, 0x3000, v14
	v_add_co_ci_u32_e32 v17, vcc_lo, 0, v15, vcc_lo
	s_clause 0x4
	global_load_b32 v12, v[12:13], off offset:3072
	global_load_b32 v15, v[16:17], off
	global_load_b32 v14, v[16:17], off offset:1024
	global_load_b32 v13, v[16:17], off offset:2048
	;; [unrolled: 1-line block ×3, first 2 shown]
	s_add_i32 s1, s24, 0x2000
	s_delay_alu instid0(SALU_CYCLE_1) | instskip(SKIP_3) | instid1(VALU_DEP_1)
	s_cmp_ge_i32 s1, s29
	s_waitcnt vmcnt(14)
	v_mul_f32_e32 v17, v2, v1
	s_waitcnt vmcnt(13)
	v_mul_f32_e32 v17, v17, v4
	s_waitcnt vmcnt(12)
	s_delay_alu instid0(VALU_DEP_1) | instskip(SKIP_1) | instid1(VALU_DEP_1)
	v_mul_f32_e32 v17, v17, v3
	s_waitcnt vmcnt(11)
	v_mul_f32_e32 v17, v17, v8
	s_waitcnt vmcnt(10)
	s_delay_alu instid0(VALU_DEP_1) | instskip(SKIP_1) | instid1(VALU_DEP_1)
	;; [unrolled: 5-line block ×6, first 2 shown]
	v_mul_f32_e32 v17, v17, v14
	s_waitcnt vmcnt(1)
	v_mul_f32_e32 v17, v17, v13
	s_waitcnt vmcnt(0)
	s_delay_alu instid0(VALU_DEP_1)
	v_mul_f32_e32 v17, v17, v16
	s_cbranch_scc1 .LBB74_8
; %bb.6:
	v_add_co_u32 v19, s1, s16, v18
	s_delay_alu instid0(VALU_DEP_1)
	v_add_co_ci_u32_e64 v20, null, s17, 0, s1
.LBB74_7:                               ; =>This Inner Loop Header: Depth=1
	s_ashr_i32 s1, s0, 31
	s_delay_alu instid0(SALU_CYCLE_1) | instskip(SKIP_4) | instid1(VALU_DEP_2)
	s_lshl_b64 s[2:3], s[0:1], 2
	s_add_i32 s1, s0, 0x2000
	v_add_co_u32 v12, vcc_lo, v19, s2
	v_add_co_ci_u32_e32 v13, vcc_lo, s3, v20, vcc_lo
	s_addk_i32 s0, 0x1000
	v_add_co_u32 v9, vcc_lo, v12, 0x2000
	s_clause 0x3
	global_load_b32 v2, v[12:13], off
	global_load_b32 v1, v[12:13], off offset:1024
	global_load_b32 v4, v[12:13], off offset:2048
	;; [unrolled: 1-line block ×3, first 2 shown]
	v_add_co_ci_u32_e32 v10, vcc_lo, 0, v13, vcc_lo
	v_add_co_u32 v14, vcc_lo, 0x1000, v12
	v_add_co_ci_u32_e32 v15, vcc_lo, 0, v13, vcc_lo
	s_clause 0x3
	global_load_b32 v8, v[9:10], off offset:-4096
	global_load_b32 v7, v[14:15], off offset:1024
	global_load_b32 v6, v[14:15], off offset:2048
	;; [unrolled: 1-line block ×3, first 2 shown]
	v_add_co_u32 v14, vcc_lo, 0x2000, v12
	v_add_co_ci_u32_e32 v15, vcc_lo, 0, v13, vcc_lo
	s_clause 0x2
	global_load_b32 v11, v[9:10], off
	global_load_b32 v10, v[14:15], off offset:1024
	global_load_b32 v9, v[14:15], off offset:2048
	v_add_co_u32 v21, vcc_lo, 0x3000, v12
	v_add_co_ci_u32_e32 v22, vcc_lo, 0, v13, vcc_lo
	s_clause 0x4
	global_load_b32 v12, v[14:15], off offset:3072
	global_load_b32 v15, v[21:22], off
	global_load_b32 v14, v[21:22], off offset:1024
	global_load_b32 v13, v[21:22], off offset:2048
	;; [unrolled: 1-line block ×3, first 2 shown]
	s_cmp_lt_i32 s1, s29
	s_waitcnt vmcnt(15)
	v_mul_f32_e32 v17, v17, v2
	s_waitcnt vmcnt(14)
	s_delay_alu instid0(VALU_DEP_1) | instskip(SKIP_1) | instid1(VALU_DEP_1)
	v_mul_f32_e32 v17, v17, v1
	s_waitcnt vmcnt(13)
	v_mul_f32_e32 v17, v17, v4
	s_waitcnt vmcnt(12)
	s_delay_alu instid0(VALU_DEP_1) | instskip(SKIP_1) | instid1(VALU_DEP_1)
	v_mul_f32_e32 v17, v17, v3
	;; [unrolled: 5-line block ×7, first 2 shown]
	s_waitcnt vmcnt(1)
	v_mul_f32_e32 v17, v17, v13
	s_waitcnt vmcnt(0)
	s_delay_alu instid0(VALU_DEP_1)
	v_mul_f32_e32 v17, v17, v16
	s_cbranch_scc1 .LBB74_7
.LBB74_8:
	s_ashr_i32 s1, s0, 31
	s_sub_i32 s14, s29, s0
	s_lshl_b64 s[0:1], s[0:1], 2
	v_cmp_gt_u32_e32 vcc_lo, s14, v0
	s_add_u32 s26, s16, s0
	s_addc_u32 s27, s17, s1
	s_and_saveexec_b32 s0, vcc_lo
	s_cbranch_execz .LBB74_10
; %bb.9:
	global_load_b32 v2, v18, s[26:27]
.LBB74_10:
	s_or_b32 exec_lo, exec_lo, s0
	v_or_b32_e32 v19, 0x100, v0
	s_delay_alu instid0(VALU_DEP_1) | instskip(NEXT) | instid1(VALU_DEP_1)
	v_cmp_gt_u32_e64 s0, s14, v19
	s_and_saveexec_b32 s1, s0
	s_cbranch_execz .LBB74_12
; %bb.11:
	global_load_b32 v1, v18, s[26:27] offset:1024
.LBB74_12:
	s_or_b32 exec_lo, exec_lo, s1
	v_or_b32_e32 v19, 0x200, v0
	s_delay_alu instid0(VALU_DEP_1) | instskip(NEXT) | instid1(VALU_DEP_1)
	v_cmp_gt_u32_e64 s1, s14, v19
	s_and_saveexec_b32 s2, s1
	s_cbranch_execz .LBB74_14
; %bb.13:
	global_load_b32 v4, v18, s[26:27] offset:2048
.LBB74_14:
	;; [unrolled: 9-line block ×3, first 2 shown]
	s_or_b32 exec_lo, exec_lo, s3
	v_or_b32_e32 v18, 0x400, v0
	s_delay_alu instid0(VALU_DEP_1) | instskip(NEXT) | instid1(VALU_DEP_1)
	v_cmp_gt_u32_e64 s3, s14, v18
	s_and_saveexec_b32 s4, s3
	s_cbranch_execz .LBB74_18
; %bb.17:
	v_lshlrev_b32_e32 v8, 2, v18
	global_load_b32 v8, v8, s[26:27]
.LBB74_18:
	s_or_b32 exec_lo, exec_lo, s4
	v_or_b32_e32 v18, 0x500, v0
	s_delay_alu instid0(VALU_DEP_1) | instskip(NEXT) | instid1(VALU_DEP_1)
	v_cmp_gt_u32_e64 s4, s14, v18
	s_and_saveexec_b32 s5, s4
	s_cbranch_execz .LBB74_20
; %bb.19:
	v_lshlrev_b32_e32 v7, 2, v18
	global_load_b32 v7, v7, s[26:27]
.LBB74_20:
	;; [unrolled: 10-line block ×12, first 2 shown]
	s_or_b32 exec_lo, exec_lo, s25
	s_waitcnt vmcnt(0)
	v_mul_f32_e32 v2, v17, v2
	s_delay_alu instid0(VALU_DEP_1) | instskip(NEXT) | instid1(VALU_DEP_1)
	v_cndmask_b32_e32 v2, v17, v2, vcc_lo
	v_mul_f32_e32 v1, v1, v2
	s_delay_alu instid0(VALU_DEP_1) | instskip(SKIP_1) | instid1(VALU_DEP_1)
	v_cndmask_b32_e64 v1, v2, v1, s0
	s_mov_b32 s0, exec_lo
	v_mul_f32_e32 v2, v4, v1
	s_delay_alu instid0(VALU_DEP_1) | instskip(NEXT) | instid1(VALU_DEP_1)
	v_cndmask_b32_e64 v1, v1, v2, s1
	v_mul_f32_e32 v2, v3, v1
	s_delay_alu instid0(VALU_DEP_1) | instskip(NEXT) | instid1(VALU_DEP_1)
	v_cndmask_b32_e64 v1, v1, v2, s2
	;; [unrolled: 3-line block ×14, first 2 shown]
	v_mov_b32_dpp v2, v1 quad_perm:[1,0,3,2] row_mask:0xf bank_mask:0xf
	s_delay_alu instid0(VALU_DEP_1) | instskip(NEXT) | instid1(VALU_DEP_1)
	v_mul_f32_e32 v1, v1, v2
	v_mov_b32_dpp v2, v1 quad_perm:[2,3,0,1] row_mask:0xf bank_mask:0xf
	s_delay_alu instid0(VALU_DEP_1) | instskip(NEXT) | instid1(VALU_DEP_1)
	v_mul_f32_e32 v1, v1, v2
	v_mov_b32_dpp v2, v1 row_ror:4 row_mask:0xf bank_mask:0xf
	s_delay_alu instid0(VALU_DEP_1) | instskip(NEXT) | instid1(VALU_DEP_1)
	v_mul_f32_e32 v1, v1, v2
	v_mov_b32_dpp v2, v1 row_ror:8 row_mask:0xf bank_mask:0xf
	s_delay_alu instid0(VALU_DEP_1)
	v_mul_f32_e32 v1, v1, v2
	ds_swizzle_b32 v2, v1 offset:swizzle(BROADCAST,32,15)
	s_waitcnt lgkmcnt(0)
	v_dual_mul_f32 v1, v1, v2 :: v_dual_mov_b32 v2, 0
	ds_bpermute_b32 v2, v2, v1 offset:124
	v_mbcnt_lo_u32_b32 v1, -1, 0
	s_delay_alu instid0(VALU_DEP_1)
	v_cmpx_eq_u32_e32 0, v1
	s_cbranch_execz .LBB74_42
; %bb.41:
	v_lshrrev_b32_e32 v3, 3, v0
	s_delay_alu instid0(VALU_DEP_1)
	v_and_b32_e32 v3, 28, v3
	s_waitcnt lgkmcnt(0)
	ds_store_b32 v3, v2
.LBB74_42:
	s_or_b32 exec_lo, exec_lo, s0
	s_delay_alu instid0(SALU_CYCLE_1)
	s_mov_b32 s0, exec_lo
	s_waitcnt lgkmcnt(0)
	s_barrier
	buffer_gl0_inv
	v_cmpx_gt_u32_e32 32, v0
	s_cbranch_execz .LBB74_44
; %bb.43:
	v_and_b32_e32 v2, 7, v1
	s_delay_alu instid0(VALU_DEP_1) | instskip(SKIP_3) | instid1(VALU_DEP_1)
	v_lshlrev_b32_e32 v3, 2, v2
	v_cmp_ne_u32_e32 vcc_lo, 7, v2
	ds_load_b32 v3, v3
	v_add_co_ci_u32_e32 v4, vcc_lo, 0, v1, vcc_lo
	v_lshlrev_b32_e32 v4, 2, v4
	s_waitcnt lgkmcnt(0)
	ds_bpermute_b32 v4, v4, v3
	s_waitcnt lgkmcnt(0)
	v_mul_f32_e32 v3, v3, v4
	v_cmp_gt_u32_e32 vcc_lo, 6, v2
	v_cndmask_b32_e64 v5, 0, 1, vcc_lo
	v_cmp_gt_u32_e32 vcc_lo, 4, v2
	s_delay_alu instid0(VALU_DEP_2) | instskip(SKIP_1) | instid1(VALU_DEP_2)
	v_lshlrev_b32_e32 v5, 1, v5
	v_cndmask_b32_e64 v2, 0, 1, vcc_lo
	v_add_lshl_u32 v5, v5, v1, 2
	ds_bpermute_b32 v4, v5, v3
	s_waitcnt lgkmcnt(0)
	v_dual_mul_f32 v3, v3, v4 :: v_dual_lshlrev_b32 v2, 2, v2
	s_delay_alu instid0(VALU_DEP_1)
	v_add_lshl_u32 v1, v2, v1, 2
	ds_bpermute_b32 v1, v1, v3
	s_waitcnt lgkmcnt(0)
	v_mul_f32_e32 v2, v3, v1
.LBB74_44:
	s_or_b32 exec_lo, exec_lo, s0
	s_branch .LBB74_64
.LBB74_45:
                                        ; implicit-def: $vgpr2
	s_cbranch_execz .LBB74_64
; %bb.46:
	s_sub_i32 s2, s29, s24
	s_mov_b32 s0, exec_lo
                                        ; implicit-def: $vgpr3
	v_cmpx_gt_u32_e64 s2, v0
	s_cbranch_execz .LBB74_52
; %bb.47:
	v_add_nc_u32_e32 v1, s24, v0
	s_mov_b32 s1, exec_lo
	s_delay_alu instid0(VALU_DEP_1) | instskip(NEXT) | instid1(VALU_DEP_1)
	v_ashrrev_i32_e32 v2, 31, v1
	v_lshlrev_b64 v[2:3], 2, v[1:2]
	v_add_nc_u32_e32 v1, 0x100, v1
	s_delay_alu instid0(VALU_DEP_2) | instskip(NEXT) | instid1(VALU_DEP_3)
	v_add_co_u32 v2, vcc_lo, s16, v2
	v_add_co_ci_u32_e32 v3, vcc_lo, s17, v3, vcc_lo
	global_load_b32 v3, v[2:3], off
	v_cmpx_gt_i32_e64 s29, v1
	s_cbranch_execz .LBB74_51
; %bb.48:
	s_mov_b32 s3, 0
.LBB74_49:                              ; =>This Inner Loop Header: Depth=1
	v_ashrrev_i32_e32 v2, 31, v1
	s_delay_alu instid0(VALU_DEP_1) | instskip(SKIP_1) | instid1(VALU_DEP_2)
	v_lshlrev_b64 v[4:5], 2, v[1:2]
	v_add_nc_u32_e32 v1, 0x100, v1
	v_add_co_u32 v4, vcc_lo, s16, v4
	s_delay_alu instid0(VALU_DEP_3) | instskip(NEXT) | instid1(VALU_DEP_3)
	v_add_co_ci_u32_e32 v5, vcc_lo, s17, v5, vcc_lo
	v_cmp_le_i32_e32 vcc_lo, s29, v1
	global_load_b32 v2, v[4:5], off
	s_or_b32 s3, vcc_lo, s3
	s_waitcnt vmcnt(0)
	v_mul_f32_e32 v3, v3, v2
	s_and_not1_b32 exec_lo, exec_lo, s3
	s_cbranch_execnz .LBB74_49
; %bb.50:
	s_or_b32 exec_lo, exec_lo, s3
.LBB74_51:
	s_delay_alu instid0(SALU_CYCLE_1)
	s_or_b32 exec_lo, exec_lo, s1
.LBB74_52:
	s_delay_alu instid0(SALU_CYCLE_1) | instskip(SKIP_3) | instid1(VALU_DEP_1)
	s_or_b32 exec_lo, exec_lo, s0
	v_mbcnt_lo_u32_b32 v1, -1, 0
	s_cmpk_lt_u32 s2, 0x100
	s_mov_b32 s0, -1
	v_cmp_eq_u32_e32 vcc_lo, 0, v1
	s_cbranch_scc0 .LBB74_58
; %bb.53:
	v_cmp_ne_u32_e64 s0, 31, v1
	v_add_nc_u32_e32 v6, 1, v1
	v_cmp_gt_u32_e64 s1, 28, v1
	s_delay_alu instid0(VALU_DEP_3) | instskip(SKIP_1) | instid1(VALU_DEP_2)
	v_add_co_ci_u32_e64 v2, s0, 0, v1, s0
	v_cmp_gt_u32_e64 s0, 30, v1
	v_lshlrev_b32_e32 v2, 2, v2
	s_delay_alu instid0(VALU_DEP_2) | instskip(SKIP_4) | instid1(VALU_DEP_1)
	v_cndmask_b32_e64 v4, 0, 1, s0
	s_waitcnt vmcnt(0)
	ds_bpermute_b32 v2, v2, v3
	v_and_b32_e32 v5, 0xe0, v0
	v_lshlrev_b32_e32 v4, 1, v4
	v_add_lshl_u32 v4, v4, v1, 2
	s_waitcnt lgkmcnt(0)
	v_mul_f32_e32 v2, v3, v2
	v_sub_nc_u32_e64 v5, s2, v5 clamp
	s_delay_alu instid0(VALU_DEP_1) | instskip(SKIP_1) | instid1(VALU_DEP_2)
	v_cmp_lt_u32_e64 s0, v6, v5
	v_cndmask_b32_e64 v6, 0, 1, s1
	v_cndmask_b32_e64 v2, v3, v2, s0
	s_delay_alu instid0(VALU_DEP_2)
	v_lshlrev_b32_e32 v6, 2, v6
	ds_bpermute_b32 v4, v4, v2
	v_add_nc_u32_e32 v7, 2, v1
	v_add_lshl_u32 v6, v6, v1, 2
	s_waitcnt lgkmcnt(0)
	v_mul_f32_e32 v4, v2, v4
	s_delay_alu instid0(VALU_DEP_3) | instskip(NEXT) | instid1(VALU_DEP_1)
	v_cmp_lt_u32_e64 s1, v7, v5
	v_cndmask_b32_e64 v2, v2, v4, s1
	v_cmp_gt_u32_e64 s1, 24, v1
	ds_bpermute_b32 v4, v6, v2
	v_cndmask_b32_e64 v6, 0, 1, s1
	v_add_nc_u32_e32 v7, 4, v1
	s_delay_alu instid0(VALU_DEP_2) | instskip(NEXT) | instid1(VALU_DEP_1)
	v_lshlrev_b32_e32 v6, 3, v6
	v_add_lshl_u32 v6, v6, v1, 2
	s_waitcnt lgkmcnt(0)
	v_mul_f32_e32 v4, v2, v4
	v_cmp_lt_u32_e64 s1, v7, v5
	s_delay_alu instid0(VALU_DEP_1) | instskip(SKIP_4) | instid1(VALU_DEP_2)
	v_cndmask_b32_e64 v2, v2, v4, s1
	v_cmp_gt_u32_e64 s1, 16, v1
	ds_bpermute_b32 v4, v6, v2
	v_cndmask_b32_e64 v6, 0, 1, s1
	v_add_nc_u32_e32 v7, 8, v1
	v_lshlrev_b32_e32 v6, 4, v6
	s_waitcnt lgkmcnt(0)
	v_mul_f32_e32 v4, v2, v4
	s_delay_alu instid0(VALU_DEP_3) | instskip(NEXT) | instid1(VALU_DEP_1)
	v_cmp_lt_u32_e64 s1, v7, v5
	v_cndmask_b32_e64 v2, v2, v4, s1
	v_add_lshl_u32 v4, v6, v1, 2
	v_add_nc_u32_e32 v6, 16, v1
	ds_bpermute_b32 v4, v4, v2
	v_cmp_lt_u32_e64 s1, v6, v5
	s_waitcnt lgkmcnt(0)
	v_mul_f32_e32 v4, v2, v4
	s_delay_alu instid0(VALU_DEP_1) | instskip(NEXT) | instid1(VALU_DEP_1)
	v_cndmask_b32_e64 v2, v2, v4, s1
	v_cndmask_b32_e64 v2, v3, v2, s0
	s_and_saveexec_b32 s0, vcc_lo
	s_cbranch_execz .LBB74_55
; %bb.54:
	v_lshrrev_b32_e32 v4, 3, v0
	s_delay_alu instid0(VALU_DEP_1)
	v_and_b32_e32 v4, 28, v4
	ds_store_b32 v4, v2
.LBB74_55:
	s_or_b32 exec_lo, exec_lo, s0
	s_delay_alu instid0(SALU_CYCLE_1)
	s_mov_b32 s1, exec_lo
	s_waitcnt lgkmcnt(0)
	s_barrier
	buffer_gl0_inv
	v_cmpx_gt_u32_e32 8, v0
	s_cbranch_execz .LBB74_57
; %bb.56:
	v_lshlrev_b32_e32 v2, 2, v1
	v_and_b32_e32 v4, 7, v1
	s_add_i32 s2, s2, 31
	s_delay_alu instid0(SALU_CYCLE_1)
	s_lshr_b32 s2, s2, 5
	ds_load_b32 v2, v2
	v_cmp_ne_u32_e32 vcc_lo, 7, v4
	v_add_nc_u32_e32 v7, 1, v4
	v_cmp_gt_u32_e64 s0, 4, v4
	v_add_nc_u32_e32 v8, 2, v4
	v_add_co_ci_u32_e32 v5, vcc_lo, 0, v1, vcc_lo
	v_cmp_gt_u32_e32 vcc_lo, 6, v4
	v_add_nc_u32_e32 v4, 4, v4
	v_cndmask_b32_e64 v6, 0, 1, vcc_lo
	v_cmp_gt_u32_e32 vcc_lo, s2, v7
	v_lshlrev_b32_e32 v5, 2, v5
	v_cndmask_b32_e64 v7, 0, 1, s0
	v_cmp_gt_u32_e64 s0, s2, v8
	s_waitcnt lgkmcnt(0)
	ds_bpermute_b32 v5, v5, v2
	s_waitcnt lgkmcnt(0)
	v_dual_mul_f32 v5, v2, v5 :: v_dual_lshlrev_b32 v6, 1, v6
	s_delay_alu instid0(VALU_DEP_1) | instskip(NEXT) | instid1(VALU_DEP_2)
	v_add_lshl_u32 v6, v6, v1, 2
	v_cndmask_b32_e32 v5, v2, v5, vcc_lo
	ds_bpermute_b32 v6, v6, v5
	s_waitcnt lgkmcnt(0)
	v_mul_f32_e32 v6, v5, v6
	s_delay_alu instid0(VALU_DEP_1) | instskip(SKIP_2) | instid1(VALU_DEP_2)
	v_cndmask_b32_e64 v5, v5, v6, s0
	v_lshlrev_b32_e32 v7, 2, v7
	v_cmp_gt_u32_e64 s0, s2, v4
	v_add_lshl_u32 v6, v7, v1, 2
	ds_bpermute_b32 v6, v6, v5
	s_waitcnt lgkmcnt(0)
	v_mul_f32_e32 v6, v5, v6
	s_delay_alu instid0(VALU_DEP_1) | instskip(NEXT) | instid1(VALU_DEP_1)
	v_cndmask_b32_e64 v4, v5, v6, s0
	v_cndmask_b32_e32 v2, v2, v4, vcc_lo
.LBB74_57:
	s_or_b32 exec_lo, exec_lo, s1
	s_branch .LBB74_64
.LBB74_58:
                                        ; implicit-def: $vgpr2
	s_and_b32 vcc_lo, exec_lo, s0
	s_cbranch_vccz .LBB74_64
; %bb.59:
	s_waitcnt vmcnt(0)
	v_mov_b32_dpp v2, v3 quad_perm:[1,0,3,2] row_mask:0xf bank_mask:0xf
	s_mov_b32 s0, exec_lo
	s_delay_alu instid0(VALU_DEP_1) | instskip(NEXT) | instid1(VALU_DEP_1)
	v_mul_f32_e32 v2, v3, v2
	v_mov_b32_dpp v3, v2 quad_perm:[2,3,0,1] row_mask:0xf bank_mask:0xf
	s_delay_alu instid0(VALU_DEP_1) | instskip(NEXT) | instid1(VALU_DEP_1)
	v_mul_f32_e32 v2, v2, v3
	v_mov_b32_dpp v3, v2 row_ror:4 row_mask:0xf bank_mask:0xf
	s_delay_alu instid0(VALU_DEP_1) | instskip(NEXT) | instid1(VALU_DEP_1)
	v_mul_f32_e32 v2, v2, v3
	v_mov_b32_dpp v3, v2 row_ror:8 row_mask:0xf bank_mask:0xf
	s_delay_alu instid0(VALU_DEP_1)
	v_mul_f32_e32 v2, v2, v3
	ds_swizzle_b32 v3, v2 offset:swizzle(BROADCAST,32,15)
	s_waitcnt lgkmcnt(0)
	v_dual_mul_f32 v2, v2, v3 :: v_dual_mov_b32 v3, 0
	ds_bpermute_b32 v2, v3, v2 offset:124
	v_cmpx_eq_u32_e32 0, v1
	s_cbranch_execz .LBB74_61
; %bb.60:
	v_lshrrev_b32_e32 v3, 3, v0
	s_delay_alu instid0(VALU_DEP_1)
	v_and_b32_e32 v3, 28, v3
	s_waitcnt lgkmcnt(0)
	ds_store_b32 v3, v2
.LBB74_61:
	s_or_b32 exec_lo, exec_lo, s0
	s_delay_alu instid0(SALU_CYCLE_1)
	s_mov_b32 s0, exec_lo
	s_waitcnt lgkmcnt(0)
	s_barrier
	buffer_gl0_inv
	v_cmpx_gt_u32_e32 32, v0
	s_cbranch_execz .LBB74_63
; %bb.62:
	v_and_b32_e32 v2, 7, v1
	s_delay_alu instid0(VALU_DEP_1) | instskip(SKIP_3) | instid1(VALU_DEP_1)
	v_lshlrev_b32_e32 v3, 2, v2
	v_cmp_ne_u32_e32 vcc_lo, 7, v2
	ds_load_b32 v3, v3
	v_add_co_ci_u32_e32 v4, vcc_lo, 0, v1, vcc_lo
	v_lshlrev_b32_e32 v4, 2, v4
	s_waitcnt lgkmcnt(0)
	ds_bpermute_b32 v4, v4, v3
	s_waitcnt lgkmcnt(0)
	v_mul_f32_e32 v3, v3, v4
	v_cmp_gt_u32_e32 vcc_lo, 6, v2
	v_cndmask_b32_e64 v5, 0, 1, vcc_lo
	v_cmp_gt_u32_e32 vcc_lo, 4, v2
	s_delay_alu instid0(VALU_DEP_2) | instskip(SKIP_1) | instid1(VALU_DEP_2)
	v_lshlrev_b32_e32 v5, 1, v5
	v_cndmask_b32_e64 v2, 0, 1, vcc_lo
	v_add_lshl_u32 v5, v5, v1, 2
	ds_bpermute_b32 v4, v5, v3
	s_waitcnt lgkmcnt(0)
	v_dual_mul_f32 v3, v3, v4 :: v_dual_lshlrev_b32 v2, 2, v2
	s_delay_alu instid0(VALU_DEP_1)
	v_add_lshl_u32 v1, v2, v1, 2
	ds_bpermute_b32 v1, v1, v3
	s_waitcnt lgkmcnt(0)
	v_mul_f32_e32 v2, v3, v1
.LBB74_63:
	s_or_b32 exec_lo, exec_lo, s0
.LBB74_64:
	s_delay_alu instid0(SALU_CYCLE_1)
	s_mov_b32 s0, exec_lo
                                        ; implicit-def: $vgpr1
	v_cmpx_eq_u32_e32 0, v0
; %bb.65:
	s_delay_alu instid0(VALU_DEP_2)
	v_mul_f32_e32 v1, s28, v2
	s_or_b32 s15, s15, exec_lo
; %bb.66:
	s_or_b32 exec_lo, exec_lo, s0
	s_and_saveexec_b32 s0, s15
	s_cbranch_execz .LBB74_68
.LBB74_67:
	s_add_u32 s0, s18, s20
	v_mov_b32_e32 v0, 0
	s_addc_u32 s1, s19, s21
	s_add_u32 s0, s0, s22
	s_addc_u32 s1, s1, s23
	global_store_b32 v0, v1, s[0:1]
.LBB74_68:
	s_nop 0
	s_sendmsg sendmsg(MSG_DEALLOC_VGPRS)
	s_endpgm
	.section	.rodata,"a",@progbits
	.p2align	6, 0x0
	.amdhsa_kernel _ZN7rocprim17ROCPRIM_400000_NS6detail17trampoline_kernelINS0_14default_configENS1_32segmented_reduce_config_selectorIfEEZNS1_21segmented_reduce_implIS3_PKfPfPKifN6hipcub16HIPCUB_304000_NS6detail27convert_result_type_wrapperIS8_S9_N2at6native12_GLOBAL__N_110CustomProdEEEEE10hipError_tPvRmT0_T1_jT2_SQ_T4_T3_P12ihipStream_tbEUlT_E_NS1_11comp_targetILNS1_3genE9ELNS1_11target_archE1100ELNS1_3gpuE3ELNS1_3repE0EEENS1_30default_config_static_selectorELNS0_4arch9wavefront6targetE0EEEvSP_
		.amdhsa_group_segment_fixed_size 32
		.amdhsa_private_segment_fixed_size 0
		.amdhsa_kernarg_size 48
		.amdhsa_user_sgpr_count 15
		.amdhsa_user_sgpr_dispatch_ptr 0
		.amdhsa_user_sgpr_queue_ptr 0
		.amdhsa_user_sgpr_kernarg_segment_ptr 1
		.amdhsa_user_sgpr_dispatch_id 0
		.amdhsa_user_sgpr_private_segment_size 0
		.amdhsa_wavefront_size32 1
		.amdhsa_uses_dynamic_stack 0
		.amdhsa_enable_private_segment 0
		.amdhsa_system_sgpr_workgroup_id_x 1
		.amdhsa_system_sgpr_workgroup_id_y 0
		.amdhsa_system_sgpr_workgroup_id_z 0
		.amdhsa_system_sgpr_workgroup_info 0
		.amdhsa_system_vgpr_workitem_id 0
		.amdhsa_next_free_vgpr 23
		.amdhsa_next_free_sgpr 30
		.amdhsa_reserve_vcc 1
		.amdhsa_float_round_mode_32 0
		.amdhsa_float_round_mode_16_64 0
		.amdhsa_float_denorm_mode_32 3
		.amdhsa_float_denorm_mode_16_64 3
		.amdhsa_dx10_clamp 1
		.amdhsa_ieee_mode 1
		.amdhsa_fp16_overflow 0
		.amdhsa_workgroup_processor_mode 1
		.amdhsa_memory_ordered 1
		.amdhsa_forward_progress 0
		.amdhsa_shared_vgpr_count 0
		.amdhsa_exception_fp_ieee_invalid_op 0
		.amdhsa_exception_fp_denorm_src 0
		.amdhsa_exception_fp_ieee_div_zero 0
		.amdhsa_exception_fp_ieee_overflow 0
		.amdhsa_exception_fp_ieee_underflow 0
		.amdhsa_exception_fp_ieee_inexact 0
		.amdhsa_exception_int_div_zero 0
	.end_amdhsa_kernel
	.section	.text._ZN7rocprim17ROCPRIM_400000_NS6detail17trampoline_kernelINS0_14default_configENS1_32segmented_reduce_config_selectorIfEEZNS1_21segmented_reduce_implIS3_PKfPfPKifN6hipcub16HIPCUB_304000_NS6detail27convert_result_type_wrapperIS8_S9_N2at6native12_GLOBAL__N_110CustomProdEEEEE10hipError_tPvRmT0_T1_jT2_SQ_T4_T3_P12ihipStream_tbEUlT_E_NS1_11comp_targetILNS1_3genE9ELNS1_11target_archE1100ELNS1_3gpuE3ELNS1_3repE0EEENS1_30default_config_static_selectorELNS0_4arch9wavefront6targetE0EEEvSP_,"axG",@progbits,_ZN7rocprim17ROCPRIM_400000_NS6detail17trampoline_kernelINS0_14default_configENS1_32segmented_reduce_config_selectorIfEEZNS1_21segmented_reduce_implIS3_PKfPfPKifN6hipcub16HIPCUB_304000_NS6detail27convert_result_type_wrapperIS8_S9_N2at6native12_GLOBAL__N_110CustomProdEEEEE10hipError_tPvRmT0_T1_jT2_SQ_T4_T3_P12ihipStream_tbEUlT_E_NS1_11comp_targetILNS1_3genE9ELNS1_11target_archE1100ELNS1_3gpuE3ELNS1_3repE0EEENS1_30default_config_static_selectorELNS0_4arch9wavefront6targetE0EEEvSP_,comdat
.Lfunc_end74:
	.size	_ZN7rocprim17ROCPRIM_400000_NS6detail17trampoline_kernelINS0_14default_configENS1_32segmented_reduce_config_selectorIfEEZNS1_21segmented_reduce_implIS3_PKfPfPKifN6hipcub16HIPCUB_304000_NS6detail27convert_result_type_wrapperIS8_S9_N2at6native12_GLOBAL__N_110CustomProdEEEEE10hipError_tPvRmT0_T1_jT2_SQ_T4_T3_P12ihipStream_tbEUlT_E_NS1_11comp_targetILNS1_3genE9ELNS1_11target_archE1100ELNS1_3gpuE3ELNS1_3repE0EEENS1_30default_config_static_selectorELNS0_4arch9wavefront6targetE0EEEvSP_, .Lfunc_end74-_ZN7rocprim17ROCPRIM_400000_NS6detail17trampoline_kernelINS0_14default_configENS1_32segmented_reduce_config_selectorIfEEZNS1_21segmented_reduce_implIS3_PKfPfPKifN6hipcub16HIPCUB_304000_NS6detail27convert_result_type_wrapperIS8_S9_N2at6native12_GLOBAL__N_110CustomProdEEEEE10hipError_tPvRmT0_T1_jT2_SQ_T4_T3_P12ihipStream_tbEUlT_E_NS1_11comp_targetILNS1_3genE9ELNS1_11target_archE1100ELNS1_3gpuE3ELNS1_3repE0EEENS1_30default_config_static_selectorELNS0_4arch9wavefront6targetE0EEEvSP_
                                        ; -- End function
	.section	.AMDGPU.csdata,"",@progbits
; Kernel info:
; codeLenInByte = 3552
; NumSgprs: 32
; NumVgprs: 23
; ScratchSize: 0
; MemoryBound: 0
; FloatMode: 240
; IeeeMode: 1
; LDSByteSize: 32 bytes/workgroup (compile time only)
; SGPRBlocks: 3
; VGPRBlocks: 2
; NumSGPRsForWavesPerEU: 32
; NumVGPRsForWavesPerEU: 23
; Occupancy: 16
; WaveLimiterHint : 1
; COMPUTE_PGM_RSRC2:SCRATCH_EN: 0
; COMPUTE_PGM_RSRC2:USER_SGPR: 15
; COMPUTE_PGM_RSRC2:TRAP_HANDLER: 0
; COMPUTE_PGM_RSRC2:TGID_X_EN: 1
; COMPUTE_PGM_RSRC2:TGID_Y_EN: 0
; COMPUTE_PGM_RSRC2:TGID_Z_EN: 0
; COMPUTE_PGM_RSRC2:TIDIG_COMP_CNT: 0
	.section	.text._ZN7rocprim17ROCPRIM_400000_NS6detail17trampoline_kernelINS0_14default_configENS1_32segmented_reduce_config_selectorIfEEZNS1_21segmented_reduce_implIS3_PKfPfPKifN6hipcub16HIPCUB_304000_NS6detail27convert_result_type_wrapperIS8_S9_N2at6native12_GLOBAL__N_110CustomProdEEEEE10hipError_tPvRmT0_T1_jT2_SQ_T4_T3_P12ihipStream_tbEUlT_E_NS1_11comp_targetILNS1_3genE8ELNS1_11target_archE1030ELNS1_3gpuE2ELNS1_3repE0EEENS1_30default_config_static_selectorELNS0_4arch9wavefront6targetE0EEEvSP_,"axG",@progbits,_ZN7rocprim17ROCPRIM_400000_NS6detail17trampoline_kernelINS0_14default_configENS1_32segmented_reduce_config_selectorIfEEZNS1_21segmented_reduce_implIS3_PKfPfPKifN6hipcub16HIPCUB_304000_NS6detail27convert_result_type_wrapperIS8_S9_N2at6native12_GLOBAL__N_110CustomProdEEEEE10hipError_tPvRmT0_T1_jT2_SQ_T4_T3_P12ihipStream_tbEUlT_E_NS1_11comp_targetILNS1_3genE8ELNS1_11target_archE1030ELNS1_3gpuE2ELNS1_3repE0EEENS1_30default_config_static_selectorELNS0_4arch9wavefront6targetE0EEEvSP_,comdat
	.globl	_ZN7rocprim17ROCPRIM_400000_NS6detail17trampoline_kernelINS0_14default_configENS1_32segmented_reduce_config_selectorIfEEZNS1_21segmented_reduce_implIS3_PKfPfPKifN6hipcub16HIPCUB_304000_NS6detail27convert_result_type_wrapperIS8_S9_N2at6native12_GLOBAL__N_110CustomProdEEEEE10hipError_tPvRmT0_T1_jT2_SQ_T4_T3_P12ihipStream_tbEUlT_E_NS1_11comp_targetILNS1_3genE8ELNS1_11target_archE1030ELNS1_3gpuE2ELNS1_3repE0EEENS1_30default_config_static_selectorELNS0_4arch9wavefront6targetE0EEEvSP_ ; -- Begin function _ZN7rocprim17ROCPRIM_400000_NS6detail17trampoline_kernelINS0_14default_configENS1_32segmented_reduce_config_selectorIfEEZNS1_21segmented_reduce_implIS3_PKfPfPKifN6hipcub16HIPCUB_304000_NS6detail27convert_result_type_wrapperIS8_S9_N2at6native12_GLOBAL__N_110CustomProdEEEEE10hipError_tPvRmT0_T1_jT2_SQ_T4_T3_P12ihipStream_tbEUlT_E_NS1_11comp_targetILNS1_3genE8ELNS1_11target_archE1030ELNS1_3gpuE2ELNS1_3repE0EEENS1_30default_config_static_selectorELNS0_4arch9wavefront6targetE0EEEvSP_
	.p2align	8
	.type	_ZN7rocprim17ROCPRIM_400000_NS6detail17trampoline_kernelINS0_14default_configENS1_32segmented_reduce_config_selectorIfEEZNS1_21segmented_reduce_implIS3_PKfPfPKifN6hipcub16HIPCUB_304000_NS6detail27convert_result_type_wrapperIS8_S9_N2at6native12_GLOBAL__N_110CustomProdEEEEE10hipError_tPvRmT0_T1_jT2_SQ_T4_T3_P12ihipStream_tbEUlT_E_NS1_11comp_targetILNS1_3genE8ELNS1_11target_archE1030ELNS1_3gpuE2ELNS1_3repE0EEENS1_30default_config_static_selectorELNS0_4arch9wavefront6targetE0EEEvSP_,@function
_ZN7rocprim17ROCPRIM_400000_NS6detail17trampoline_kernelINS0_14default_configENS1_32segmented_reduce_config_selectorIfEEZNS1_21segmented_reduce_implIS3_PKfPfPKifN6hipcub16HIPCUB_304000_NS6detail27convert_result_type_wrapperIS8_S9_N2at6native12_GLOBAL__N_110CustomProdEEEEE10hipError_tPvRmT0_T1_jT2_SQ_T4_T3_P12ihipStream_tbEUlT_E_NS1_11comp_targetILNS1_3genE8ELNS1_11target_archE1030ELNS1_3gpuE2ELNS1_3repE0EEENS1_30default_config_static_selectorELNS0_4arch9wavefront6targetE0EEEvSP_: ; @_ZN7rocprim17ROCPRIM_400000_NS6detail17trampoline_kernelINS0_14default_configENS1_32segmented_reduce_config_selectorIfEEZNS1_21segmented_reduce_implIS3_PKfPfPKifN6hipcub16HIPCUB_304000_NS6detail27convert_result_type_wrapperIS8_S9_N2at6native12_GLOBAL__N_110CustomProdEEEEE10hipError_tPvRmT0_T1_jT2_SQ_T4_T3_P12ihipStream_tbEUlT_E_NS1_11comp_targetILNS1_3genE8ELNS1_11target_archE1030ELNS1_3gpuE2ELNS1_3repE0EEENS1_30default_config_static_selectorELNS0_4arch9wavefront6targetE0EEEvSP_
; %bb.0:
	.section	.rodata,"a",@progbits
	.p2align	6, 0x0
	.amdhsa_kernel _ZN7rocprim17ROCPRIM_400000_NS6detail17trampoline_kernelINS0_14default_configENS1_32segmented_reduce_config_selectorIfEEZNS1_21segmented_reduce_implIS3_PKfPfPKifN6hipcub16HIPCUB_304000_NS6detail27convert_result_type_wrapperIS8_S9_N2at6native12_GLOBAL__N_110CustomProdEEEEE10hipError_tPvRmT0_T1_jT2_SQ_T4_T3_P12ihipStream_tbEUlT_E_NS1_11comp_targetILNS1_3genE8ELNS1_11target_archE1030ELNS1_3gpuE2ELNS1_3repE0EEENS1_30default_config_static_selectorELNS0_4arch9wavefront6targetE0EEEvSP_
		.amdhsa_group_segment_fixed_size 0
		.amdhsa_private_segment_fixed_size 0
		.amdhsa_kernarg_size 48
		.amdhsa_user_sgpr_count 15
		.amdhsa_user_sgpr_dispatch_ptr 0
		.amdhsa_user_sgpr_queue_ptr 0
		.amdhsa_user_sgpr_kernarg_segment_ptr 1
		.amdhsa_user_sgpr_dispatch_id 0
		.amdhsa_user_sgpr_private_segment_size 0
		.amdhsa_wavefront_size32 1
		.amdhsa_uses_dynamic_stack 0
		.amdhsa_enable_private_segment 0
		.amdhsa_system_sgpr_workgroup_id_x 1
		.amdhsa_system_sgpr_workgroup_id_y 0
		.amdhsa_system_sgpr_workgroup_id_z 0
		.amdhsa_system_sgpr_workgroup_info 0
		.amdhsa_system_vgpr_workitem_id 0
		.amdhsa_next_free_vgpr 1
		.amdhsa_next_free_sgpr 1
		.amdhsa_reserve_vcc 0
		.amdhsa_float_round_mode_32 0
		.amdhsa_float_round_mode_16_64 0
		.amdhsa_float_denorm_mode_32 3
		.amdhsa_float_denorm_mode_16_64 3
		.amdhsa_dx10_clamp 1
		.amdhsa_ieee_mode 1
		.amdhsa_fp16_overflow 0
		.amdhsa_workgroup_processor_mode 1
		.amdhsa_memory_ordered 1
		.amdhsa_forward_progress 0
		.amdhsa_shared_vgpr_count 0
		.amdhsa_exception_fp_ieee_invalid_op 0
		.amdhsa_exception_fp_denorm_src 0
		.amdhsa_exception_fp_ieee_div_zero 0
		.amdhsa_exception_fp_ieee_overflow 0
		.amdhsa_exception_fp_ieee_underflow 0
		.amdhsa_exception_fp_ieee_inexact 0
		.amdhsa_exception_int_div_zero 0
	.end_amdhsa_kernel
	.section	.text._ZN7rocprim17ROCPRIM_400000_NS6detail17trampoline_kernelINS0_14default_configENS1_32segmented_reduce_config_selectorIfEEZNS1_21segmented_reduce_implIS3_PKfPfPKifN6hipcub16HIPCUB_304000_NS6detail27convert_result_type_wrapperIS8_S9_N2at6native12_GLOBAL__N_110CustomProdEEEEE10hipError_tPvRmT0_T1_jT2_SQ_T4_T3_P12ihipStream_tbEUlT_E_NS1_11comp_targetILNS1_3genE8ELNS1_11target_archE1030ELNS1_3gpuE2ELNS1_3repE0EEENS1_30default_config_static_selectorELNS0_4arch9wavefront6targetE0EEEvSP_,"axG",@progbits,_ZN7rocprim17ROCPRIM_400000_NS6detail17trampoline_kernelINS0_14default_configENS1_32segmented_reduce_config_selectorIfEEZNS1_21segmented_reduce_implIS3_PKfPfPKifN6hipcub16HIPCUB_304000_NS6detail27convert_result_type_wrapperIS8_S9_N2at6native12_GLOBAL__N_110CustomProdEEEEE10hipError_tPvRmT0_T1_jT2_SQ_T4_T3_P12ihipStream_tbEUlT_E_NS1_11comp_targetILNS1_3genE8ELNS1_11target_archE1030ELNS1_3gpuE2ELNS1_3repE0EEENS1_30default_config_static_selectorELNS0_4arch9wavefront6targetE0EEEvSP_,comdat
.Lfunc_end75:
	.size	_ZN7rocprim17ROCPRIM_400000_NS6detail17trampoline_kernelINS0_14default_configENS1_32segmented_reduce_config_selectorIfEEZNS1_21segmented_reduce_implIS3_PKfPfPKifN6hipcub16HIPCUB_304000_NS6detail27convert_result_type_wrapperIS8_S9_N2at6native12_GLOBAL__N_110CustomProdEEEEE10hipError_tPvRmT0_T1_jT2_SQ_T4_T3_P12ihipStream_tbEUlT_E_NS1_11comp_targetILNS1_3genE8ELNS1_11target_archE1030ELNS1_3gpuE2ELNS1_3repE0EEENS1_30default_config_static_selectorELNS0_4arch9wavefront6targetE0EEEvSP_, .Lfunc_end75-_ZN7rocprim17ROCPRIM_400000_NS6detail17trampoline_kernelINS0_14default_configENS1_32segmented_reduce_config_selectorIfEEZNS1_21segmented_reduce_implIS3_PKfPfPKifN6hipcub16HIPCUB_304000_NS6detail27convert_result_type_wrapperIS8_S9_N2at6native12_GLOBAL__N_110CustomProdEEEEE10hipError_tPvRmT0_T1_jT2_SQ_T4_T3_P12ihipStream_tbEUlT_E_NS1_11comp_targetILNS1_3genE8ELNS1_11target_archE1030ELNS1_3gpuE2ELNS1_3repE0EEENS1_30default_config_static_selectorELNS0_4arch9wavefront6targetE0EEEvSP_
                                        ; -- End function
	.section	.AMDGPU.csdata,"",@progbits
; Kernel info:
; codeLenInByte = 0
; NumSgprs: 0
; NumVgprs: 0
; ScratchSize: 0
; MemoryBound: 0
; FloatMode: 240
; IeeeMode: 1
; LDSByteSize: 0 bytes/workgroup (compile time only)
; SGPRBlocks: 0
; VGPRBlocks: 0
; NumSGPRsForWavesPerEU: 1
; NumVGPRsForWavesPerEU: 1
; Occupancy: 16
; WaveLimiterHint : 0
; COMPUTE_PGM_RSRC2:SCRATCH_EN: 0
; COMPUTE_PGM_RSRC2:USER_SGPR: 15
; COMPUTE_PGM_RSRC2:TRAP_HANDLER: 0
; COMPUTE_PGM_RSRC2:TGID_X_EN: 1
; COMPUTE_PGM_RSRC2:TGID_Y_EN: 0
; COMPUTE_PGM_RSRC2:TGID_Z_EN: 0
; COMPUTE_PGM_RSRC2:TIDIG_COMP_CNT: 0
	.section	.text._ZN2at6native12_GLOBAL__N_129segment_reduce_forward_kernelIN3c104HalfEiEEvNS0_13ReductionTypeEPT_PKS6_PKT0_SC_llbS6_lllllll,"axG",@progbits,_ZN2at6native12_GLOBAL__N_129segment_reduce_forward_kernelIN3c104HalfEiEEvNS0_13ReductionTypeEPT_PKS6_PKT0_SC_llbS6_lllllll,comdat
	.globl	_ZN2at6native12_GLOBAL__N_129segment_reduce_forward_kernelIN3c104HalfEiEEvNS0_13ReductionTypeEPT_PKS6_PKT0_SC_llbS6_lllllll ; -- Begin function _ZN2at6native12_GLOBAL__N_129segment_reduce_forward_kernelIN3c104HalfEiEEvNS0_13ReductionTypeEPT_PKS6_PKT0_SC_llbS6_lllllll
	.p2align	8
	.type	_ZN2at6native12_GLOBAL__N_129segment_reduce_forward_kernelIN3c104HalfEiEEvNS0_13ReductionTypeEPT_PKS6_PKT0_SC_llbS6_lllllll,@function
_ZN2at6native12_GLOBAL__N_129segment_reduce_forward_kernelIN3c104HalfEiEEvNS0_13ReductionTypeEPT_PKS6_PKT0_SC_llbS6_lllllll: ; @_ZN2at6native12_GLOBAL__N_129segment_reduce_forward_kernelIN3c104HalfEiEEvNS0_13ReductionTypeEPT_PKS6_PKT0_SC_llbS6_lllllll
; %bb.0:
	s_clause 0x2
	s_load_b128 s[28:31], s[0:1], 0x28
	s_load_b32 s2, s[0:1], 0x84
	s_load_b256 s[20:27], s[0:1], 0x40
	v_mov_b32_e32 v4, 0
	s_delay_alu instid0(VALU_DEP_1)
	v_mov_b32_e32 v1, v4
	s_waitcnt lgkmcnt(0)
	s_and_b32 s2, s2, 0xffff
	s_mul_i32 s3, s20, s29
	s_mul_hi_u32 s4, s20, s28
	s_mul_i32 s5, s21, s28
	s_mul_i32 s6, s20, s28
	v_mad_u64_u32 v[2:3], null, s2, s15, v[0:1]
	s_add_i32 s2, s4, s3
	s_mul_i32 s3, s6, s23
	s_mul_hi_u32 s4, s6, s22
	s_add_i32 s2, s2, s5
	s_add_i32 s3, s4, s3
	s_mul_i32 s2, s2, s22
	s_delay_alu instid0(SALU_CYCLE_1) | instskip(SKIP_1) | instid1(SALU_CYCLE_1)
	s_add_i32 s3, s3, s2
	s_mul_i32 s2, s6, s22
	v_cmp_gt_i64_e32 vcc_lo, s[2:3], v[2:3]
	s_and_saveexec_b32 s2, vcc_lo
	s_cbranch_execz .LBB76_37
; %bb.1:
	v_or_b32_e32 v5, s23, v3
	s_delay_alu instid0(VALU_DEP_1) | instskip(SKIP_1) | instid1(SALU_CYCLE_1)
	v_cmp_ne_u64_e32 vcc_lo, 0, v[4:5]
                                        ; implicit-def: $vgpr4_vgpr5
	s_and_saveexec_b32 s2, vcc_lo
	s_xor_b32 s3, exec_lo, s2
	s_cbranch_execz .LBB76_3
; %bb.2:
	s_ashr_i32 s4, s23, 31
	s_delay_alu instid0(SALU_CYCLE_1) | instskip(SKIP_2) | instid1(SALU_CYCLE_1)
	s_add_u32 s6, s22, s4
	s_mov_b32 s5, s4
	s_addc_u32 s7, s23, s4
	s_xor_b64 s[6:7], s[6:7], s[4:5]
	s_delay_alu instid0(SALU_CYCLE_1) | instskip(SKIP_3) | instid1(VALU_DEP_1)
	v_cvt_f32_u32_e32 v0, s6
	v_cvt_f32_u32_e32 v1, s7
	s_sub_u32 s2, 0, s6
	s_subb_u32 s5, 0, s7
	v_fmamk_f32 v0, v1, 0x4f800000, v0
	s_delay_alu instid0(VALU_DEP_1) | instskip(SKIP_2) | instid1(VALU_DEP_1)
	v_rcp_f32_e32 v0, v0
	s_waitcnt_depctr 0xfff
	v_mul_f32_e32 v0, 0x5f7ffffc, v0
	v_mul_f32_e32 v1, 0x2f800000, v0
	s_delay_alu instid0(VALU_DEP_1) | instskip(NEXT) | instid1(VALU_DEP_1)
	v_trunc_f32_e32 v1, v1
	v_fmamk_f32 v0, v1, 0xcf800000, v0
	v_cvt_u32_f32_e32 v1, v1
	s_delay_alu instid0(VALU_DEP_2) | instskip(NEXT) | instid1(VALU_DEP_2)
	v_cvt_u32_f32_e32 v0, v0
	v_mul_lo_u32 v4, s2, v1
	s_delay_alu instid0(VALU_DEP_2) | instskip(SKIP_1) | instid1(VALU_DEP_2)
	v_mul_hi_u32 v5, s2, v0
	v_mul_lo_u32 v6, s5, v0
	v_add_nc_u32_e32 v4, v5, v4
	v_mul_lo_u32 v5, s2, v0
	s_delay_alu instid0(VALU_DEP_2) | instskip(NEXT) | instid1(VALU_DEP_2)
	v_add_nc_u32_e32 v4, v4, v6
	v_mul_hi_u32 v6, v0, v5
	s_delay_alu instid0(VALU_DEP_2)
	v_mul_lo_u32 v7, v0, v4
	v_mul_hi_u32 v8, v0, v4
	v_mul_hi_u32 v9, v1, v5
	v_mul_lo_u32 v5, v1, v5
	v_mul_hi_u32 v10, v1, v4
	v_mul_lo_u32 v4, v1, v4
	v_add_co_u32 v6, vcc_lo, v6, v7
	v_add_co_ci_u32_e32 v7, vcc_lo, 0, v8, vcc_lo
	s_delay_alu instid0(VALU_DEP_2) | instskip(NEXT) | instid1(VALU_DEP_2)
	v_add_co_u32 v5, vcc_lo, v6, v5
	v_add_co_ci_u32_e32 v5, vcc_lo, v7, v9, vcc_lo
	v_add_co_ci_u32_e32 v6, vcc_lo, 0, v10, vcc_lo
	v_ashrrev_i32_e32 v9, 31, v3
	s_delay_alu instid0(VALU_DEP_3) | instskip(NEXT) | instid1(VALU_DEP_3)
	v_add_co_u32 v4, vcc_lo, v5, v4
	v_add_co_ci_u32_e32 v5, vcc_lo, 0, v6, vcc_lo
	s_delay_alu instid0(VALU_DEP_2) | instskip(NEXT) | instid1(VALU_DEP_2)
	v_add_co_u32 v0, vcc_lo, v0, v4
	v_add_co_ci_u32_e32 v1, vcc_lo, v1, v5, vcc_lo
	s_delay_alu instid0(VALU_DEP_2) | instskip(SKIP_1) | instid1(VALU_DEP_3)
	v_mul_hi_u32 v4, s2, v0
	v_mul_lo_u32 v6, s5, v0
	v_mul_lo_u32 v5, s2, v1
	s_delay_alu instid0(VALU_DEP_1) | instskip(SKIP_1) | instid1(VALU_DEP_2)
	v_add_nc_u32_e32 v4, v4, v5
	v_mul_lo_u32 v5, s2, v0
	v_add_nc_u32_e32 v4, v4, v6
	s_delay_alu instid0(VALU_DEP_2) | instskip(NEXT) | instid1(VALU_DEP_2)
	v_mul_hi_u32 v6, v0, v5
	v_mul_lo_u32 v7, v0, v4
	v_mul_hi_u32 v8, v0, v4
	v_mul_hi_u32 v10, v1, v5
	v_mul_lo_u32 v5, v1, v5
	v_mul_hi_u32 v11, v1, v4
	v_mul_lo_u32 v4, v1, v4
	v_add_co_u32 v6, vcc_lo, v6, v7
	v_add_co_ci_u32_e32 v7, vcc_lo, 0, v8, vcc_lo
	s_delay_alu instid0(VALU_DEP_2) | instskip(NEXT) | instid1(VALU_DEP_2)
	v_add_co_u32 v5, vcc_lo, v6, v5
	v_add_co_ci_u32_e32 v5, vcc_lo, v7, v10, vcc_lo
	v_add_co_ci_u32_e32 v6, vcc_lo, 0, v11, vcc_lo
	v_add_co_u32 v7, vcc_lo, v2, v9
	v_add_co_ci_u32_e32 v8, vcc_lo, v3, v9, vcc_lo
	s_delay_alu instid0(VALU_DEP_4) | instskip(NEXT) | instid1(VALU_DEP_4)
	v_add_co_u32 v4, vcc_lo, v5, v4
	v_add_co_ci_u32_e32 v5, vcc_lo, 0, v6, vcc_lo
	s_delay_alu instid0(VALU_DEP_4) | instskip(NEXT) | instid1(VALU_DEP_3)
	v_xor_b32_e32 v10, v7, v9
	v_add_co_u32 v6, vcc_lo, v0, v4
	s_delay_alu instid0(VALU_DEP_3) | instskip(SKIP_1) | instid1(VALU_DEP_3)
	v_add_co_ci_u32_e32 v11, vcc_lo, v1, v5, vcc_lo
	v_xor_b32_e32 v8, v8, v9
	v_mul_hi_u32 v12, v10, v6
	s_delay_alu instid0(VALU_DEP_3) | instskip(NEXT) | instid1(VALU_DEP_3)
	v_mad_u64_u32 v[0:1], null, v10, v11, 0
	v_mad_u64_u32 v[4:5], null, v8, v6, 0
	;; [unrolled: 1-line block ×3, first 2 shown]
	s_delay_alu instid0(VALU_DEP_3) | instskip(NEXT) | instid1(VALU_DEP_4)
	v_add_co_u32 v0, vcc_lo, v12, v0
	v_add_co_ci_u32_e32 v1, vcc_lo, 0, v1, vcc_lo
	s_delay_alu instid0(VALU_DEP_2) | instskip(NEXT) | instid1(VALU_DEP_2)
	v_add_co_u32 v0, vcc_lo, v0, v4
	v_add_co_ci_u32_e32 v0, vcc_lo, v1, v5, vcc_lo
	v_add_co_ci_u32_e32 v1, vcc_lo, 0, v7, vcc_lo
	s_delay_alu instid0(VALU_DEP_2) | instskip(NEXT) | instid1(VALU_DEP_2)
	v_add_co_u32 v4, vcc_lo, v0, v6
	v_add_co_ci_u32_e32 v5, vcc_lo, 0, v1, vcc_lo
	s_delay_alu instid0(VALU_DEP_2) | instskip(SKIP_1) | instid1(VALU_DEP_3)
	v_mul_lo_u32 v6, s7, v4
	v_mad_u64_u32 v[0:1], null, s6, v4, 0
	v_mul_lo_u32 v7, s6, v5
	s_delay_alu instid0(VALU_DEP_2) | instskip(NEXT) | instid1(VALU_DEP_2)
	v_sub_co_u32 v0, vcc_lo, v10, v0
	v_add3_u32 v1, v1, v7, v6
	s_delay_alu instid0(VALU_DEP_1) | instskip(NEXT) | instid1(VALU_DEP_1)
	v_sub_nc_u32_e32 v6, v8, v1
	v_subrev_co_ci_u32_e64 v6, s2, s7, v6, vcc_lo
	v_add_co_u32 v7, s2, v4, 2
	s_delay_alu instid0(VALU_DEP_1) | instskip(SKIP_3) | instid1(VALU_DEP_3)
	v_add_co_ci_u32_e64 v10, s2, 0, v5, s2
	v_sub_co_u32 v11, s2, v0, s6
	v_sub_co_ci_u32_e32 v1, vcc_lo, v8, v1, vcc_lo
	v_subrev_co_ci_u32_e64 v6, s2, 0, v6, s2
	v_cmp_le_u32_e32 vcc_lo, s6, v11
	s_delay_alu instid0(VALU_DEP_3) | instskip(SKIP_1) | instid1(VALU_DEP_4)
	v_cmp_eq_u32_e64 s2, s7, v1
	v_cndmask_b32_e64 v8, 0, -1, vcc_lo
	v_cmp_le_u32_e32 vcc_lo, s7, v6
	v_cndmask_b32_e64 v11, 0, -1, vcc_lo
	v_cmp_le_u32_e32 vcc_lo, s6, v0
	;; [unrolled: 2-line block ×3, first 2 shown]
	v_cndmask_b32_e64 v12, 0, -1, vcc_lo
	v_cmp_eq_u32_e32 vcc_lo, s7, v6
	s_delay_alu instid0(VALU_DEP_2) | instskip(SKIP_3) | instid1(VALU_DEP_3)
	v_cndmask_b32_e64 v0, v12, v0, s2
	v_cndmask_b32_e32 v6, v11, v8, vcc_lo
	v_add_co_u32 v8, vcc_lo, v4, 1
	v_add_co_ci_u32_e32 v11, vcc_lo, 0, v5, vcc_lo
	v_cmp_ne_u32_e32 vcc_lo, 0, v6
	s_delay_alu instid0(VALU_DEP_2) | instskip(SKIP_2) | instid1(VALU_DEP_3)
	v_dual_cndmask_b32 v1, v11, v10 :: v_dual_cndmask_b32 v6, v8, v7
	v_cmp_ne_u32_e32 vcc_lo, 0, v0
	v_xor_b32_e32 v0, s4, v9
	v_dual_cndmask_b32 v4, v4, v6 :: v_dual_cndmask_b32 v1, v5, v1
	s_delay_alu instid0(VALU_DEP_1) | instskip(NEXT) | instid1(VALU_DEP_2)
	v_xor_b32_e32 v4, v4, v0
	v_xor_b32_e32 v1, v1, v0
	s_delay_alu instid0(VALU_DEP_2) | instskip(NEXT) | instid1(VALU_DEP_2)
	v_sub_co_u32 v4, vcc_lo, v4, v0
	v_sub_co_ci_u32_e32 v5, vcc_lo, v1, v0, vcc_lo
.LBB76_3:
	s_or_saveexec_b32 s2, s3
	s_clause 0x1
	s_load_b256 s[4:11], s[0:1], 0x8
	s_load_b256 s[12:19], s[0:1], 0x60
	s_xor_b32 exec_lo, exec_lo, s2
	s_cbranch_execz .LBB76_5
; %bb.4:
	v_cvt_f32_u32_e32 v0, s22
	s_sub_i32 s3, 0, s22
	s_delay_alu instid0(VALU_DEP_1) | instskip(SKIP_2) | instid1(VALU_DEP_1)
	v_rcp_iflag_f32_e32 v0, v0
	s_waitcnt_depctr 0xfff
	v_mul_f32_e32 v0, 0x4f7ffffe, v0
	v_cvt_u32_f32_e32 v0, v0
	s_delay_alu instid0(VALU_DEP_1) | instskip(NEXT) | instid1(VALU_DEP_1)
	v_mul_lo_u32 v1, s3, v0
	v_mul_hi_u32 v1, v0, v1
	s_delay_alu instid0(VALU_DEP_1) | instskip(NEXT) | instid1(VALU_DEP_1)
	v_add_nc_u32_e32 v0, v0, v1
	v_mul_hi_u32 v0, v2, v0
	s_delay_alu instid0(VALU_DEP_1) | instskip(SKIP_1) | instid1(VALU_DEP_2)
	v_mul_lo_u32 v1, v0, s22
	v_add_nc_u32_e32 v4, 1, v0
	v_sub_nc_u32_e32 v1, v2, v1
	s_delay_alu instid0(VALU_DEP_1) | instskip(SKIP_1) | instid1(VALU_DEP_2)
	v_subrev_nc_u32_e32 v5, s22, v1
	v_cmp_le_u32_e32 vcc_lo, s22, v1
	v_cndmask_b32_e32 v1, v1, v5, vcc_lo
	v_dual_mov_b32 v5, 0 :: v_dual_cndmask_b32 v0, v0, v4
	s_delay_alu instid0(VALU_DEP_2) | instskip(NEXT) | instid1(VALU_DEP_2)
	v_cmp_le_u32_e32 vcc_lo, s22, v1
	v_add_nc_u32_e32 v4, 1, v0
	s_delay_alu instid0(VALU_DEP_1)
	v_cndmask_b32_e32 v4, v0, v4, vcc_lo
.LBB76_5:
	s_or_b32 exec_lo, exec_lo, s2
	v_or_b32_e32 v1, s29, v5
	v_mov_b32_e32 v0, 0
	s_delay_alu instid0(VALU_DEP_1) | instskip(SKIP_1) | instid1(SALU_CYCLE_1)
	v_cmp_ne_u64_e32 vcc_lo, 0, v[0:1]
                                        ; implicit-def: $vgpr0_vgpr1
	s_and_saveexec_b32 s2, vcc_lo
	s_xor_b32 s3, exec_lo, s2
	s_cbranch_execz .LBB76_7
; %bb.6:
	s_waitcnt lgkmcnt(0)
	s_ashr_i32 s18, s29, 31
	s_delay_alu instid0(SALU_CYCLE_1) | instskip(SKIP_2) | instid1(SALU_CYCLE_1)
	s_add_u32 s20, s28, s18
	s_mov_b32 s19, s18
	s_addc_u32 s21, s29, s18
	s_xor_b64 s[20:21], s[20:21], s[18:19]
	s_delay_alu instid0(SALU_CYCLE_1) | instskip(SKIP_3) | instid1(VALU_DEP_1)
	v_cvt_f32_u32_e32 v0, s20
	v_cvt_f32_u32_e32 v1, s21
	s_sub_u32 s2, 0, s20
	s_subb_u32 s19, 0, s21
	v_fmamk_f32 v0, v1, 0x4f800000, v0
	s_delay_alu instid0(VALU_DEP_1) | instskip(SKIP_2) | instid1(VALU_DEP_1)
	v_rcp_f32_e32 v0, v0
	s_waitcnt_depctr 0xfff
	v_mul_f32_e32 v0, 0x5f7ffffc, v0
	v_mul_f32_e32 v1, 0x2f800000, v0
	s_delay_alu instid0(VALU_DEP_1) | instskip(NEXT) | instid1(VALU_DEP_1)
	v_trunc_f32_e32 v1, v1
	v_fmamk_f32 v0, v1, 0xcf800000, v0
	v_cvt_u32_f32_e32 v1, v1
	s_delay_alu instid0(VALU_DEP_2) | instskip(NEXT) | instid1(VALU_DEP_2)
	v_cvt_u32_f32_e32 v0, v0
	v_mul_lo_u32 v6, s2, v1
	s_delay_alu instid0(VALU_DEP_2) | instskip(SKIP_1) | instid1(VALU_DEP_2)
	v_mul_hi_u32 v7, s2, v0
	v_mul_lo_u32 v8, s19, v0
	v_add_nc_u32_e32 v6, v7, v6
	v_mul_lo_u32 v7, s2, v0
	s_delay_alu instid0(VALU_DEP_2) | instskip(NEXT) | instid1(VALU_DEP_2)
	v_add_nc_u32_e32 v6, v6, v8
	v_mul_hi_u32 v8, v0, v7
	s_delay_alu instid0(VALU_DEP_2)
	v_mul_lo_u32 v9, v0, v6
	v_mul_hi_u32 v10, v0, v6
	v_mul_hi_u32 v11, v1, v7
	v_mul_lo_u32 v7, v1, v7
	v_mul_hi_u32 v12, v1, v6
	v_mul_lo_u32 v6, v1, v6
	v_add_co_u32 v8, vcc_lo, v8, v9
	v_add_co_ci_u32_e32 v9, vcc_lo, 0, v10, vcc_lo
	s_delay_alu instid0(VALU_DEP_2) | instskip(NEXT) | instid1(VALU_DEP_2)
	v_add_co_u32 v7, vcc_lo, v8, v7
	v_add_co_ci_u32_e32 v7, vcc_lo, v9, v11, vcc_lo
	v_add_co_ci_u32_e32 v8, vcc_lo, 0, v12, vcc_lo
	v_ashrrev_i32_e32 v11, 31, v5
	s_delay_alu instid0(VALU_DEP_3) | instskip(NEXT) | instid1(VALU_DEP_3)
	v_add_co_u32 v6, vcc_lo, v7, v6
	v_add_co_ci_u32_e32 v7, vcc_lo, 0, v8, vcc_lo
	s_delay_alu instid0(VALU_DEP_2) | instskip(NEXT) | instid1(VALU_DEP_2)
	v_add_co_u32 v0, vcc_lo, v0, v6
	v_add_co_ci_u32_e32 v1, vcc_lo, v1, v7, vcc_lo
	s_delay_alu instid0(VALU_DEP_2) | instskip(SKIP_1) | instid1(VALU_DEP_3)
	v_mul_hi_u32 v6, s2, v0
	v_mul_lo_u32 v8, s19, v0
	v_mul_lo_u32 v7, s2, v1
	s_delay_alu instid0(VALU_DEP_1) | instskip(SKIP_1) | instid1(VALU_DEP_2)
	v_add_nc_u32_e32 v6, v6, v7
	v_mul_lo_u32 v7, s2, v0
	v_add_nc_u32_e32 v6, v6, v8
	s_delay_alu instid0(VALU_DEP_2) | instskip(NEXT) | instid1(VALU_DEP_2)
	v_mul_hi_u32 v8, v0, v7
	v_mul_lo_u32 v9, v0, v6
	v_mul_hi_u32 v10, v0, v6
	v_mul_hi_u32 v12, v1, v7
	v_mul_lo_u32 v7, v1, v7
	v_mul_hi_u32 v13, v1, v6
	v_mul_lo_u32 v6, v1, v6
	v_add_co_u32 v8, vcc_lo, v8, v9
	v_add_co_ci_u32_e32 v9, vcc_lo, 0, v10, vcc_lo
	s_delay_alu instid0(VALU_DEP_2) | instskip(NEXT) | instid1(VALU_DEP_2)
	v_add_co_u32 v7, vcc_lo, v8, v7
	v_add_co_ci_u32_e32 v7, vcc_lo, v9, v12, vcc_lo
	v_add_co_ci_u32_e32 v8, vcc_lo, 0, v13, vcc_lo
	v_add_co_u32 v9, vcc_lo, v4, v11
	v_add_co_ci_u32_e32 v10, vcc_lo, v5, v11, vcc_lo
	s_delay_alu instid0(VALU_DEP_4) | instskip(NEXT) | instid1(VALU_DEP_4)
	v_add_co_u32 v6, vcc_lo, v7, v6
	v_add_co_ci_u32_e32 v7, vcc_lo, 0, v8, vcc_lo
	s_delay_alu instid0(VALU_DEP_4) | instskip(NEXT) | instid1(VALU_DEP_3)
	v_xor_b32_e32 v12, v9, v11
	v_add_co_u32 v8, vcc_lo, v0, v6
	s_delay_alu instid0(VALU_DEP_3) | instskip(SKIP_1) | instid1(VALU_DEP_3)
	v_add_co_ci_u32_e32 v13, vcc_lo, v1, v7, vcc_lo
	v_xor_b32_e32 v10, v10, v11
	v_mul_hi_u32 v14, v12, v8
	s_delay_alu instid0(VALU_DEP_3) | instskip(NEXT) | instid1(VALU_DEP_3)
	v_mad_u64_u32 v[0:1], null, v12, v13, 0
	v_mad_u64_u32 v[6:7], null, v10, v8, 0
	;; [unrolled: 1-line block ×3, first 2 shown]
	s_delay_alu instid0(VALU_DEP_3) | instskip(NEXT) | instid1(VALU_DEP_4)
	v_add_co_u32 v0, vcc_lo, v14, v0
	v_add_co_ci_u32_e32 v1, vcc_lo, 0, v1, vcc_lo
	s_delay_alu instid0(VALU_DEP_2) | instskip(NEXT) | instid1(VALU_DEP_2)
	v_add_co_u32 v0, vcc_lo, v0, v6
	v_add_co_ci_u32_e32 v0, vcc_lo, v1, v7, vcc_lo
	v_add_co_ci_u32_e32 v1, vcc_lo, 0, v9, vcc_lo
	s_delay_alu instid0(VALU_DEP_2) | instskip(NEXT) | instid1(VALU_DEP_2)
	v_add_co_u32 v6, vcc_lo, v0, v8
	v_add_co_ci_u32_e32 v7, vcc_lo, 0, v1, vcc_lo
	s_delay_alu instid0(VALU_DEP_2) | instskip(SKIP_1) | instid1(VALU_DEP_3)
	v_mul_lo_u32 v8, s21, v6
	v_mad_u64_u32 v[0:1], null, s20, v6, 0
	v_mul_lo_u32 v9, s20, v7
	s_delay_alu instid0(VALU_DEP_2) | instskip(NEXT) | instid1(VALU_DEP_2)
	v_sub_co_u32 v0, vcc_lo, v12, v0
	v_add3_u32 v1, v1, v9, v8
	s_delay_alu instid0(VALU_DEP_1) | instskip(NEXT) | instid1(VALU_DEP_1)
	v_sub_nc_u32_e32 v8, v10, v1
	v_subrev_co_ci_u32_e64 v8, s2, s21, v8, vcc_lo
	v_add_co_u32 v9, s2, v6, 2
	s_delay_alu instid0(VALU_DEP_1) | instskip(SKIP_3) | instid1(VALU_DEP_3)
	v_add_co_ci_u32_e64 v12, s2, 0, v7, s2
	v_sub_co_u32 v13, s2, v0, s20
	v_sub_co_ci_u32_e32 v1, vcc_lo, v10, v1, vcc_lo
	v_subrev_co_ci_u32_e64 v8, s2, 0, v8, s2
	v_cmp_le_u32_e32 vcc_lo, s20, v13
	s_delay_alu instid0(VALU_DEP_3) | instskip(SKIP_1) | instid1(VALU_DEP_4)
	v_cmp_eq_u32_e64 s2, s21, v1
	v_cndmask_b32_e64 v10, 0, -1, vcc_lo
	v_cmp_le_u32_e32 vcc_lo, s21, v8
	v_cndmask_b32_e64 v13, 0, -1, vcc_lo
	v_cmp_le_u32_e32 vcc_lo, s20, v0
	;; [unrolled: 2-line block ×3, first 2 shown]
	v_cndmask_b32_e64 v14, 0, -1, vcc_lo
	v_cmp_eq_u32_e32 vcc_lo, s21, v8
	s_delay_alu instid0(VALU_DEP_2) | instskip(SKIP_3) | instid1(VALU_DEP_3)
	v_cndmask_b32_e64 v0, v14, v0, s2
	v_cndmask_b32_e32 v8, v13, v10, vcc_lo
	v_add_co_u32 v10, vcc_lo, v6, 1
	v_add_co_ci_u32_e32 v13, vcc_lo, 0, v7, vcc_lo
	v_cmp_ne_u32_e32 vcc_lo, 0, v8
	s_delay_alu instid0(VALU_DEP_2) | instskip(SKIP_2) | instid1(VALU_DEP_3)
	v_dual_cndmask_b32 v1, v13, v12 :: v_dual_cndmask_b32 v8, v10, v9
	v_cmp_ne_u32_e32 vcc_lo, 0, v0
	v_xor_b32_e32 v9, s18, v11
	v_dual_cndmask_b32 v0, v7, v1 :: v_dual_cndmask_b32 v1, v6, v8
	s_delay_alu instid0(VALU_DEP_1) | instskip(NEXT) | instid1(VALU_DEP_2)
	v_xor_b32_e32 v6, v0, v9
	v_xor_b32_e32 v1, v1, v9
	s_delay_alu instid0(VALU_DEP_1) | instskip(NEXT) | instid1(VALU_DEP_3)
	v_sub_co_u32 v0, vcc_lo, v1, v9
	v_sub_co_ci_u32_e32 v1, vcc_lo, v6, v9, vcc_lo
.LBB76_7:
	s_and_not1_saveexec_b32 s2, s3
	s_cbranch_execz .LBB76_9
; %bb.8:
	v_cvt_f32_u32_e32 v0, s28
	s_sub_i32 s3, 0, s28
	s_delay_alu instid0(VALU_DEP_1) | instskip(SKIP_2) | instid1(VALU_DEP_1)
	v_rcp_iflag_f32_e32 v0, v0
	s_waitcnt_depctr 0xfff
	v_mul_f32_e32 v0, 0x4f7ffffe, v0
	v_cvt_u32_f32_e32 v0, v0
	s_delay_alu instid0(VALU_DEP_1) | instskip(NEXT) | instid1(VALU_DEP_1)
	v_mul_lo_u32 v1, s3, v0
	v_mul_hi_u32 v1, v0, v1
	s_delay_alu instid0(VALU_DEP_1) | instskip(NEXT) | instid1(VALU_DEP_1)
	v_add_nc_u32_e32 v0, v0, v1
	v_mul_hi_u32 v0, v4, v0
	s_delay_alu instid0(VALU_DEP_1) | instskip(SKIP_1) | instid1(VALU_DEP_2)
	v_mul_lo_u32 v1, v0, s28
	v_add_nc_u32_e32 v6, 1, v0
	v_sub_nc_u32_e32 v1, v4, v1
	s_delay_alu instid0(VALU_DEP_1) | instskip(SKIP_1) | instid1(VALU_DEP_2)
	v_subrev_nc_u32_e32 v7, s28, v1
	v_cmp_le_u32_e32 vcc_lo, s28, v1
	v_dual_cndmask_b32 v1, v1, v7 :: v_dual_cndmask_b32 v0, v0, v6
	s_delay_alu instid0(VALU_DEP_1) | instskip(NEXT) | instid1(VALU_DEP_2)
	v_cmp_le_u32_e32 vcc_lo, s28, v1
	v_dual_mov_b32 v1, 0 :: v_dual_add_nc_u32 v6, 1, v0
	s_delay_alu instid0(VALU_DEP_1)
	v_cndmask_b32_e32 v0, v0, v6, vcc_lo
.LBB76_9:
	s_or_b32 exec_lo, exec_lo, s2
	s_waitcnt lgkmcnt(0)
	s_load_b32 s18, s[0:1], 0x38
	v_mul_lo_u32 v6, v1, s28
	v_mul_lo_u32 v7, v0, s29
	v_mad_u64_u32 v[10:11], null, v0, s28, 0
	s_load_b32 s1, s[0:1], 0x0
	v_mul_lo_u32 v16, v4, s23
	s_delay_alu instid0(VALU_DEP_2) | instskip(NEXT) | instid1(VALU_DEP_3)
	v_add3_u32 v11, v11, v7, v6
	v_sub_co_u32 v6, vcc_lo, v4, v10
	s_delay_alu instid0(VALU_DEP_2)
	v_sub_co_ci_u32_e32 v7, vcc_lo, v5, v11, vcc_lo
	v_mul_lo_u32 v5, v5, s22
	s_waitcnt lgkmcnt(0)
	s_lshr_b32 s2, s18, 16
	s_add_u32 s3, s28, 1
	s_addc_u32 s19, s29, 0
	s_mul_i32 s17, s3, s17
	s_mul_hi_u32 s20, s3, s16
	s_mul_i32 s3, s3, s16
	s_mul_i32 s19, s19, s16
	s_add_i32 s16, s20, s17
	v_mul_lo_u32 v12, s3, v1
	s_add_i32 s16, s16, s19
	v_mad_u64_u32 v[8:9], null, s3, v0, 0
	v_mul_lo_u32 v13, s16, v0
	s_delay_alu instid0(VALU_DEP_1) | instskip(SKIP_1) | instid1(VALU_DEP_2)
	v_add3_u32 v9, v9, v12, v13
	v_lshlrev_b64 v[12:13], 2, v[6:7]
	v_lshlrev_b64 v[8:9], 2, v[8:9]
	s_delay_alu instid0(VALU_DEP_1) | instskip(NEXT) | instid1(VALU_DEP_2)
	v_add_co_u32 v8, vcc_lo, s10, v8
	v_add_co_ci_u32_e32 v9, vcc_lo, s11, v9, vcc_lo
	s_mov_b32 s10, exec_lo
	s_delay_alu instid0(VALU_DEP_2) | instskip(NEXT) | instid1(VALU_DEP_2)
	v_add_co_u32 v8, vcc_lo, v8, v12
	v_add_co_ci_u32_e32 v9, vcc_lo, v9, v13, vcc_lo
	global_load_b64 v[14:15], v[8:9], off
	v_mad_u64_u32 v[8:9], null, v4, s22, 0
	s_delay_alu instid0(VALU_DEP_1)
	v_add3_u32 v9, v9, v16, v5
	v_mov_b32_e32 v16, s2
	s_waitcnt vmcnt(0)
	v_cmpx_lt_i32_e64 v14, v15
	s_cbranch_execz .LBB76_28
; %bb.10:
	v_mul_lo_u32 v18, v1, s26
	v_mul_lo_u32 v19, v0, s27
	v_mad_u64_u32 v[4:5], null, v0, s26, 0
	v_ashrrev_i32_e32 v17, 31, v14
	v_mov_b32_e32 v16, v14
	s_cmp_lg_u32 s1, 0
	s_cselect_b32 s11, -1, 0
	s_and_b32 s0, s1, -3
	s_delay_alu instid0(VALU_DEP_3) | instskip(SKIP_2) | instid1(VALU_DEP_2)
	v_add3_u32 v5, v5, v19, v18
	v_lshlrev_b64 v[16:17], 1, v[16:17]
	s_cmp_lg_u32 s0, 1
	v_lshlrev_b64 v[4:5], 1, v[4:5]
	s_delay_alu instid0(VALU_DEP_1) | instskip(NEXT) | instid1(VALU_DEP_2)
	v_add_co_u32 v18, vcc_lo, v4, v16
	v_add_co_ci_u32_e32 v16, vcc_lo, v5, v17, vcc_lo
	v_lshlrev_b64 v[4:5], 1, v[2:3]
	s_delay_alu instid0(VALU_DEP_3) | instskip(NEXT) | instid1(VALU_DEP_3)
	v_mul_lo_u32 v20, s25, v18
	v_mul_lo_u32 v19, s24, v16
	s_delay_alu instid0(VALU_DEP_3) | instskip(SKIP_1) | instid1(VALU_DEP_2)
	v_mad_u64_u32 v[16:17], null, s24, v18, v[4:5]
	v_lshlrev_b64 v[4:5], 1, v[8:9]
	v_add3_u32 v17, v20, v17, v19
	s_delay_alu instid0(VALU_DEP_2) | instskip(NEXT) | instid1(VALU_DEP_2)
	v_sub_co_u32 v4, vcc_lo, v16, v4
	v_sub_co_ci_u32_e32 v5, vcc_lo, v17, v5, vcc_lo
	v_mov_b32_e32 v17, s2
	s_delay_alu instid0(VALU_DEP_3) | instskip(NEXT) | instid1(VALU_DEP_3)
	v_add_co_u32 v4, vcc_lo, s6, v4
	v_add_co_ci_u32_e32 v5, vcc_lo, s7, v5, vcc_lo
	s_mov_b32 s6, 0
	s_cselect_b32 s7, -1, 0
	s_lshl_b64 s[2:3], s[24:25], 1
	s_branch .LBB76_12
.LBB76_11:                              ;   in Loop: Header=BB76_12 Depth=1
	s_delay_alu instid0(VALU_DEP_1) | instskip(SKIP_1) | instid1(VALU_DEP_1)
	v_dual_mov_b32 v17, v16 :: v_dual_add_nc_u32 v14, 1, v14
	v_add_co_u32 v4, s0, v4, s2
	v_add_co_ci_u32_e64 v5, s0, s3, v5, s0
	s_delay_alu instid0(VALU_DEP_3) | instskip(SKIP_1) | instid1(SALU_CYCLE_1)
	v_cmp_ge_i32_e32 vcc_lo, v14, v15
	s_or_b32 s6, vcc_lo, s6
	s_and_not1_b32 exec_lo, exec_lo, s6
	s_cbranch_execz .LBB76_27
.LBB76_12:                              ; =>This Inner Loop Header: Depth=1
	global_load_u16 v18, v[4:5], off
	s_and_b32 vcc_lo, exec_lo, s11
	s_cbranch_vccz .LBB76_18
; %bb.13:                               ;   in Loop: Header=BB76_12 Depth=1
	s_and_b32 vcc_lo, exec_lo, s7
	s_cbranch_vccz .LBB76_19
; %bb.14:                               ;   in Loop: Header=BB76_12 Depth=1
	s_cmp_lt_i32 s1, 4
	s_cbranch_scc1 .LBB76_20
; %bb.15:                               ;   in Loop: Header=BB76_12 Depth=1
	v_mov_b32_e32 v16, v17
	s_cmp_eq_u32 s1, 4
	s_cbranch_scc0 .LBB76_17
; %bb.16:                               ;   in Loop: Header=BB76_12 Depth=1
	s_waitcnt vmcnt(0)
	v_mul_f16_e32 v16, v17, v18
.LBB76_17:                              ;   in Loop: Header=BB76_12 Depth=1
	s_cbranch_execz .LBB76_21
	s_branch .LBB76_23
.LBB76_18:                              ;   in Loop: Header=BB76_12 Depth=1
                                        ; implicit-def: $vgpr16
	s_branch .LBB76_26
.LBB76_19:                              ;   in Loop: Header=BB76_12 Depth=1
                                        ; implicit-def: $vgpr16
	s_cbranch_execnz .LBB76_24
	s_branch .LBB76_25
.LBB76_20:                              ;   in Loop: Header=BB76_12 Depth=1
                                        ; implicit-def: $vgpr16
.LBB76_21:                              ;   in Loop: Header=BB76_12 Depth=1
	v_mov_b32_e32 v16, v17
	s_cmp_lg_u32 s1, 2
	s_cbranch_scc1 .LBB76_23
; %bb.22:                               ;   in Loop: Header=BB76_12 Depth=1
	s_waitcnt vmcnt(0)
	v_cmp_u_f16_e32 vcc_lo, v18, v18
	v_cmp_gt_f16_e64 s0, v17, v18
	s_delay_alu instid0(VALU_DEP_1)
	s_or_b32 vcc_lo, vcc_lo, s0
	v_cndmask_b32_e32 v16, v17, v18, vcc_lo
.LBB76_23:                              ;   in Loop: Header=BB76_12 Depth=1
	s_branch .LBB76_25
.LBB76_24:                              ;   in Loop: Header=BB76_12 Depth=1
	s_waitcnt vmcnt(0)
	v_add_f16_e32 v16, v17, v18
.LBB76_25:                              ;   in Loop: Header=BB76_12 Depth=1
	s_cbranch_execnz .LBB76_11
.LBB76_26:                              ;   in Loop: Header=BB76_12 Depth=1
	s_waitcnt vmcnt(0)
	v_cmp_u_f16_e32 vcc_lo, v18, v18
	v_cmp_lt_f16_e64 s0, v17, v18
	s_delay_alu instid0(VALU_DEP_1)
	s_or_b32 vcc_lo, vcc_lo, s0
	v_cndmask_b32_e32 v16, v17, v18, vcc_lo
	s_branch .LBB76_11
.LBB76_27:
	s_or_b32 exec_lo, exec_lo, s6
.LBB76_28:
	s_delay_alu instid0(SALU_CYCLE_1) | instskip(SKIP_4) | instid1(VALU_DEP_1)
	s_or_b32 exec_lo, exec_lo, s10
	v_mul_lo_u32 v11, v11, s30
	v_mul_lo_u32 v14, v10, s31
	v_mad_u64_u32 v[4:5], null, v10, s30, 0
	s_mov_b32 s0, exec_lo
	v_add3_u32 v5, v5, v14, v11
	s_delay_alu instid0(VALU_DEP_1) | instskip(NEXT) | instid1(VALU_DEP_1)
	v_lshlrev_b64 v[4:5], 2, v[4:5]
	v_add_co_u32 v4, vcc_lo, s8, v4
	s_delay_alu instid0(VALU_DEP_2) | instskip(NEXT) | instid1(VALU_DEP_2)
	v_add_co_ci_u32_e32 v5, vcc_lo, s9, v5, vcc_lo
	v_add_co_u32 v4, vcc_lo, v4, v12
	s_delay_alu instid0(VALU_DEP_2)
	v_add_co_ci_u32_e32 v5, vcc_lo, v5, v13, vcc_lo
	global_load_b32 v5, v[4:5], off
	s_waitcnt vmcnt(0)
	v_cmpx_lt_i32_e32 -1, v5
	s_xor_b32 s0, exec_lo, s0
	s_cbranch_execz .LBB76_36
; %bb.29:
	s_bitcmp1_b32 s18, 0
	v_cmp_ne_u32_e32 vcc_lo, 0, v5
	s_cselect_b32 s2, -1, 0
	s_cmp_lg_u32 s1, 1
	v_mov_b32_e32 v4, 0x7e00
	s_cselect_b32 s3, -1, 0
	s_delay_alu instid0(SALU_CYCLE_1) | instskip(NEXT) | instid1(SALU_CYCLE_1)
	s_or_b32 s2, s3, s2
	s_or_b32 s3, s2, vcc_lo
	s_delay_alu instid0(SALU_CYCLE_1)
	s_and_saveexec_b32 s2, s3
	s_cbranch_execz .LBB76_35
; %bb.30:
	s_cmp_eq_u32 s1, 1
	s_cselect_b32 s1, -1, 0
	s_delay_alu instid0(SALU_CYCLE_1) | instskip(NEXT) | instid1(SALU_CYCLE_1)
	s_and_b32 s3, s1, vcc_lo
	s_and_saveexec_b32 s1, s3
	s_cbranch_execz .LBB76_34
; %bb.31:
	s_mov_b32 s3, exec_lo
	v_cmpx_o_f16_e32 v16, v16
	s_cbranch_execz .LBB76_33
; %bb.32:
	v_cvt_f32_u32_e32 v4, v5
	v_cvt_f32_f16_e32 v10, v16
	s_delay_alu instid0(VALU_DEP_2) | instskip(NEXT) | instid1(VALU_DEP_1)
	v_cvt_f16_f32_e32 v4, v4
	v_cvt_f32_f16_e32 v5, v4
	s_delay_alu instid0(VALU_DEP_1) | instskip(SKIP_2) | instid1(VALU_DEP_1)
	v_rcp_f32_e32 v5, v5
	s_waitcnt_depctr 0xfff
	v_mul_f32_e32 v10, v10, v5
	v_fma_mix_f32 v11, -v4, v10, v16 op_sel_hi:[1,0,1]
	s_delay_alu instid0(VALU_DEP_1) | instskip(NEXT) | instid1(VALU_DEP_1)
	v_fmac_f32_e32 v10, v11, v5
	v_fma_mix_f32 v11, -v4, v10, v16 op_sel_hi:[1,0,1]
	s_delay_alu instid0(VALU_DEP_1) | instskip(NEXT) | instid1(VALU_DEP_1)
	v_mul_f32_e32 v5, v11, v5
	v_and_b32_e32 v5, 0xff800000, v5
	s_delay_alu instid0(VALU_DEP_1) | instskip(NEXT) | instid1(VALU_DEP_1)
	v_add_f32_e32 v5, v5, v10
	v_cvt_f16_f32_e32 v5, v5
	s_delay_alu instid0(VALU_DEP_1)
	v_div_fixup_f16 v16, v5, v4, v16
.LBB76_33:
	s_or_b32 exec_lo, exec_lo, s3
.LBB76_34:
	s_delay_alu instid0(SALU_CYCLE_1) | instskip(NEXT) | instid1(VALU_DEP_1)
	s_or_b32 exec_lo, exec_lo, s1
	v_mov_b32_e32 v4, v16
.LBB76_35:
	s_or_b32 exec_lo, exec_lo, s2
	s_mul_i32 s1, s14, s13
	s_mul_hi_u32 s2, s14, s12
	s_mul_i32 s3, s15, s12
	s_add_i32 s1, s2, s1
	s_mul_i32 s2, s14, s12
	s_add_i32 s1, s1, s3
	v_mul_lo_u32 v12, s2, v1
	v_mul_lo_u32 v5, s1, v0
	v_mad_u64_u32 v[10:11], null, s2, v0, 0
	v_mul_lo_u32 v7, v7, s12
	v_mul_lo_u32 v13, v6, s13
	v_mad_u64_u32 v[0:1], null, v6, s12, 0
	v_sub_co_u32 v2, vcc_lo, v2, v8
	v_add3_u32 v11, v11, v12, v5
	v_sub_co_ci_u32_e32 v3, vcc_lo, v3, v9, vcc_lo
	s_delay_alu instid0(VALU_DEP_4) | instskip(NEXT) | instid1(VALU_DEP_3)
	v_add3_u32 v1, v1, v13, v7
	v_lshlrev_b64 v[5:6], 1, v[10:11]
	s_delay_alu instid0(VALU_DEP_3) | instskip(NEXT) | instid1(VALU_DEP_3)
	v_lshlrev_b64 v[2:3], 1, v[2:3]
	v_lshlrev_b64 v[0:1], 1, v[0:1]
	s_delay_alu instid0(VALU_DEP_3) | instskip(NEXT) | instid1(VALU_DEP_4)
	v_add_co_u32 v5, vcc_lo, s4, v5
	v_add_co_ci_u32_e32 v6, vcc_lo, s5, v6, vcc_lo
	s_delay_alu instid0(VALU_DEP_2) | instskip(NEXT) | instid1(VALU_DEP_2)
	v_add_co_u32 v0, vcc_lo, v5, v0
	v_add_co_ci_u32_e32 v1, vcc_lo, v6, v1, vcc_lo
	s_delay_alu instid0(VALU_DEP_2) | instskip(NEXT) | instid1(VALU_DEP_2)
	v_add_co_u32 v0, vcc_lo, v0, v2
	v_add_co_ci_u32_e32 v1, vcc_lo, v1, v3, vcc_lo
	global_store_b16 v[0:1], v4, off
.LBB76_36:
	s_and_not1_saveexec_b32 s0, s0
	s_cbranch_execnz .LBB76_38
.LBB76_37:
	s_nop 0
	s_sendmsg sendmsg(MSG_DEALLOC_VGPRS)
	s_endpgm
.LBB76_38:
	s_cbranch_execnz .LBB76_40
; %bb.39:
	; divergent unreachable
	s_nop 0
	s_sendmsg sendmsg(MSG_DEALLOC_VGPRS)
	s_endpgm
.LBB76_40:
	s_trap 2
	s_sendmsg_rtn_b32 s0, sendmsg(MSG_RTN_GET_DOORBELL)
	s_mov_b32 ttmp2, m0
	s_waitcnt lgkmcnt(0)
	s_and_b32 s0, s0, 0x3ff
	s_delay_alu instid0(SALU_CYCLE_1) | instskip(NEXT) | instid1(SALU_CYCLE_1)
	s_bitset1_b32 s0, 10
	s_mov_b32 m0, s0
	s_sendmsg sendmsg(MSG_INTERRUPT)
	s_mov_b32 m0, ttmp2
.LBB76_41:                              ; =>This Inner Loop Header: Depth=1
	s_sethalt 5
	s_branch .LBB76_41
	.section	.rodata,"a",@progbits
	.p2align	6, 0x0
	.amdhsa_kernel _ZN2at6native12_GLOBAL__N_129segment_reduce_forward_kernelIN3c104HalfEiEEvNS0_13ReductionTypeEPT_PKS6_PKT0_SC_llbS6_lllllll
		.amdhsa_group_segment_fixed_size 0
		.amdhsa_private_segment_fixed_size 0
		.amdhsa_kernarg_size 376
		.amdhsa_user_sgpr_count 15
		.amdhsa_user_sgpr_dispatch_ptr 0
		.amdhsa_user_sgpr_queue_ptr 0
		.amdhsa_user_sgpr_kernarg_segment_ptr 1
		.amdhsa_user_sgpr_dispatch_id 0
		.amdhsa_user_sgpr_private_segment_size 0
		.amdhsa_wavefront_size32 1
		.amdhsa_uses_dynamic_stack 0
		.amdhsa_enable_private_segment 0
		.amdhsa_system_sgpr_workgroup_id_x 1
		.amdhsa_system_sgpr_workgroup_id_y 0
		.amdhsa_system_sgpr_workgroup_id_z 0
		.amdhsa_system_sgpr_workgroup_info 0
		.amdhsa_system_vgpr_workitem_id 0
		.amdhsa_next_free_vgpr 21
		.amdhsa_next_free_sgpr 32
		.amdhsa_reserve_vcc 1
		.amdhsa_float_round_mode_32 0
		.amdhsa_float_round_mode_16_64 0
		.amdhsa_float_denorm_mode_32 3
		.amdhsa_float_denorm_mode_16_64 3
		.amdhsa_dx10_clamp 1
		.amdhsa_ieee_mode 1
		.amdhsa_fp16_overflow 0
		.amdhsa_workgroup_processor_mode 1
		.amdhsa_memory_ordered 1
		.amdhsa_forward_progress 0
		.amdhsa_shared_vgpr_count 0
		.amdhsa_exception_fp_ieee_invalid_op 0
		.amdhsa_exception_fp_denorm_src 0
		.amdhsa_exception_fp_ieee_div_zero 0
		.amdhsa_exception_fp_ieee_overflow 0
		.amdhsa_exception_fp_ieee_underflow 0
		.amdhsa_exception_fp_ieee_inexact 0
		.amdhsa_exception_int_div_zero 0
	.end_amdhsa_kernel
	.section	.text._ZN2at6native12_GLOBAL__N_129segment_reduce_forward_kernelIN3c104HalfEiEEvNS0_13ReductionTypeEPT_PKS6_PKT0_SC_llbS6_lllllll,"axG",@progbits,_ZN2at6native12_GLOBAL__N_129segment_reduce_forward_kernelIN3c104HalfEiEEvNS0_13ReductionTypeEPT_PKS6_PKT0_SC_llbS6_lllllll,comdat
.Lfunc_end76:
	.size	_ZN2at6native12_GLOBAL__N_129segment_reduce_forward_kernelIN3c104HalfEiEEvNS0_13ReductionTypeEPT_PKS6_PKT0_SC_llbS6_lllllll, .Lfunc_end76-_ZN2at6native12_GLOBAL__N_129segment_reduce_forward_kernelIN3c104HalfEiEEvNS0_13ReductionTypeEPT_PKS6_PKT0_SC_llbS6_lllllll
                                        ; -- End function
	.section	.AMDGPU.csdata,"",@progbits
; Kernel info:
; codeLenInByte = 3412
; NumSgprs: 34
; NumVgprs: 21
; ScratchSize: 0
; MemoryBound: 0
; FloatMode: 240
; IeeeMode: 1
; LDSByteSize: 0 bytes/workgroup (compile time only)
; SGPRBlocks: 4
; VGPRBlocks: 2
; NumSGPRsForWavesPerEU: 34
; NumVGPRsForWavesPerEU: 21
; Occupancy: 16
; WaveLimiterHint : 0
; COMPUTE_PGM_RSRC2:SCRATCH_EN: 0
; COMPUTE_PGM_RSRC2:USER_SGPR: 15
; COMPUTE_PGM_RSRC2:TRAP_HANDLER: 0
; COMPUTE_PGM_RSRC2:TGID_X_EN: 1
; COMPUTE_PGM_RSRC2:TGID_Y_EN: 0
; COMPUTE_PGM_RSRC2:TGID_Z_EN: 0
; COMPUTE_PGM_RSRC2:TIDIG_COMP_CNT: 0
	.section	.text._ZN7rocprim17ROCPRIM_400000_NS6detail17trampoline_kernelINS0_14default_configENS1_32segmented_reduce_config_selectorIN3c104HalfEEEZNS1_21segmented_reduce_implIS3_PKS6_PS6_PKiS6_N6hipcub16HIPCUB_304000_NS6detail27convert_result_type_wrapperISA_SB_N2at6native12_GLOBAL__N_19CustomMaxEEEEE10hipError_tPvRmT0_T1_jT2_SS_T4_T3_P12ihipStream_tbEUlT_E_NS1_11comp_targetILNS1_3genE0ELNS1_11target_archE4294967295ELNS1_3gpuE0ELNS1_3repE0EEENS1_30default_config_static_selectorELNS0_4arch9wavefront6targetE0EEEvSR_,"axG",@progbits,_ZN7rocprim17ROCPRIM_400000_NS6detail17trampoline_kernelINS0_14default_configENS1_32segmented_reduce_config_selectorIN3c104HalfEEEZNS1_21segmented_reduce_implIS3_PKS6_PS6_PKiS6_N6hipcub16HIPCUB_304000_NS6detail27convert_result_type_wrapperISA_SB_N2at6native12_GLOBAL__N_19CustomMaxEEEEE10hipError_tPvRmT0_T1_jT2_SS_T4_T3_P12ihipStream_tbEUlT_E_NS1_11comp_targetILNS1_3genE0ELNS1_11target_archE4294967295ELNS1_3gpuE0ELNS1_3repE0EEENS1_30default_config_static_selectorELNS0_4arch9wavefront6targetE0EEEvSR_,comdat
	.globl	_ZN7rocprim17ROCPRIM_400000_NS6detail17trampoline_kernelINS0_14default_configENS1_32segmented_reduce_config_selectorIN3c104HalfEEEZNS1_21segmented_reduce_implIS3_PKS6_PS6_PKiS6_N6hipcub16HIPCUB_304000_NS6detail27convert_result_type_wrapperISA_SB_N2at6native12_GLOBAL__N_19CustomMaxEEEEE10hipError_tPvRmT0_T1_jT2_SS_T4_T3_P12ihipStream_tbEUlT_E_NS1_11comp_targetILNS1_3genE0ELNS1_11target_archE4294967295ELNS1_3gpuE0ELNS1_3repE0EEENS1_30default_config_static_selectorELNS0_4arch9wavefront6targetE0EEEvSR_ ; -- Begin function _ZN7rocprim17ROCPRIM_400000_NS6detail17trampoline_kernelINS0_14default_configENS1_32segmented_reduce_config_selectorIN3c104HalfEEEZNS1_21segmented_reduce_implIS3_PKS6_PS6_PKiS6_N6hipcub16HIPCUB_304000_NS6detail27convert_result_type_wrapperISA_SB_N2at6native12_GLOBAL__N_19CustomMaxEEEEE10hipError_tPvRmT0_T1_jT2_SS_T4_T3_P12ihipStream_tbEUlT_E_NS1_11comp_targetILNS1_3genE0ELNS1_11target_archE4294967295ELNS1_3gpuE0ELNS1_3repE0EEENS1_30default_config_static_selectorELNS0_4arch9wavefront6targetE0EEEvSR_
	.p2align	8
	.type	_ZN7rocprim17ROCPRIM_400000_NS6detail17trampoline_kernelINS0_14default_configENS1_32segmented_reduce_config_selectorIN3c104HalfEEEZNS1_21segmented_reduce_implIS3_PKS6_PS6_PKiS6_N6hipcub16HIPCUB_304000_NS6detail27convert_result_type_wrapperISA_SB_N2at6native12_GLOBAL__N_19CustomMaxEEEEE10hipError_tPvRmT0_T1_jT2_SS_T4_T3_P12ihipStream_tbEUlT_E_NS1_11comp_targetILNS1_3genE0ELNS1_11target_archE4294967295ELNS1_3gpuE0ELNS1_3repE0EEENS1_30default_config_static_selectorELNS0_4arch9wavefront6targetE0EEEvSR_,@function
_ZN7rocprim17ROCPRIM_400000_NS6detail17trampoline_kernelINS0_14default_configENS1_32segmented_reduce_config_selectorIN3c104HalfEEEZNS1_21segmented_reduce_implIS3_PKS6_PS6_PKiS6_N6hipcub16HIPCUB_304000_NS6detail27convert_result_type_wrapperISA_SB_N2at6native12_GLOBAL__N_19CustomMaxEEEEE10hipError_tPvRmT0_T1_jT2_SS_T4_T3_P12ihipStream_tbEUlT_E_NS1_11comp_targetILNS1_3genE0ELNS1_11target_archE4294967295ELNS1_3gpuE0ELNS1_3repE0EEENS1_30default_config_static_selectorELNS0_4arch9wavefront6targetE0EEEvSR_: ; @_ZN7rocprim17ROCPRIM_400000_NS6detail17trampoline_kernelINS0_14default_configENS1_32segmented_reduce_config_selectorIN3c104HalfEEEZNS1_21segmented_reduce_implIS3_PKS6_PS6_PKiS6_N6hipcub16HIPCUB_304000_NS6detail27convert_result_type_wrapperISA_SB_N2at6native12_GLOBAL__N_19CustomMaxEEEEE10hipError_tPvRmT0_T1_jT2_SS_T4_T3_P12ihipStream_tbEUlT_E_NS1_11comp_targetILNS1_3genE0ELNS1_11target_archE4294967295ELNS1_3gpuE0ELNS1_3repE0EEENS1_30default_config_static_selectorELNS0_4arch9wavefront6targetE0EEEvSR_
; %bb.0:
	.section	.rodata,"a",@progbits
	.p2align	6, 0x0
	.amdhsa_kernel _ZN7rocprim17ROCPRIM_400000_NS6detail17trampoline_kernelINS0_14default_configENS1_32segmented_reduce_config_selectorIN3c104HalfEEEZNS1_21segmented_reduce_implIS3_PKS6_PS6_PKiS6_N6hipcub16HIPCUB_304000_NS6detail27convert_result_type_wrapperISA_SB_N2at6native12_GLOBAL__N_19CustomMaxEEEEE10hipError_tPvRmT0_T1_jT2_SS_T4_T3_P12ihipStream_tbEUlT_E_NS1_11comp_targetILNS1_3genE0ELNS1_11target_archE4294967295ELNS1_3gpuE0ELNS1_3repE0EEENS1_30default_config_static_selectorELNS0_4arch9wavefront6targetE0EEEvSR_
		.amdhsa_group_segment_fixed_size 0
		.amdhsa_private_segment_fixed_size 0
		.amdhsa_kernarg_size 48
		.amdhsa_user_sgpr_count 15
		.amdhsa_user_sgpr_dispatch_ptr 0
		.amdhsa_user_sgpr_queue_ptr 0
		.amdhsa_user_sgpr_kernarg_segment_ptr 1
		.amdhsa_user_sgpr_dispatch_id 0
		.amdhsa_user_sgpr_private_segment_size 0
		.amdhsa_wavefront_size32 1
		.amdhsa_uses_dynamic_stack 0
		.amdhsa_enable_private_segment 0
		.amdhsa_system_sgpr_workgroup_id_x 1
		.amdhsa_system_sgpr_workgroup_id_y 0
		.amdhsa_system_sgpr_workgroup_id_z 0
		.amdhsa_system_sgpr_workgroup_info 0
		.amdhsa_system_vgpr_workitem_id 0
		.amdhsa_next_free_vgpr 1
		.amdhsa_next_free_sgpr 1
		.amdhsa_reserve_vcc 0
		.amdhsa_float_round_mode_32 0
		.amdhsa_float_round_mode_16_64 0
		.amdhsa_float_denorm_mode_32 3
		.amdhsa_float_denorm_mode_16_64 3
		.amdhsa_dx10_clamp 1
		.amdhsa_ieee_mode 1
		.amdhsa_fp16_overflow 0
		.amdhsa_workgroup_processor_mode 1
		.amdhsa_memory_ordered 1
		.amdhsa_forward_progress 0
		.amdhsa_shared_vgpr_count 0
		.amdhsa_exception_fp_ieee_invalid_op 0
		.amdhsa_exception_fp_denorm_src 0
		.amdhsa_exception_fp_ieee_div_zero 0
		.amdhsa_exception_fp_ieee_overflow 0
		.amdhsa_exception_fp_ieee_underflow 0
		.amdhsa_exception_fp_ieee_inexact 0
		.amdhsa_exception_int_div_zero 0
	.end_amdhsa_kernel
	.section	.text._ZN7rocprim17ROCPRIM_400000_NS6detail17trampoline_kernelINS0_14default_configENS1_32segmented_reduce_config_selectorIN3c104HalfEEEZNS1_21segmented_reduce_implIS3_PKS6_PS6_PKiS6_N6hipcub16HIPCUB_304000_NS6detail27convert_result_type_wrapperISA_SB_N2at6native12_GLOBAL__N_19CustomMaxEEEEE10hipError_tPvRmT0_T1_jT2_SS_T4_T3_P12ihipStream_tbEUlT_E_NS1_11comp_targetILNS1_3genE0ELNS1_11target_archE4294967295ELNS1_3gpuE0ELNS1_3repE0EEENS1_30default_config_static_selectorELNS0_4arch9wavefront6targetE0EEEvSR_,"axG",@progbits,_ZN7rocprim17ROCPRIM_400000_NS6detail17trampoline_kernelINS0_14default_configENS1_32segmented_reduce_config_selectorIN3c104HalfEEEZNS1_21segmented_reduce_implIS3_PKS6_PS6_PKiS6_N6hipcub16HIPCUB_304000_NS6detail27convert_result_type_wrapperISA_SB_N2at6native12_GLOBAL__N_19CustomMaxEEEEE10hipError_tPvRmT0_T1_jT2_SS_T4_T3_P12ihipStream_tbEUlT_E_NS1_11comp_targetILNS1_3genE0ELNS1_11target_archE4294967295ELNS1_3gpuE0ELNS1_3repE0EEENS1_30default_config_static_selectorELNS0_4arch9wavefront6targetE0EEEvSR_,comdat
.Lfunc_end77:
	.size	_ZN7rocprim17ROCPRIM_400000_NS6detail17trampoline_kernelINS0_14default_configENS1_32segmented_reduce_config_selectorIN3c104HalfEEEZNS1_21segmented_reduce_implIS3_PKS6_PS6_PKiS6_N6hipcub16HIPCUB_304000_NS6detail27convert_result_type_wrapperISA_SB_N2at6native12_GLOBAL__N_19CustomMaxEEEEE10hipError_tPvRmT0_T1_jT2_SS_T4_T3_P12ihipStream_tbEUlT_E_NS1_11comp_targetILNS1_3genE0ELNS1_11target_archE4294967295ELNS1_3gpuE0ELNS1_3repE0EEENS1_30default_config_static_selectorELNS0_4arch9wavefront6targetE0EEEvSR_, .Lfunc_end77-_ZN7rocprim17ROCPRIM_400000_NS6detail17trampoline_kernelINS0_14default_configENS1_32segmented_reduce_config_selectorIN3c104HalfEEEZNS1_21segmented_reduce_implIS3_PKS6_PS6_PKiS6_N6hipcub16HIPCUB_304000_NS6detail27convert_result_type_wrapperISA_SB_N2at6native12_GLOBAL__N_19CustomMaxEEEEE10hipError_tPvRmT0_T1_jT2_SS_T4_T3_P12ihipStream_tbEUlT_E_NS1_11comp_targetILNS1_3genE0ELNS1_11target_archE4294967295ELNS1_3gpuE0ELNS1_3repE0EEENS1_30default_config_static_selectorELNS0_4arch9wavefront6targetE0EEEvSR_
                                        ; -- End function
	.section	.AMDGPU.csdata,"",@progbits
; Kernel info:
; codeLenInByte = 0
; NumSgprs: 0
; NumVgprs: 0
; ScratchSize: 0
; MemoryBound: 0
; FloatMode: 240
; IeeeMode: 1
; LDSByteSize: 0 bytes/workgroup (compile time only)
; SGPRBlocks: 0
; VGPRBlocks: 0
; NumSGPRsForWavesPerEU: 1
; NumVGPRsForWavesPerEU: 1
; Occupancy: 16
; WaveLimiterHint : 0
; COMPUTE_PGM_RSRC2:SCRATCH_EN: 0
; COMPUTE_PGM_RSRC2:USER_SGPR: 15
; COMPUTE_PGM_RSRC2:TRAP_HANDLER: 0
; COMPUTE_PGM_RSRC2:TGID_X_EN: 1
; COMPUTE_PGM_RSRC2:TGID_Y_EN: 0
; COMPUTE_PGM_RSRC2:TGID_Z_EN: 0
; COMPUTE_PGM_RSRC2:TIDIG_COMP_CNT: 0
	.section	.text._ZN7rocprim17ROCPRIM_400000_NS6detail17trampoline_kernelINS0_14default_configENS1_32segmented_reduce_config_selectorIN3c104HalfEEEZNS1_21segmented_reduce_implIS3_PKS6_PS6_PKiS6_N6hipcub16HIPCUB_304000_NS6detail27convert_result_type_wrapperISA_SB_N2at6native12_GLOBAL__N_19CustomMaxEEEEE10hipError_tPvRmT0_T1_jT2_SS_T4_T3_P12ihipStream_tbEUlT_E_NS1_11comp_targetILNS1_3genE5ELNS1_11target_archE942ELNS1_3gpuE9ELNS1_3repE0EEENS1_30default_config_static_selectorELNS0_4arch9wavefront6targetE0EEEvSR_,"axG",@progbits,_ZN7rocprim17ROCPRIM_400000_NS6detail17trampoline_kernelINS0_14default_configENS1_32segmented_reduce_config_selectorIN3c104HalfEEEZNS1_21segmented_reduce_implIS3_PKS6_PS6_PKiS6_N6hipcub16HIPCUB_304000_NS6detail27convert_result_type_wrapperISA_SB_N2at6native12_GLOBAL__N_19CustomMaxEEEEE10hipError_tPvRmT0_T1_jT2_SS_T4_T3_P12ihipStream_tbEUlT_E_NS1_11comp_targetILNS1_3genE5ELNS1_11target_archE942ELNS1_3gpuE9ELNS1_3repE0EEENS1_30default_config_static_selectorELNS0_4arch9wavefront6targetE0EEEvSR_,comdat
	.globl	_ZN7rocprim17ROCPRIM_400000_NS6detail17trampoline_kernelINS0_14default_configENS1_32segmented_reduce_config_selectorIN3c104HalfEEEZNS1_21segmented_reduce_implIS3_PKS6_PS6_PKiS6_N6hipcub16HIPCUB_304000_NS6detail27convert_result_type_wrapperISA_SB_N2at6native12_GLOBAL__N_19CustomMaxEEEEE10hipError_tPvRmT0_T1_jT2_SS_T4_T3_P12ihipStream_tbEUlT_E_NS1_11comp_targetILNS1_3genE5ELNS1_11target_archE942ELNS1_3gpuE9ELNS1_3repE0EEENS1_30default_config_static_selectorELNS0_4arch9wavefront6targetE0EEEvSR_ ; -- Begin function _ZN7rocprim17ROCPRIM_400000_NS6detail17trampoline_kernelINS0_14default_configENS1_32segmented_reduce_config_selectorIN3c104HalfEEEZNS1_21segmented_reduce_implIS3_PKS6_PS6_PKiS6_N6hipcub16HIPCUB_304000_NS6detail27convert_result_type_wrapperISA_SB_N2at6native12_GLOBAL__N_19CustomMaxEEEEE10hipError_tPvRmT0_T1_jT2_SS_T4_T3_P12ihipStream_tbEUlT_E_NS1_11comp_targetILNS1_3genE5ELNS1_11target_archE942ELNS1_3gpuE9ELNS1_3repE0EEENS1_30default_config_static_selectorELNS0_4arch9wavefront6targetE0EEEvSR_
	.p2align	8
	.type	_ZN7rocprim17ROCPRIM_400000_NS6detail17trampoline_kernelINS0_14default_configENS1_32segmented_reduce_config_selectorIN3c104HalfEEEZNS1_21segmented_reduce_implIS3_PKS6_PS6_PKiS6_N6hipcub16HIPCUB_304000_NS6detail27convert_result_type_wrapperISA_SB_N2at6native12_GLOBAL__N_19CustomMaxEEEEE10hipError_tPvRmT0_T1_jT2_SS_T4_T3_P12ihipStream_tbEUlT_E_NS1_11comp_targetILNS1_3genE5ELNS1_11target_archE942ELNS1_3gpuE9ELNS1_3repE0EEENS1_30default_config_static_selectorELNS0_4arch9wavefront6targetE0EEEvSR_,@function
_ZN7rocprim17ROCPRIM_400000_NS6detail17trampoline_kernelINS0_14default_configENS1_32segmented_reduce_config_selectorIN3c104HalfEEEZNS1_21segmented_reduce_implIS3_PKS6_PS6_PKiS6_N6hipcub16HIPCUB_304000_NS6detail27convert_result_type_wrapperISA_SB_N2at6native12_GLOBAL__N_19CustomMaxEEEEE10hipError_tPvRmT0_T1_jT2_SS_T4_T3_P12ihipStream_tbEUlT_E_NS1_11comp_targetILNS1_3genE5ELNS1_11target_archE942ELNS1_3gpuE9ELNS1_3repE0EEENS1_30default_config_static_selectorELNS0_4arch9wavefront6targetE0EEEvSR_: ; @_ZN7rocprim17ROCPRIM_400000_NS6detail17trampoline_kernelINS0_14default_configENS1_32segmented_reduce_config_selectorIN3c104HalfEEEZNS1_21segmented_reduce_implIS3_PKS6_PS6_PKiS6_N6hipcub16HIPCUB_304000_NS6detail27convert_result_type_wrapperISA_SB_N2at6native12_GLOBAL__N_19CustomMaxEEEEE10hipError_tPvRmT0_T1_jT2_SS_T4_T3_P12ihipStream_tbEUlT_E_NS1_11comp_targetILNS1_3genE5ELNS1_11target_archE942ELNS1_3gpuE9ELNS1_3repE0EEENS1_30default_config_static_selectorELNS0_4arch9wavefront6targetE0EEEvSR_
; %bb.0:
	.section	.rodata,"a",@progbits
	.p2align	6, 0x0
	.amdhsa_kernel _ZN7rocprim17ROCPRIM_400000_NS6detail17trampoline_kernelINS0_14default_configENS1_32segmented_reduce_config_selectorIN3c104HalfEEEZNS1_21segmented_reduce_implIS3_PKS6_PS6_PKiS6_N6hipcub16HIPCUB_304000_NS6detail27convert_result_type_wrapperISA_SB_N2at6native12_GLOBAL__N_19CustomMaxEEEEE10hipError_tPvRmT0_T1_jT2_SS_T4_T3_P12ihipStream_tbEUlT_E_NS1_11comp_targetILNS1_3genE5ELNS1_11target_archE942ELNS1_3gpuE9ELNS1_3repE0EEENS1_30default_config_static_selectorELNS0_4arch9wavefront6targetE0EEEvSR_
		.amdhsa_group_segment_fixed_size 0
		.amdhsa_private_segment_fixed_size 0
		.amdhsa_kernarg_size 48
		.amdhsa_user_sgpr_count 15
		.amdhsa_user_sgpr_dispatch_ptr 0
		.amdhsa_user_sgpr_queue_ptr 0
		.amdhsa_user_sgpr_kernarg_segment_ptr 1
		.amdhsa_user_sgpr_dispatch_id 0
		.amdhsa_user_sgpr_private_segment_size 0
		.amdhsa_wavefront_size32 1
		.amdhsa_uses_dynamic_stack 0
		.amdhsa_enable_private_segment 0
		.amdhsa_system_sgpr_workgroup_id_x 1
		.amdhsa_system_sgpr_workgroup_id_y 0
		.amdhsa_system_sgpr_workgroup_id_z 0
		.amdhsa_system_sgpr_workgroup_info 0
		.amdhsa_system_vgpr_workitem_id 0
		.amdhsa_next_free_vgpr 1
		.amdhsa_next_free_sgpr 1
		.amdhsa_reserve_vcc 0
		.amdhsa_float_round_mode_32 0
		.amdhsa_float_round_mode_16_64 0
		.amdhsa_float_denorm_mode_32 3
		.amdhsa_float_denorm_mode_16_64 3
		.amdhsa_dx10_clamp 1
		.amdhsa_ieee_mode 1
		.amdhsa_fp16_overflow 0
		.amdhsa_workgroup_processor_mode 1
		.amdhsa_memory_ordered 1
		.amdhsa_forward_progress 0
		.amdhsa_shared_vgpr_count 0
		.amdhsa_exception_fp_ieee_invalid_op 0
		.amdhsa_exception_fp_denorm_src 0
		.amdhsa_exception_fp_ieee_div_zero 0
		.amdhsa_exception_fp_ieee_overflow 0
		.amdhsa_exception_fp_ieee_underflow 0
		.amdhsa_exception_fp_ieee_inexact 0
		.amdhsa_exception_int_div_zero 0
	.end_amdhsa_kernel
	.section	.text._ZN7rocprim17ROCPRIM_400000_NS6detail17trampoline_kernelINS0_14default_configENS1_32segmented_reduce_config_selectorIN3c104HalfEEEZNS1_21segmented_reduce_implIS3_PKS6_PS6_PKiS6_N6hipcub16HIPCUB_304000_NS6detail27convert_result_type_wrapperISA_SB_N2at6native12_GLOBAL__N_19CustomMaxEEEEE10hipError_tPvRmT0_T1_jT2_SS_T4_T3_P12ihipStream_tbEUlT_E_NS1_11comp_targetILNS1_3genE5ELNS1_11target_archE942ELNS1_3gpuE9ELNS1_3repE0EEENS1_30default_config_static_selectorELNS0_4arch9wavefront6targetE0EEEvSR_,"axG",@progbits,_ZN7rocprim17ROCPRIM_400000_NS6detail17trampoline_kernelINS0_14default_configENS1_32segmented_reduce_config_selectorIN3c104HalfEEEZNS1_21segmented_reduce_implIS3_PKS6_PS6_PKiS6_N6hipcub16HIPCUB_304000_NS6detail27convert_result_type_wrapperISA_SB_N2at6native12_GLOBAL__N_19CustomMaxEEEEE10hipError_tPvRmT0_T1_jT2_SS_T4_T3_P12ihipStream_tbEUlT_E_NS1_11comp_targetILNS1_3genE5ELNS1_11target_archE942ELNS1_3gpuE9ELNS1_3repE0EEENS1_30default_config_static_selectorELNS0_4arch9wavefront6targetE0EEEvSR_,comdat
.Lfunc_end78:
	.size	_ZN7rocprim17ROCPRIM_400000_NS6detail17trampoline_kernelINS0_14default_configENS1_32segmented_reduce_config_selectorIN3c104HalfEEEZNS1_21segmented_reduce_implIS3_PKS6_PS6_PKiS6_N6hipcub16HIPCUB_304000_NS6detail27convert_result_type_wrapperISA_SB_N2at6native12_GLOBAL__N_19CustomMaxEEEEE10hipError_tPvRmT0_T1_jT2_SS_T4_T3_P12ihipStream_tbEUlT_E_NS1_11comp_targetILNS1_3genE5ELNS1_11target_archE942ELNS1_3gpuE9ELNS1_3repE0EEENS1_30default_config_static_selectorELNS0_4arch9wavefront6targetE0EEEvSR_, .Lfunc_end78-_ZN7rocprim17ROCPRIM_400000_NS6detail17trampoline_kernelINS0_14default_configENS1_32segmented_reduce_config_selectorIN3c104HalfEEEZNS1_21segmented_reduce_implIS3_PKS6_PS6_PKiS6_N6hipcub16HIPCUB_304000_NS6detail27convert_result_type_wrapperISA_SB_N2at6native12_GLOBAL__N_19CustomMaxEEEEE10hipError_tPvRmT0_T1_jT2_SS_T4_T3_P12ihipStream_tbEUlT_E_NS1_11comp_targetILNS1_3genE5ELNS1_11target_archE942ELNS1_3gpuE9ELNS1_3repE0EEENS1_30default_config_static_selectorELNS0_4arch9wavefront6targetE0EEEvSR_
                                        ; -- End function
	.section	.AMDGPU.csdata,"",@progbits
; Kernel info:
; codeLenInByte = 0
; NumSgprs: 0
; NumVgprs: 0
; ScratchSize: 0
; MemoryBound: 0
; FloatMode: 240
; IeeeMode: 1
; LDSByteSize: 0 bytes/workgroup (compile time only)
; SGPRBlocks: 0
; VGPRBlocks: 0
; NumSGPRsForWavesPerEU: 1
; NumVGPRsForWavesPerEU: 1
; Occupancy: 16
; WaveLimiterHint : 0
; COMPUTE_PGM_RSRC2:SCRATCH_EN: 0
; COMPUTE_PGM_RSRC2:USER_SGPR: 15
; COMPUTE_PGM_RSRC2:TRAP_HANDLER: 0
; COMPUTE_PGM_RSRC2:TGID_X_EN: 1
; COMPUTE_PGM_RSRC2:TGID_Y_EN: 0
; COMPUTE_PGM_RSRC2:TGID_Z_EN: 0
; COMPUTE_PGM_RSRC2:TIDIG_COMP_CNT: 0
	.section	.text._ZN7rocprim17ROCPRIM_400000_NS6detail17trampoline_kernelINS0_14default_configENS1_32segmented_reduce_config_selectorIN3c104HalfEEEZNS1_21segmented_reduce_implIS3_PKS6_PS6_PKiS6_N6hipcub16HIPCUB_304000_NS6detail27convert_result_type_wrapperISA_SB_N2at6native12_GLOBAL__N_19CustomMaxEEEEE10hipError_tPvRmT0_T1_jT2_SS_T4_T3_P12ihipStream_tbEUlT_E_NS1_11comp_targetILNS1_3genE10ELNS1_11target_archE1201ELNS1_3gpuE5ELNS1_3repE0EEENS1_30default_config_static_selectorELNS0_4arch9wavefront6targetE0EEEvSR_,"axG",@progbits,_ZN7rocprim17ROCPRIM_400000_NS6detail17trampoline_kernelINS0_14default_configENS1_32segmented_reduce_config_selectorIN3c104HalfEEEZNS1_21segmented_reduce_implIS3_PKS6_PS6_PKiS6_N6hipcub16HIPCUB_304000_NS6detail27convert_result_type_wrapperISA_SB_N2at6native12_GLOBAL__N_19CustomMaxEEEEE10hipError_tPvRmT0_T1_jT2_SS_T4_T3_P12ihipStream_tbEUlT_E_NS1_11comp_targetILNS1_3genE10ELNS1_11target_archE1201ELNS1_3gpuE5ELNS1_3repE0EEENS1_30default_config_static_selectorELNS0_4arch9wavefront6targetE0EEEvSR_,comdat
	.globl	_ZN7rocprim17ROCPRIM_400000_NS6detail17trampoline_kernelINS0_14default_configENS1_32segmented_reduce_config_selectorIN3c104HalfEEEZNS1_21segmented_reduce_implIS3_PKS6_PS6_PKiS6_N6hipcub16HIPCUB_304000_NS6detail27convert_result_type_wrapperISA_SB_N2at6native12_GLOBAL__N_19CustomMaxEEEEE10hipError_tPvRmT0_T1_jT2_SS_T4_T3_P12ihipStream_tbEUlT_E_NS1_11comp_targetILNS1_3genE10ELNS1_11target_archE1201ELNS1_3gpuE5ELNS1_3repE0EEENS1_30default_config_static_selectorELNS0_4arch9wavefront6targetE0EEEvSR_ ; -- Begin function _ZN7rocprim17ROCPRIM_400000_NS6detail17trampoline_kernelINS0_14default_configENS1_32segmented_reduce_config_selectorIN3c104HalfEEEZNS1_21segmented_reduce_implIS3_PKS6_PS6_PKiS6_N6hipcub16HIPCUB_304000_NS6detail27convert_result_type_wrapperISA_SB_N2at6native12_GLOBAL__N_19CustomMaxEEEEE10hipError_tPvRmT0_T1_jT2_SS_T4_T3_P12ihipStream_tbEUlT_E_NS1_11comp_targetILNS1_3genE10ELNS1_11target_archE1201ELNS1_3gpuE5ELNS1_3repE0EEENS1_30default_config_static_selectorELNS0_4arch9wavefront6targetE0EEEvSR_
	.p2align	8
	.type	_ZN7rocprim17ROCPRIM_400000_NS6detail17trampoline_kernelINS0_14default_configENS1_32segmented_reduce_config_selectorIN3c104HalfEEEZNS1_21segmented_reduce_implIS3_PKS6_PS6_PKiS6_N6hipcub16HIPCUB_304000_NS6detail27convert_result_type_wrapperISA_SB_N2at6native12_GLOBAL__N_19CustomMaxEEEEE10hipError_tPvRmT0_T1_jT2_SS_T4_T3_P12ihipStream_tbEUlT_E_NS1_11comp_targetILNS1_3genE10ELNS1_11target_archE1201ELNS1_3gpuE5ELNS1_3repE0EEENS1_30default_config_static_selectorELNS0_4arch9wavefront6targetE0EEEvSR_,@function
_ZN7rocprim17ROCPRIM_400000_NS6detail17trampoline_kernelINS0_14default_configENS1_32segmented_reduce_config_selectorIN3c104HalfEEEZNS1_21segmented_reduce_implIS3_PKS6_PS6_PKiS6_N6hipcub16HIPCUB_304000_NS6detail27convert_result_type_wrapperISA_SB_N2at6native12_GLOBAL__N_19CustomMaxEEEEE10hipError_tPvRmT0_T1_jT2_SS_T4_T3_P12ihipStream_tbEUlT_E_NS1_11comp_targetILNS1_3genE10ELNS1_11target_archE1201ELNS1_3gpuE5ELNS1_3repE0EEENS1_30default_config_static_selectorELNS0_4arch9wavefront6targetE0EEEvSR_: ; @_ZN7rocprim17ROCPRIM_400000_NS6detail17trampoline_kernelINS0_14default_configENS1_32segmented_reduce_config_selectorIN3c104HalfEEEZNS1_21segmented_reduce_implIS3_PKS6_PS6_PKiS6_N6hipcub16HIPCUB_304000_NS6detail27convert_result_type_wrapperISA_SB_N2at6native12_GLOBAL__N_19CustomMaxEEEEE10hipError_tPvRmT0_T1_jT2_SS_T4_T3_P12ihipStream_tbEUlT_E_NS1_11comp_targetILNS1_3genE10ELNS1_11target_archE1201ELNS1_3gpuE5ELNS1_3repE0EEENS1_30default_config_static_selectorELNS0_4arch9wavefront6targetE0EEEvSR_
; %bb.0:
	.section	.rodata,"a",@progbits
	.p2align	6, 0x0
	.amdhsa_kernel _ZN7rocprim17ROCPRIM_400000_NS6detail17trampoline_kernelINS0_14default_configENS1_32segmented_reduce_config_selectorIN3c104HalfEEEZNS1_21segmented_reduce_implIS3_PKS6_PS6_PKiS6_N6hipcub16HIPCUB_304000_NS6detail27convert_result_type_wrapperISA_SB_N2at6native12_GLOBAL__N_19CustomMaxEEEEE10hipError_tPvRmT0_T1_jT2_SS_T4_T3_P12ihipStream_tbEUlT_E_NS1_11comp_targetILNS1_3genE10ELNS1_11target_archE1201ELNS1_3gpuE5ELNS1_3repE0EEENS1_30default_config_static_selectorELNS0_4arch9wavefront6targetE0EEEvSR_
		.amdhsa_group_segment_fixed_size 0
		.amdhsa_private_segment_fixed_size 0
		.amdhsa_kernarg_size 48
		.amdhsa_user_sgpr_count 15
		.amdhsa_user_sgpr_dispatch_ptr 0
		.amdhsa_user_sgpr_queue_ptr 0
		.amdhsa_user_sgpr_kernarg_segment_ptr 1
		.amdhsa_user_sgpr_dispatch_id 0
		.amdhsa_user_sgpr_private_segment_size 0
		.amdhsa_wavefront_size32 1
		.amdhsa_uses_dynamic_stack 0
		.amdhsa_enable_private_segment 0
		.amdhsa_system_sgpr_workgroup_id_x 1
		.amdhsa_system_sgpr_workgroup_id_y 0
		.amdhsa_system_sgpr_workgroup_id_z 0
		.amdhsa_system_sgpr_workgroup_info 0
		.amdhsa_system_vgpr_workitem_id 0
		.amdhsa_next_free_vgpr 1
		.amdhsa_next_free_sgpr 1
		.amdhsa_reserve_vcc 0
		.amdhsa_float_round_mode_32 0
		.amdhsa_float_round_mode_16_64 0
		.amdhsa_float_denorm_mode_32 3
		.amdhsa_float_denorm_mode_16_64 3
		.amdhsa_dx10_clamp 1
		.amdhsa_ieee_mode 1
		.amdhsa_fp16_overflow 0
		.amdhsa_workgroup_processor_mode 1
		.amdhsa_memory_ordered 1
		.amdhsa_forward_progress 0
		.amdhsa_shared_vgpr_count 0
		.amdhsa_exception_fp_ieee_invalid_op 0
		.amdhsa_exception_fp_denorm_src 0
		.amdhsa_exception_fp_ieee_div_zero 0
		.amdhsa_exception_fp_ieee_overflow 0
		.amdhsa_exception_fp_ieee_underflow 0
		.amdhsa_exception_fp_ieee_inexact 0
		.amdhsa_exception_int_div_zero 0
	.end_amdhsa_kernel
	.section	.text._ZN7rocprim17ROCPRIM_400000_NS6detail17trampoline_kernelINS0_14default_configENS1_32segmented_reduce_config_selectorIN3c104HalfEEEZNS1_21segmented_reduce_implIS3_PKS6_PS6_PKiS6_N6hipcub16HIPCUB_304000_NS6detail27convert_result_type_wrapperISA_SB_N2at6native12_GLOBAL__N_19CustomMaxEEEEE10hipError_tPvRmT0_T1_jT2_SS_T4_T3_P12ihipStream_tbEUlT_E_NS1_11comp_targetILNS1_3genE10ELNS1_11target_archE1201ELNS1_3gpuE5ELNS1_3repE0EEENS1_30default_config_static_selectorELNS0_4arch9wavefront6targetE0EEEvSR_,"axG",@progbits,_ZN7rocprim17ROCPRIM_400000_NS6detail17trampoline_kernelINS0_14default_configENS1_32segmented_reduce_config_selectorIN3c104HalfEEEZNS1_21segmented_reduce_implIS3_PKS6_PS6_PKiS6_N6hipcub16HIPCUB_304000_NS6detail27convert_result_type_wrapperISA_SB_N2at6native12_GLOBAL__N_19CustomMaxEEEEE10hipError_tPvRmT0_T1_jT2_SS_T4_T3_P12ihipStream_tbEUlT_E_NS1_11comp_targetILNS1_3genE10ELNS1_11target_archE1201ELNS1_3gpuE5ELNS1_3repE0EEENS1_30default_config_static_selectorELNS0_4arch9wavefront6targetE0EEEvSR_,comdat
.Lfunc_end79:
	.size	_ZN7rocprim17ROCPRIM_400000_NS6detail17trampoline_kernelINS0_14default_configENS1_32segmented_reduce_config_selectorIN3c104HalfEEEZNS1_21segmented_reduce_implIS3_PKS6_PS6_PKiS6_N6hipcub16HIPCUB_304000_NS6detail27convert_result_type_wrapperISA_SB_N2at6native12_GLOBAL__N_19CustomMaxEEEEE10hipError_tPvRmT0_T1_jT2_SS_T4_T3_P12ihipStream_tbEUlT_E_NS1_11comp_targetILNS1_3genE10ELNS1_11target_archE1201ELNS1_3gpuE5ELNS1_3repE0EEENS1_30default_config_static_selectorELNS0_4arch9wavefront6targetE0EEEvSR_, .Lfunc_end79-_ZN7rocprim17ROCPRIM_400000_NS6detail17trampoline_kernelINS0_14default_configENS1_32segmented_reduce_config_selectorIN3c104HalfEEEZNS1_21segmented_reduce_implIS3_PKS6_PS6_PKiS6_N6hipcub16HIPCUB_304000_NS6detail27convert_result_type_wrapperISA_SB_N2at6native12_GLOBAL__N_19CustomMaxEEEEE10hipError_tPvRmT0_T1_jT2_SS_T4_T3_P12ihipStream_tbEUlT_E_NS1_11comp_targetILNS1_3genE10ELNS1_11target_archE1201ELNS1_3gpuE5ELNS1_3repE0EEENS1_30default_config_static_selectorELNS0_4arch9wavefront6targetE0EEEvSR_
                                        ; -- End function
	.section	.AMDGPU.csdata,"",@progbits
; Kernel info:
; codeLenInByte = 0
; NumSgprs: 0
; NumVgprs: 0
; ScratchSize: 0
; MemoryBound: 0
; FloatMode: 240
; IeeeMode: 1
; LDSByteSize: 0 bytes/workgroup (compile time only)
; SGPRBlocks: 0
; VGPRBlocks: 0
; NumSGPRsForWavesPerEU: 1
; NumVGPRsForWavesPerEU: 1
; Occupancy: 16
; WaveLimiterHint : 0
; COMPUTE_PGM_RSRC2:SCRATCH_EN: 0
; COMPUTE_PGM_RSRC2:USER_SGPR: 15
; COMPUTE_PGM_RSRC2:TRAP_HANDLER: 0
; COMPUTE_PGM_RSRC2:TGID_X_EN: 1
; COMPUTE_PGM_RSRC2:TGID_Y_EN: 0
; COMPUTE_PGM_RSRC2:TGID_Z_EN: 0
; COMPUTE_PGM_RSRC2:TIDIG_COMP_CNT: 0
	.section	.text._ZN7rocprim17ROCPRIM_400000_NS6detail17trampoline_kernelINS0_14default_configENS1_32segmented_reduce_config_selectorIN3c104HalfEEEZNS1_21segmented_reduce_implIS3_PKS6_PS6_PKiS6_N6hipcub16HIPCUB_304000_NS6detail27convert_result_type_wrapperISA_SB_N2at6native12_GLOBAL__N_19CustomMaxEEEEE10hipError_tPvRmT0_T1_jT2_SS_T4_T3_P12ihipStream_tbEUlT_E_NS1_11comp_targetILNS1_3genE4ELNS1_11target_archE910ELNS1_3gpuE8ELNS1_3repE0EEENS1_30default_config_static_selectorELNS0_4arch9wavefront6targetE0EEEvSR_,"axG",@progbits,_ZN7rocprim17ROCPRIM_400000_NS6detail17trampoline_kernelINS0_14default_configENS1_32segmented_reduce_config_selectorIN3c104HalfEEEZNS1_21segmented_reduce_implIS3_PKS6_PS6_PKiS6_N6hipcub16HIPCUB_304000_NS6detail27convert_result_type_wrapperISA_SB_N2at6native12_GLOBAL__N_19CustomMaxEEEEE10hipError_tPvRmT0_T1_jT2_SS_T4_T3_P12ihipStream_tbEUlT_E_NS1_11comp_targetILNS1_3genE4ELNS1_11target_archE910ELNS1_3gpuE8ELNS1_3repE0EEENS1_30default_config_static_selectorELNS0_4arch9wavefront6targetE0EEEvSR_,comdat
	.globl	_ZN7rocprim17ROCPRIM_400000_NS6detail17trampoline_kernelINS0_14default_configENS1_32segmented_reduce_config_selectorIN3c104HalfEEEZNS1_21segmented_reduce_implIS3_PKS6_PS6_PKiS6_N6hipcub16HIPCUB_304000_NS6detail27convert_result_type_wrapperISA_SB_N2at6native12_GLOBAL__N_19CustomMaxEEEEE10hipError_tPvRmT0_T1_jT2_SS_T4_T3_P12ihipStream_tbEUlT_E_NS1_11comp_targetILNS1_3genE4ELNS1_11target_archE910ELNS1_3gpuE8ELNS1_3repE0EEENS1_30default_config_static_selectorELNS0_4arch9wavefront6targetE0EEEvSR_ ; -- Begin function _ZN7rocprim17ROCPRIM_400000_NS6detail17trampoline_kernelINS0_14default_configENS1_32segmented_reduce_config_selectorIN3c104HalfEEEZNS1_21segmented_reduce_implIS3_PKS6_PS6_PKiS6_N6hipcub16HIPCUB_304000_NS6detail27convert_result_type_wrapperISA_SB_N2at6native12_GLOBAL__N_19CustomMaxEEEEE10hipError_tPvRmT0_T1_jT2_SS_T4_T3_P12ihipStream_tbEUlT_E_NS1_11comp_targetILNS1_3genE4ELNS1_11target_archE910ELNS1_3gpuE8ELNS1_3repE0EEENS1_30default_config_static_selectorELNS0_4arch9wavefront6targetE0EEEvSR_
	.p2align	8
	.type	_ZN7rocprim17ROCPRIM_400000_NS6detail17trampoline_kernelINS0_14default_configENS1_32segmented_reduce_config_selectorIN3c104HalfEEEZNS1_21segmented_reduce_implIS3_PKS6_PS6_PKiS6_N6hipcub16HIPCUB_304000_NS6detail27convert_result_type_wrapperISA_SB_N2at6native12_GLOBAL__N_19CustomMaxEEEEE10hipError_tPvRmT0_T1_jT2_SS_T4_T3_P12ihipStream_tbEUlT_E_NS1_11comp_targetILNS1_3genE4ELNS1_11target_archE910ELNS1_3gpuE8ELNS1_3repE0EEENS1_30default_config_static_selectorELNS0_4arch9wavefront6targetE0EEEvSR_,@function
_ZN7rocprim17ROCPRIM_400000_NS6detail17trampoline_kernelINS0_14default_configENS1_32segmented_reduce_config_selectorIN3c104HalfEEEZNS1_21segmented_reduce_implIS3_PKS6_PS6_PKiS6_N6hipcub16HIPCUB_304000_NS6detail27convert_result_type_wrapperISA_SB_N2at6native12_GLOBAL__N_19CustomMaxEEEEE10hipError_tPvRmT0_T1_jT2_SS_T4_T3_P12ihipStream_tbEUlT_E_NS1_11comp_targetILNS1_3genE4ELNS1_11target_archE910ELNS1_3gpuE8ELNS1_3repE0EEENS1_30default_config_static_selectorELNS0_4arch9wavefront6targetE0EEEvSR_: ; @_ZN7rocprim17ROCPRIM_400000_NS6detail17trampoline_kernelINS0_14default_configENS1_32segmented_reduce_config_selectorIN3c104HalfEEEZNS1_21segmented_reduce_implIS3_PKS6_PS6_PKiS6_N6hipcub16HIPCUB_304000_NS6detail27convert_result_type_wrapperISA_SB_N2at6native12_GLOBAL__N_19CustomMaxEEEEE10hipError_tPvRmT0_T1_jT2_SS_T4_T3_P12ihipStream_tbEUlT_E_NS1_11comp_targetILNS1_3genE4ELNS1_11target_archE910ELNS1_3gpuE8ELNS1_3repE0EEENS1_30default_config_static_selectorELNS0_4arch9wavefront6targetE0EEEvSR_
; %bb.0:
	.section	.rodata,"a",@progbits
	.p2align	6, 0x0
	.amdhsa_kernel _ZN7rocprim17ROCPRIM_400000_NS6detail17trampoline_kernelINS0_14default_configENS1_32segmented_reduce_config_selectorIN3c104HalfEEEZNS1_21segmented_reduce_implIS3_PKS6_PS6_PKiS6_N6hipcub16HIPCUB_304000_NS6detail27convert_result_type_wrapperISA_SB_N2at6native12_GLOBAL__N_19CustomMaxEEEEE10hipError_tPvRmT0_T1_jT2_SS_T4_T3_P12ihipStream_tbEUlT_E_NS1_11comp_targetILNS1_3genE4ELNS1_11target_archE910ELNS1_3gpuE8ELNS1_3repE0EEENS1_30default_config_static_selectorELNS0_4arch9wavefront6targetE0EEEvSR_
		.amdhsa_group_segment_fixed_size 0
		.amdhsa_private_segment_fixed_size 0
		.amdhsa_kernarg_size 48
		.amdhsa_user_sgpr_count 15
		.amdhsa_user_sgpr_dispatch_ptr 0
		.amdhsa_user_sgpr_queue_ptr 0
		.amdhsa_user_sgpr_kernarg_segment_ptr 1
		.amdhsa_user_sgpr_dispatch_id 0
		.amdhsa_user_sgpr_private_segment_size 0
		.amdhsa_wavefront_size32 1
		.amdhsa_uses_dynamic_stack 0
		.amdhsa_enable_private_segment 0
		.amdhsa_system_sgpr_workgroup_id_x 1
		.amdhsa_system_sgpr_workgroup_id_y 0
		.amdhsa_system_sgpr_workgroup_id_z 0
		.amdhsa_system_sgpr_workgroup_info 0
		.amdhsa_system_vgpr_workitem_id 0
		.amdhsa_next_free_vgpr 1
		.amdhsa_next_free_sgpr 1
		.amdhsa_reserve_vcc 0
		.amdhsa_float_round_mode_32 0
		.amdhsa_float_round_mode_16_64 0
		.amdhsa_float_denorm_mode_32 3
		.amdhsa_float_denorm_mode_16_64 3
		.amdhsa_dx10_clamp 1
		.amdhsa_ieee_mode 1
		.amdhsa_fp16_overflow 0
		.amdhsa_workgroup_processor_mode 1
		.amdhsa_memory_ordered 1
		.amdhsa_forward_progress 0
		.amdhsa_shared_vgpr_count 0
		.amdhsa_exception_fp_ieee_invalid_op 0
		.amdhsa_exception_fp_denorm_src 0
		.amdhsa_exception_fp_ieee_div_zero 0
		.amdhsa_exception_fp_ieee_overflow 0
		.amdhsa_exception_fp_ieee_underflow 0
		.amdhsa_exception_fp_ieee_inexact 0
		.amdhsa_exception_int_div_zero 0
	.end_amdhsa_kernel
	.section	.text._ZN7rocprim17ROCPRIM_400000_NS6detail17trampoline_kernelINS0_14default_configENS1_32segmented_reduce_config_selectorIN3c104HalfEEEZNS1_21segmented_reduce_implIS3_PKS6_PS6_PKiS6_N6hipcub16HIPCUB_304000_NS6detail27convert_result_type_wrapperISA_SB_N2at6native12_GLOBAL__N_19CustomMaxEEEEE10hipError_tPvRmT0_T1_jT2_SS_T4_T3_P12ihipStream_tbEUlT_E_NS1_11comp_targetILNS1_3genE4ELNS1_11target_archE910ELNS1_3gpuE8ELNS1_3repE0EEENS1_30default_config_static_selectorELNS0_4arch9wavefront6targetE0EEEvSR_,"axG",@progbits,_ZN7rocprim17ROCPRIM_400000_NS6detail17trampoline_kernelINS0_14default_configENS1_32segmented_reduce_config_selectorIN3c104HalfEEEZNS1_21segmented_reduce_implIS3_PKS6_PS6_PKiS6_N6hipcub16HIPCUB_304000_NS6detail27convert_result_type_wrapperISA_SB_N2at6native12_GLOBAL__N_19CustomMaxEEEEE10hipError_tPvRmT0_T1_jT2_SS_T4_T3_P12ihipStream_tbEUlT_E_NS1_11comp_targetILNS1_3genE4ELNS1_11target_archE910ELNS1_3gpuE8ELNS1_3repE0EEENS1_30default_config_static_selectorELNS0_4arch9wavefront6targetE0EEEvSR_,comdat
.Lfunc_end80:
	.size	_ZN7rocprim17ROCPRIM_400000_NS6detail17trampoline_kernelINS0_14default_configENS1_32segmented_reduce_config_selectorIN3c104HalfEEEZNS1_21segmented_reduce_implIS3_PKS6_PS6_PKiS6_N6hipcub16HIPCUB_304000_NS6detail27convert_result_type_wrapperISA_SB_N2at6native12_GLOBAL__N_19CustomMaxEEEEE10hipError_tPvRmT0_T1_jT2_SS_T4_T3_P12ihipStream_tbEUlT_E_NS1_11comp_targetILNS1_3genE4ELNS1_11target_archE910ELNS1_3gpuE8ELNS1_3repE0EEENS1_30default_config_static_selectorELNS0_4arch9wavefront6targetE0EEEvSR_, .Lfunc_end80-_ZN7rocprim17ROCPRIM_400000_NS6detail17trampoline_kernelINS0_14default_configENS1_32segmented_reduce_config_selectorIN3c104HalfEEEZNS1_21segmented_reduce_implIS3_PKS6_PS6_PKiS6_N6hipcub16HIPCUB_304000_NS6detail27convert_result_type_wrapperISA_SB_N2at6native12_GLOBAL__N_19CustomMaxEEEEE10hipError_tPvRmT0_T1_jT2_SS_T4_T3_P12ihipStream_tbEUlT_E_NS1_11comp_targetILNS1_3genE4ELNS1_11target_archE910ELNS1_3gpuE8ELNS1_3repE0EEENS1_30default_config_static_selectorELNS0_4arch9wavefront6targetE0EEEvSR_
                                        ; -- End function
	.section	.AMDGPU.csdata,"",@progbits
; Kernel info:
; codeLenInByte = 0
; NumSgprs: 0
; NumVgprs: 0
; ScratchSize: 0
; MemoryBound: 0
; FloatMode: 240
; IeeeMode: 1
; LDSByteSize: 0 bytes/workgroup (compile time only)
; SGPRBlocks: 0
; VGPRBlocks: 0
; NumSGPRsForWavesPerEU: 1
; NumVGPRsForWavesPerEU: 1
; Occupancy: 16
; WaveLimiterHint : 0
; COMPUTE_PGM_RSRC2:SCRATCH_EN: 0
; COMPUTE_PGM_RSRC2:USER_SGPR: 15
; COMPUTE_PGM_RSRC2:TRAP_HANDLER: 0
; COMPUTE_PGM_RSRC2:TGID_X_EN: 1
; COMPUTE_PGM_RSRC2:TGID_Y_EN: 0
; COMPUTE_PGM_RSRC2:TGID_Z_EN: 0
; COMPUTE_PGM_RSRC2:TIDIG_COMP_CNT: 0
	.section	.text._ZN7rocprim17ROCPRIM_400000_NS6detail17trampoline_kernelINS0_14default_configENS1_32segmented_reduce_config_selectorIN3c104HalfEEEZNS1_21segmented_reduce_implIS3_PKS6_PS6_PKiS6_N6hipcub16HIPCUB_304000_NS6detail27convert_result_type_wrapperISA_SB_N2at6native12_GLOBAL__N_19CustomMaxEEEEE10hipError_tPvRmT0_T1_jT2_SS_T4_T3_P12ihipStream_tbEUlT_E_NS1_11comp_targetILNS1_3genE3ELNS1_11target_archE908ELNS1_3gpuE7ELNS1_3repE0EEENS1_30default_config_static_selectorELNS0_4arch9wavefront6targetE0EEEvSR_,"axG",@progbits,_ZN7rocprim17ROCPRIM_400000_NS6detail17trampoline_kernelINS0_14default_configENS1_32segmented_reduce_config_selectorIN3c104HalfEEEZNS1_21segmented_reduce_implIS3_PKS6_PS6_PKiS6_N6hipcub16HIPCUB_304000_NS6detail27convert_result_type_wrapperISA_SB_N2at6native12_GLOBAL__N_19CustomMaxEEEEE10hipError_tPvRmT0_T1_jT2_SS_T4_T3_P12ihipStream_tbEUlT_E_NS1_11comp_targetILNS1_3genE3ELNS1_11target_archE908ELNS1_3gpuE7ELNS1_3repE0EEENS1_30default_config_static_selectorELNS0_4arch9wavefront6targetE0EEEvSR_,comdat
	.globl	_ZN7rocprim17ROCPRIM_400000_NS6detail17trampoline_kernelINS0_14default_configENS1_32segmented_reduce_config_selectorIN3c104HalfEEEZNS1_21segmented_reduce_implIS3_PKS6_PS6_PKiS6_N6hipcub16HIPCUB_304000_NS6detail27convert_result_type_wrapperISA_SB_N2at6native12_GLOBAL__N_19CustomMaxEEEEE10hipError_tPvRmT0_T1_jT2_SS_T4_T3_P12ihipStream_tbEUlT_E_NS1_11comp_targetILNS1_3genE3ELNS1_11target_archE908ELNS1_3gpuE7ELNS1_3repE0EEENS1_30default_config_static_selectorELNS0_4arch9wavefront6targetE0EEEvSR_ ; -- Begin function _ZN7rocprim17ROCPRIM_400000_NS6detail17trampoline_kernelINS0_14default_configENS1_32segmented_reduce_config_selectorIN3c104HalfEEEZNS1_21segmented_reduce_implIS3_PKS6_PS6_PKiS6_N6hipcub16HIPCUB_304000_NS6detail27convert_result_type_wrapperISA_SB_N2at6native12_GLOBAL__N_19CustomMaxEEEEE10hipError_tPvRmT0_T1_jT2_SS_T4_T3_P12ihipStream_tbEUlT_E_NS1_11comp_targetILNS1_3genE3ELNS1_11target_archE908ELNS1_3gpuE7ELNS1_3repE0EEENS1_30default_config_static_selectorELNS0_4arch9wavefront6targetE0EEEvSR_
	.p2align	8
	.type	_ZN7rocprim17ROCPRIM_400000_NS6detail17trampoline_kernelINS0_14default_configENS1_32segmented_reduce_config_selectorIN3c104HalfEEEZNS1_21segmented_reduce_implIS3_PKS6_PS6_PKiS6_N6hipcub16HIPCUB_304000_NS6detail27convert_result_type_wrapperISA_SB_N2at6native12_GLOBAL__N_19CustomMaxEEEEE10hipError_tPvRmT0_T1_jT2_SS_T4_T3_P12ihipStream_tbEUlT_E_NS1_11comp_targetILNS1_3genE3ELNS1_11target_archE908ELNS1_3gpuE7ELNS1_3repE0EEENS1_30default_config_static_selectorELNS0_4arch9wavefront6targetE0EEEvSR_,@function
_ZN7rocprim17ROCPRIM_400000_NS6detail17trampoline_kernelINS0_14default_configENS1_32segmented_reduce_config_selectorIN3c104HalfEEEZNS1_21segmented_reduce_implIS3_PKS6_PS6_PKiS6_N6hipcub16HIPCUB_304000_NS6detail27convert_result_type_wrapperISA_SB_N2at6native12_GLOBAL__N_19CustomMaxEEEEE10hipError_tPvRmT0_T1_jT2_SS_T4_T3_P12ihipStream_tbEUlT_E_NS1_11comp_targetILNS1_3genE3ELNS1_11target_archE908ELNS1_3gpuE7ELNS1_3repE0EEENS1_30default_config_static_selectorELNS0_4arch9wavefront6targetE0EEEvSR_: ; @_ZN7rocprim17ROCPRIM_400000_NS6detail17trampoline_kernelINS0_14default_configENS1_32segmented_reduce_config_selectorIN3c104HalfEEEZNS1_21segmented_reduce_implIS3_PKS6_PS6_PKiS6_N6hipcub16HIPCUB_304000_NS6detail27convert_result_type_wrapperISA_SB_N2at6native12_GLOBAL__N_19CustomMaxEEEEE10hipError_tPvRmT0_T1_jT2_SS_T4_T3_P12ihipStream_tbEUlT_E_NS1_11comp_targetILNS1_3genE3ELNS1_11target_archE908ELNS1_3gpuE7ELNS1_3repE0EEENS1_30default_config_static_selectorELNS0_4arch9wavefront6targetE0EEEvSR_
; %bb.0:
	.section	.rodata,"a",@progbits
	.p2align	6, 0x0
	.amdhsa_kernel _ZN7rocprim17ROCPRIM_400000_NS6detail17trampoline_kernelINS0_14default_configENS1_32segmented_reduce_config_selectorIN3c104HalfEEEZNS1_21segmented_reduce_implIS3_PKS6_PS6_PKiS6_N6hipcub16HIPCUB_304000_NS6detail27convert_result_type_wrapperISA_SB_N2at6native12_GLOBAL__N_19CustomMaxEEEEE10hipError_tPvRmT0_T1_jT2_SS_T4_T3_P12ihipStream_tbEUlT_E_NS1_11comp_targetILNS1_3genE3ELNS1_11target_archE908ELNS1_3gpuE7ELNS1_3repE0EEENS1_30default_config_static_selectorELNS0_4arch9wavefront6targetE0EEEvSR_
		.amdhsa_group_segment_fixed_size 0
		.amdhsa_private_segment_fixed_size 0
		.amdhsa_kernarg_size 48
		.amdhsa_user_sgpr_count 15
		.amdhsa_user_sgpr_dispatch_ptr 0
		.amdhsa_user_sgpr_queue_ptr 0
		.amdhsa_user_sgpr_kernarg_segment_ptr 1
		.amdhsa_user_sgpr_dispatch_id 0
		.amdhsa_user_sgpr_private_segment_size 0
		.amdhsa_wavefront_size32 1
		.amdhsa_uses_dynamic_stack 0
		.amdhsa_enable_private_segment 0
		.amdhsa_system_sgpr_workgroup_id_x 1
		.amdhsa_system_sgpr_workgroup_id_y 0
		.amdhsa_system_sgpr_workgroup_id_z 0
		.amdhsa_system_sgpr_workgroup_info 0
		.amdhsa_system_vgpr_workitem_id 0
		.amdhsa_next_free_vgpr 1
		.amdhsa_next_free_sgpr 1
		.amdhsa_reserve_vcc 0
		.amdhsa_float_round_mode_32 0
		.amdhsa_float_round_mode_16_64 0
		.amdhsa_float_denorm_mode_32 3
		.amdhsa_float_denorm_mode_16_64 3
		.amdhsa_dx10_clamp 1
		.amdhsa_ieee_mode 1
		.amdhsa_fp16_overflow 0
		.amdhsa_workgroup_processor_mode 1
		.amdhsa_memory_ordered 1
		.amdhsa_forward_progress 0
		.amdhsa_shared_vgpr_count 0
		.amdhsa_exception_fp_ieee_invalid_op 0
		.amdhsa_exception_fp_denorm_src 0
		.amdhsa_exception_fp_ieee_div_zero 0
		.amdhsa_exception_fp_ieee_overflow 0
		.amdhsa_exception_fp_ieee_underflow 0
		.amdhsa_exception_fp_ieee_inexact 0
		.amdhsa_exception_int_div_zero 0
	.end_amdhsa_kernel
	.section	.text._ZN7rocprim17ROCPRIM_400000_NS6detail17trampoline_kernelINS0_14default_configENS1_32segmented_reduce_config_selectorIN3c104HalfEEEZNS1_21segmented_reduce_implIS3_PKS6_PS6_PKiS6_N6hipcub16HIPCUB_304000_NS6detail27convert_result_type_wrapperISA_SB_N2at6native12_GLOBAL__N_19CustomMaxEEEEE10hipError_tPvRmT0_T1_jT2_SS_T4_T3_P12ihipStream_tbEUlT_E_NS1_11comp_targetILNS1_3genE3ELNS1_11target_archE908ELNS1_3gpuE7ELNS1_3repE0EEENS1_30default_config_static_selectorELNS0_4arch9wavefront6targetE0EEEvSR_,"axG",@progbits,_ZN7rocprim17ROCPRIM_400000_NS6detail17trampoline_kernelINS0_14default_configENS1_32segmented_reduce_config_selectorIN3c104HalfEEEZNS1_21segmented_reduce_implIS3_PKS6_PS6_PKiS6_N6hipcub16HIPCUB_304000_NS6detail27convert_result_type_wrapperISA_SB_N2at6native12_GLOBAL__N_19CustomMaxEEEEE10hipError_tPvRmT0_T1_jT2_SS_T4_T3_P12ihipStream_tbEUlT_E_NS1_11comp_targetILNS1_3genE3ELNS1_11target_archE908ELNS1_3gpuE7ELNS1_3repE0EEENS1_30default_config_static_selectorELNS0_4arch9wavefront6targetE0EEEvSR_,comdat
.Lfunc_end81:
	.size	_ZN7rocprim17ROCPRIM_400000_NS6detail17trampoline_kernelINS0_14default_configENS1_32segmented_reduce_config_selectorIN3c104HalfEEEZNS1_21segmented_reduce_implIS3_PKS6_PS6_PKiS6_N6hipcub16HIPCUB_304000_NS6detail27convert_result_type_wrapperISA_SB_N2at6native12_GLOBAL__N_19CustomMaxEEEEE10hipError_tPvRmT0_T1_jT2_SS_T4_T3_P12ihipStream_tbEUlT_E_NS1_11comp_targetILNS1_3genE3ELNS1_11target_archE908ELNS1_3gpuE7ELNS1_3repE0EEENS1_30default_config_static_selectorELNS0_4arch9wavefront6targetE0EEEvSR_, .Lfunc_end81-_ZN7rocprim17ROCPRIM_400000_NS6detail17trampoline_kernelINS0_14default_configENS1_32segmented_reduce_config_selectorIN3c104HalfEEEZNS1_21segmented_reduce_implIS3_PKS6_PS6_PKiS6_N6hipcub16HIPCUB_304000_NS6detail27convert_result_type_wrapperISA_SB_N2at6native12_GLOBAL__N_19CustomMaxEEEEE10hipError_tPvRmT0_T1_jT2_SS_T4_T3_P12ihipStream_tbEUlT_E_NS1_11comp_targetILNS1_3genE3ELNS1_11target_archE908ELNS1_3gpuE7ELNS1_3repE0EEENS1_30default_config_static_selectorELNS0_4arch9wavefront6targetE0EEEvSR_
                                        ; -- End function
	.section	.AMDGPU.csdata,"",@progbits
; Kernel info:
; codeLenInByte = 0
; NumSgprs: 0
; NumVgprs: 0
; ScratchSize: 0
; MemoryBound: 0
; FloatMode: 240
; IeeeMode: 1
; LDSByteSize: 0 bytes/workgroup (compile time only)
; SGPRBlocks: 0
; VGPRBlocks: 0
; NumSGPRsForWavesPerEU: 1
; NumVGPRsForWavesPerEU: 1
; Occupancy: 16
; WaveLimiterHint : 0
; COMPUTE_PGM_RSRC2:SCRATCH_EN: 0
; COMPUTE_PGM_RSRC2:USER_SGPR: 15
; COMPUTE_PGM_RSRC2:TRAP_HANDLER: 0
; COMPUTE_PGM_RSRC2:TGID_X_EN: 1
; COMPUTE_PGM_RSRC2:TGID_Y_EN: 0
; COMPUTE_PGM_RSRC2:TGID_Z_EN: 0
; COMPUTE_PGM_RSRC2:TIDIG_COMP_CNT: 0
	.section	.text._ZN7rocprim17ROCPRIM_400000_NS6detail17trampoline_kernelINS0_14default_configENS1_32segmented_reduce_config_selectorIN3c104HalfEEEZNS1_21segmented_reduce_implIS3_PKS6_PS6_PKiS6_N6hipcub16HIPCUB_304000_NS6detail27convert_result_type_wrapperISA_SB_N2at6native12_GLOBAL__N_19CustomMaxEEEEE10hipError_tPvRmT0_T1_jT2_SS_T4_T3_P12ihipStream_tbEUlT_E_NS1_11comp_targetILNS1_3genE2ELNS1_11target_archE906ELNS1_3gpuE6ELNS1_3repE0EEENS1_30default_config_static_selectorELNS0_4arch9wavefront6targetE0EEEvSR_,"axG",@progbits,_ZN7rocprim17ROCPRIM_400000_NS6detail17trampoline_kernelINS0_14default_configENS1_32segmented_reduce_config_selectorIN3c104HalfEEEZNS1_21segmented_reduce_implIS3_PKS6_PS6_PKiS6_N6hipcub16HIPCUB_304000_NS6detail27convert_result_type_wrapperISA_SB_N2at6native12_GLOBAL__N_19CustomMaxEEEEE10hipError_tPvRmT0_T1_jT2_SS_T4_T3_P12ihipStream_tbEUlT_E_NS1_11comp_targetILNS1_3genE2ELNS1_11target_archE906ELNS1_3gpuE6ELNS1_3repE0EEENS1_30default_config_static_selectorELNS0_4arch9wavefront6targetE0EEEvSR_,comdat
	.globl	_ZN7rocprim17ROCPRIM_400000_NS6detail17trampoline_kernelINS0_14default_configENS1_32segmented_reduce_config_selectorIN3c104HalfEEEZNS1_21segmented_reduce_implIS3_PKS6_PS6_PKiS6_N6hipcub16HIPCUB_304000_NS6detail27convert_result_type_wrapperISA_SB_N2at6native12_GLOBAL__N_19CustomMaxEEEEE10hipError_tPvRmT0_T1_jT2_SS_T4_T3_P12ihipStream_tbEUlT_E_NS1_11comp_targetILNS1_3genE2ELNS1_11target_archE906ELNS1_3gpuE6ELNS1_3repE0EEENS1_30default_config_static_selectorELNS0_4arch9wavefront6targetE0EEEvSR_ ; -- Begin function _ZN7rocprim17ROCPRIM_400000_NS6detail17trampoline_kernelINS0_14default_configENS1_32segmented_reduce_config_selectorIN3c104HalfEEEZNS1_21segmented_reduce_implIS3_PKS6_PS6_PKiS6_N6hipcub16HIPCUB_304000_NS6detail27convert_result_type_wrapperISA_SB_N2at6native12_GLOBAL__N_19CustomMaxEEEEE10hipError_tPvRmT0_T1_jT2_SS_T4_T3_P12ihipStream_tbEUlT_E_NS1_11comp_targetILNS1_3genE2ELNS1_11target_archE906ELNS1_3gpuE6ELNS1_3repE0EEENS1_30default_config_static_selectorELNS0_4arch9wavefront6targetE0EEEvSR_
	.p2align	8
	.type	_ZN7rocprim17ROCPRIM_400000_NS6detail17trampoline_kernelINS0_14default_configENS1_32segmented_reduce_config_selectorIN3c104HalfEEEZNS1_21segmented_reduce_implIS3_PKS6_PS6_PKiS6_N6hipcub16HIPCUB_304000_NS6detail27convert_result_type_wrapperISA_SB_N2at6native12_GLOBAL__N_19CustomMaxEEEEE10hipError_tPvRmT0_T1_jT2_SS_T4_T3_P12ihipStream_tbEUlT_E_NS1_11comp_targetILNS1_3genE2ELNS1_11target_archE906ELNS1_3gpuE6ELNS1_3repE0EEENS1_30default_config_static_selectorELNS0_4arch9wavefront6targetE0EEEvSR_,@function
_ZN7rocprim17ROCPRIM_400000_NS6detail17trampoline_kernelINS0_14default_configENS1_32segmented_reduce_config_selectorIN3c104HalfEEEZNS1_21segmented_reduce_implIS3_PKS6_PS6_PKiS6_N6hipcub16HIPCUB_304000_NS6detail27convert_result_type_wrapperISA_SB_N2at6native12_GLOBAL__N_19CustomMaxEEEEE10hipError_tPvRmT0_T1_jT2_SS_T4_T3_P12ihipStream_tbEUlT_E_NS1_11comp_targetILNS1_3genE2ELNS1_11target_archE906ELNS1_3gpuE6ELNS1_3repE0EEENS1_30default_config_static_selectorELNS0_4arch9wavefront6targetE0EEEvSR_: ; @_ZN7rocprim17ROCPRIM_400000_NS6detail17trampoline_kernelINS0_14default_configENS1_32segmented_reduce_config_selectorIN3c104HalfEEEZNS1_21segmented_reduce_implIS3_PKS6_PS6_PKiS6_N6hipcub16HIPCUB_304000_NS6detail27convert_result_type_wrapperISA_SB_N2at6native12_GLOBAL__N_19CustomMaxEEEEE10hipError_tPvRmT0_T1_jT2_SS_T4_T3_P12ihipStream_tbEUlT_E_NS1_11comp_targetILNS1_3genE2ELNS1_11target_archE906ELNS1_3gpuE6ELNS1_3repE0EEENS1_30default_config_static_selectorELNS0_4arch9wavefront6targetE0EEEvSR_
; %bb.0:
	.section	.rodata,"a",@progbits
	.p2align	6, 0x0
	.amdhsa_kernel _ZN7rocprim17ROCPRIM_400000_NS6detail17trampoline_kernelINS0_14default_configENS1_32segmented_reduce_config_selectorIN3c104HalfEEEZNS1_21segmented_reduce_implIS3_PKS6_PS6_PKiS6_N6hipcub16HIPCUB_304000_NS6detail27convert_result_type_wrapperISA_SB_N2at6native12_GLOBAL__N_19CustomMaxEEEEE10hipError_tPvRmT0_T1_jT2_SS_T4_T3_P12ihipStream_tbEUlT_E_NS1_11comp_targetILNS1_3genE2ELNS1_11target_archE906ELNS1_3gpuE6ELNS1_3repE0EEENS1_30default_config_static_selectorELNS0_4arch9wavefront6targetE0EEEvSR_
		.amdhsa_group_segment_fixed_size 0
		.amdhsa_private_segment_fixed_size 0
		.amdhsa_kernarg_size 48
		.amdhsa_user_sgpr_count 15
		.amdhsa_user_sgpr_dispatch_ptr 0
		.amdhsa_user_sgpr_queue_ptr 0
		.amdhsa_user_sgpr_kernarg_segment_ptr 1
		.amdhsa_user_sgpr_dispatch_id 0
		.amdhsa_user_sgpr_private_segment_size 0
		.amdhsa_wavefront_size32 1
		.amdhsa_uses_dynamic_stack 0
		.amdhsa_enable_private_segment 0
		.amdhsa_system_sgpr_workgroup_id_x 1
		.amdhsa_system_sgpr_workgroup_id_y 0
		.amdhsa_system_sgpr_workgroup_id_z 0
		.amdhsa_system_sgpr_workgroup_info 0
		.amdhsa_system_vgpr_workitem_id 0
		.amdhsa_next_free_vgpr 1
		.amdhsa_next_free_sgpr 1
		.amdhsa_reserve_vcc 0
		.amdhsa_float_round_mode_32 0
		.amdhsa_float_round_mode_16_64 0
		.amdhsa_float_denorm_mode_32 3
		.amdhsa_float_denorm_mode_16_64 3
		.amdhsa_dx10_clamp 1
		.amdhsa_ieee_mode 1
		.amdhsa_fp16_overflow 0
		.amdhsa_workgroup_processor_mode 1
		.amdhsa_memory_ordered 1
		.amdhsa_forward_progress 0
		.amdhsa_shared_vgpr_count 0
		.amdhsa_exception_fp_ieee_invalid_op 0
		.amdhsa_exception_fp_denorm_src 0
		.amdhsa_exception_fp_ieee_div_zero 0
		.amdhsa_exception_fp_ieee_overflow 0
		.amdhsa_exception_fp_ieee_underflow 0
		.amdhsa_exception_fp_ieee_inexact 0
		.amdhsa_exception_int_div_zero 0
	.end_amdhsa_kernel
	.section	.text._ZN7rocprim17ROCPRIM_400000_NS6detail17trampoline_kernelINS0_14default_configENS1_32segmented_reduce_config_selectorIN3c104HalfEEEZNS1_21segmented_reduce_implIS3_PKS6_PS6_PKiS6_N6hipcub16HIPCUB_304000_NS6detail27convert_result_type_wrapperISA_SB_N2at6native12_GLOBAL__N_19CustomMaxEEEEE10hipError_tPvRmT0_T1_jT2_SS_T4_T3_P12ihipStream_tbEUlT_E_NS1_11comp_targetILNS1_3genE2ELNS1_11target_archE906ELNS1_3gpuE6ELNS1_3repE0EEENS1_30default_config_static_selectorELNS0_4arch9wavefront6targetE0EEEvSR_,"axG",@progbits,_ZN7rocprim17ROCPRIM_400000_NS6detail17trampoline_kernelINS0_14default_configENS1_32segmented_reduce_config_selectorIN3c104HalfEEEZNS1_21segmented_reduce_implIS3_PKS6_PS6_PKiS6_N6hipcub16HIPCUB_304000_NS6detail27convert_result_type_wrapperISA_SB_N2at6native12_GLOBAL__N_19CustomMaxEEEEE10hipError_tPvRmT0_T1_jT2_SS_T4_T3_P12ihipStream_tbEUlT_E_NS1_11comp_targetILNS1_3genE2ELNS1_11target_archE906ELNS1_3gpuE6ELNS1_3repE0EEENS1_30default_config_static_selectorELNS0_4arch9wavefront6targetE0EEEvSR_,comdat
.Lfunc_end82:
	.size	_ZN7rocprim17ROCPRIM_400000_NS6detail17trampoline_kernelINS0_14default_configENS1_32segmented_reduce_config_selectorIN3c104HalfEEEZNS1_21segmented_reduce_implIS3_PKS6_PS6_PKiS6_N6hipcub16HIPCUB_304000_NS6detail27convert_result_type_wrapperISA_SB_N2at6native12_GLOBAL__N_19CustomMaxEEEEE10hipError_tPvRmT0_T1_jT2_SS_T4_T3_P12ihipStream_tbEUlT_E_NS1_11comp_targetILNS1_3genE2ELNS1_11target_archE906ELNS1_3gpuE6ELNS1_3repE0EEENS1_30default_config_static_selectorELNS0_4arch9wavefront6targetE0EEEvSR_, .Lfunc_end82-_ZN7rocprim17ROCPRIM_400000_NS6detail17trampoline_kernelINS0_14default_configENS1_32segmented_reduce_config_selectorIN3c104HalfEEEZNS1_21segmented_reduce_implIS3_PKS6_PS6_PKiS6_N6hipcub16HIPCUB_304000_NS6detail27convert_result_type_wrapperISA_SB_N2at6native12_GLOBAL__N_19CustomMaxEEEEE10hipError_tPvRmT0_T1_jT2_SS_T4_T3_P12ihipStream_tbEUlT_E_NS1_11comp_targetILNS1_3genE2ELNS1_11target_archE906ELNS1_3gpuE6ELNS1_3repE0EEENS1_30default_config_static_selectorELNS0_4arch9wavefront6targetE0EEEvSR_
                                        ; -- End function
	.section	.AMDGPU.csdata,"",@progbits
; Kernel info:
; codeLenInByte = 0
; NumSgprs: 0
; NumVgprs: 0
; ScratchSize: 0
; MemoryBound: 0
; FloatMode: 240
; IeeeMode: 1
; LDSByteSize: 0 bytes/workgroup (compile time only)
; SGPRBlocks: 0
; VGPRBlocks: 0
; NumSGPRsForWavesPerEU: 1
; NumVGPRsForWavesPerEU: 1
; Occupancy: 16
; WaveLimiterHint : 0
; COMPUTE_PGM_RSRC2:SCRATCH_EN: 0
; COMPUTE_PGM_RSRC2:USER_SGPR: 15
; COMPUTE_PGM_RSRC2:TRAP_HANDLER: 0
; COMPUTE_PGM_RSRC2:TGID_X_EN: 1
; COMPUTE_PGM_RSRC2:TGID_Y_EN: 0
; COMPUTE_PGM_RSRC2:TGID_Z_EN: 0
; COMPUTE_PGM_RSRC2:TIDIG_COMP_CNT: 0
	.section	.text._ZN7rocprim17ROCPRIM_400000_NS6detail17trampoline_kernelINS0_14default_configENS1_32segmented_reduce_config_selectorIN3c104HalfEEEZNS1_21segmented_reduce_implIS3_PKS6_PS6_PKiS6_N6hipcub16HIPCUB_304000_NS6detail27convert_result_type_wrapperISA_SB_N2at6native12_GLOBAL__N_19CustomMaxEEEEE10hipError_tPvRmT0_T1_jT2_SS_T4_T3_P12ihipStream_tbEUlT_E_NS1_11comp_targetILNS1_3genE9ELNS1_11target_archE1100ELNS1_3gpuE3ELNS1_3repE0EEENS1_30default_config_static_selectorELNS0_4arch9wavefront6targetE0EEEvSR_,"axG",@progbits,_ZN7rocprim17ROCPRIM_400000_NS6detail17trampoline_kernelINS0_14default_configENS1_32segmented_reduce_config_selectorIN3c104HalfEEEZNS1_21segmented_reduce_implIS3_PKS6_PS6_PKiS6_N6hipcub16HIPCUB_304000_NS6detail27convert_result_type_wrapperISA_SB_N2at6native12_GLOBAL__N_19CustomMaxEEEEE10hipError_tPvRmT0_T1_jT2_SS_T4_T3_P12ihipStream_tbEUlT_E_NS1_11comp_targetILNS1_3genE9ELNS1_11target_archE1100ELNS1_3gpuE3ELNS1_3repE0EEENS1_30default_config_static_selectorELNS0_4arch9wavefront6targetE0EEEvSR_,comdat
	.globl	_ZN7rocprim17ROCPRIM_400000_NS6detail17trampoline_kernelINS0_14default_configENS1_32segmented_reduce_config_selectorIN3c104HalfEEEZNS1_21segmented_reduce_implIS3_PKS6_PS6_PKiS6_N6hipcub16HIPCUB_304000_NS6detail27convert_result_type_wrapperISA_SB_N2at6native12_GLOBAL__N_19CustomMaxEEEEE10hipError_tPvRmT0_T1_jT2_SS_T4_T3_P12ihipStream_tbEUlT_E_NS1_11comp_targetILNS1_3genE9ELNS1_11target_archE1100ELNS1_3gpuE3ELNS1_3repE0EEENS1_30default_config_static_selectorELNS0_4arch9wavefront6targetE0EEEvSR_ ; -- Begin function _ZN7rocprim17ROCPRIM_400000_NS6detail17trampoline_kernelINS0_14default_configENS1_32segmented_reduce_config_selectorIN3c104HalfEEEZNS1_21segmented_reduce_implIS3_PKS6_PS6_PKiS6_N6hipcub16HIPCUB_304000_NS6detail27convert_result_type_wrapperISA_SB_N2at6native12_GLOBAL__N_19CustomMaxEEEEE10hipError_tPvRmT0_T1_jT2_SS_T4_T3_P12ihipStream_tbEUlT_E_NS1_11comp_targetILNS1_3genE9ELNS1_11target_archE1100ELNS1_3gpuE3ELNS1_3repE0EEENS1_30default_config_static_selectorELNS0_4arch9wavefront6targetE0EEEvSR_
	.p2align	8
	.type	_ZN7rocprim17ROCPRIM_400000_NS6detail17trampoline_kernelINS0_14default_configENS1_32segmented_reduce_config_selectorIN3c104HalfEEEZNS1_21segmented_reduce_implIS3_PKS6_PS6_PKiS6_N6hipcub16HIPCUB_304000_NS6detail27convert_result_type_wrapperISA_SB_N2at6native12_GLOBAL__N_19CustomMaxEEEEE10hipError_tPvRmT0_T1_jT2_SS_T4_T3_P12ihipStream_tbEUlT_E_NS1_11comp_targetILNS1_3genE9ELNS1_11target_archE1100ELNS1_3gpuE3ELNS1_3repE0EEENS1_30default_config_static_selectorELNS0_4arch9wavefront6targetE0EEEvSR_,@function
_ZN7rocprim17ROCPRIM_400000_NS6detail17trampoline_kernelINS0_14default_configENS1_32segmented_reduce_config_selectorIN3c104HalfEEEZNS1_21segmented_reduce_implIS3_PKS6_PS6_PKiS6_N6hipcub16HIPCUB_304000_NS6detail27convert_result_type_wrapperISA_SB_N2at6native12_GLOBAL__N_19CustomMaxEEEEE10hipError_tPvRmT0_T1_jT2_SS_T4_T3_P12ihipStream_tbEUlT_E_NS1_11comp_targetILNS1_3genE9ELNS1_11target_archE1100ELNS1_3gpuE3ELNS1_3repE0EEENS1_30default_config_static_selectorELNS0_4arch9wavefront6targetE0EEEvSR_: ; @_ZN7rocprim17ROCPRIM_400000_NS6detail17trampoline_kernelINS0_14default_configENS1_32segmented_reduce_config_selectorIN3c104HalfEEEZNS1_21segmented_reduce_implIS3_PKS6_PS6_PKiS6_N6hipcub16HIPCUB_304000_NS6detail27convert_result_type_wrapperISA_SB_N2at6native12_GLOBAL__N_19CustomMaxEEEEE10hipError_tPvRmT0_T1_jT2_SS_T4_T3_P12ihipStream_tbEUlT_E_NS1_11comp_targetILNS1_3genE9ELNS1_11target_archE1100ELNS1_3gpuE3ELNS1_3repE0EEENS1_30default_config_static_selectorELNS0_4arch9wavefront6targetE0EEEvSR_
; %bb.0:
	s_clause 0x2
	s_load_b256 s[16:23], s[0:1], 0x0
	s_load_b32 s4, s[0:1], 0x28
	s_load_b64 s[0:1], s[0:1], 0x20
	s_mov_b32 s24, s15
	s_mov_b32 s25, 0
	v_cmp_eq_u32_e32 vcc_lo, 0, v0
	s_waitcnt lgkmcnt(0)
	s_lshl_b64 s[2:3], s[20:21], 2
	s_lshr_b32 s15, s4, 16
	s_add_u32 s4, s22, s2
	s_addc_u32 s5, s23, s3
	s_add_u32 s6, s0, s2
	s_addc_u32 s7, s1, s3
	s_lshl_b64 s[0:1], s[24:25], 2
	s_delay_alu instid0(SALU_CYCLE_1)
	s_add_u32 s2, s4, s0
	s_addc_u32 s3, s5, s1
	s_add_u32 s0, s6, s0
	s_addc_u32 s1, s7, s1
	s_load_b32 s22, s[2:3], 0x0
	s_load_b32 s29, s[0:1], 0x0
	s_waitcnt lgkmcnt(0)
	s_cmp_gt_i32 s29, s22
	s_cbranch_scc1 .LBB83_3
; %bb.1:
	s_and_b32 s28, vcc_lo, exec_lo
	s_cbranch_execz .LBB83_4
; %bb.2:
	v_mov_b32_e32 v1, s15
	s_and_saveexec_b32 s0, s28
	s_cbranch_execnz .LBB83_407
	s_branch .LBB83_408
.LBB83_3:
	s_mov_b32 s28, s25
.LBB83_4:
	s_add_i32 s0, s22, 0x1000
	s_delay_alu instid0(SALU_CYCLE_1)
	s_cmp_le_i32 s0, s29
	s_cbranch_scc0 .LBB83_132
; %bb.5:
	s_ashr_i32 s23, s22, 31
	v_lshlrev_b32_e32 v18, 1, v0
	s_lshl_b64 s[2:3], s[22:23], 1
	s_delay_alu instid0(SALU_CYCLE_1) | instskip(SKIP_1) | instid1(VALU_DEP_1)
	s_add_u32 s2, s16, s2
	s_addc_u32 s3, s17, s3
	v_add_co_u32 v1, s1, s2, v18
	s_delay_alu instid0(VALU_DEP_1) | instskip(SKIP_1) | instid1(VALU_DEP_2)
	v_add_co_ci_u32_e64 v2, null, s3, 0, s1
	s_mov_b32 s1, exec_lo
	v_add_co_u32 v19, vcc_lo, 0x1000, v1
	s_delay_alu instid0(VALU_DEP_2)
	v_add_co_ci_u32_e32 v20, vcc_lo, 0, v2, vcc_lo
	s_clause 0xf
	global_load_u16 v17, v18, s[2:3]
	global_load_u16 v16, v18, s[2:3] offset:512
	global_load_u16 v15, v18, s[2:3] offset:1024
	;; [unrolled: 1-line block ×7, first 2 shown]
	global_load_u16 v8, v[19:20], off
	global_load_u16 v7, v[19:20], off offset:512
	global_load_u16 v6, v[19:20], off offset:1024
	;; [unrolled: 1-line block ×7, first 2 shown]
	s_waitcnt vmcnt(15)
	v_mov_b32_e32 v9, v17
	v_cmpx_o_f16_e32 v17, v17
	s_cbranch_execz .LBB83_9
; %bb.6:
	s_waitcnt vmcnt(14)
	v_mov_b32_e32 v9, v16
	s_mov_b32 s2, exec_lo
	v_cmpx_o_f16_e32 v16, v16
; %bb.7:
	v_cmp_gt_f16_e32 vcc_lo, v16, v17
	v_cndmask_b32_e32 v9, v17, v16, vcc_lo
; %bb.8:
	s_or_b32 exec_lo, exec_lo, s2
.LBB83_9:
	s_delay_alu instid0(SALU_CYCLE_1) | instskip(NEXT) | instid1(SALU_CYCLE_1)
	s_or_b32 exec_lo, exec_lo, s1
	s_mov_b32 s1, exec_lo
	s_delay_alu instid0(VALU_DEP_1)
	v_cmpx_o_f16_e32 v9, v9
	s_cbranch_execz .LBB83_13
; %bb.10:
	s_waitcnt vmcnt(13)
	v_mov_b32_e32 v19, v15
	s_mov_b32 s2, exec_lo
	v_cmpx_o_f16_e32 v15, v15
; %bb.11:
	v_cmp_lt_f16_e32 vcc_lo, v9, v15
	v_cndmask_b32_e32 v19, v9, v15, vcc_lo
; %bb.12:
	s_or_b32 exec_lo, exec_lo, s2
	s_delay_alu instid0(VALU_DEP_1)
	v_mov_b32_e32 v9, v19
.LBB83_13:
	s_or_b32 exec_lo, exec_lo, s1
	s_delay_alu instid0(SALU_CYCLE_1) | instskip(NEXT) | instid1(VALU_DEP_1)
	s_mov_b32 s1, exec_lo
	v_cmpx_o_f16_e32 v9, v9
	s_cbranch_execz .LBB83_17
; %bb.14:
	s_waitcnt vmcnt(12)
	v_mov_b32_e32 v19, v14
	s_mov_b32 s2, exec_lo
	v_cmpx_o_f16_e32 v14, v14
; %bb.15:
	v_cmp_lt_f16_e32 vcc_lo, v9, v14
	v_cndmask_b32_e32 v19, v9, v14, vcc_lo
; %bb.16:
	s_or_b32 exec_lo, exec_lo, s2
	s_delay_alu instid0(VALU_DEP_1)
	v_mov_b32_e32 v9, v19
.LBB83_17:
	s_or_b32 exec_lo, exec_lo, s1
	s_delay_alu instid0(SALU_CYCLE_1) | instskip(NEXT) | instid1(VALU_DEP_1)
	s_mov_b32 s1, exec_lo
	;; [unrolled: 18-line block ×13, first 2 shown]
	v_cmpx_o_f16_e32 v9, v9
	s_cbranch_execz .LBB83_65
; %bb.62:
	s_waitcnt vmcnt(0)
	v_mov_b32_e32 v19, v1
	s_mov_b32 s2, exec_lo
	v_cmpx_o_f16_e32 v1, v1
; %bb.63:
	v_cmp_lt_f16_e32 vcc_lo, v9, v1
	v_cndmask_b32_e32 v19, v9, v1, vcc_lo
; %bb.64:
	s_or_b32 exec_lo, exec_lo, s2
	s_delay_alu instid0(VALU_DEP_1)
	v_mov_b32_e32 v9, v19
.LBB83_65:
	s_or_b32 exec_lo, exec_lo, s1
	s_add_i32 s1, s22, 0x2000
	s_delay_alu instid0(SALU_CYCLE_1)
	s_cmp_ge_i32 s1, s29
	s_cbranch_scc1 .LBB83_133
; %bb.66:
	v_add_co_u32 v19, s1, s16, v18
	s_delay_alu instid0(VALU_DEP_1)
	v_add_co_ci_u32_e64 v20, null, s17, 0, s1
	s_branch .LBB83_69
.LBB83_67:                              ;   in Loop: Header=BB83_69 Depth=1
	s_or_b32 exec_lo, exec_lo, s2
	s_delay_alu instid0(VALU_DEP_1)
	v_mov_b32_e32 v9, v22
.LBB83_68:                              ;   in Loop: Header=BB83_69 Depth=1
	s_or_b32 exec_lo, exec_lo, s1
	s_add_i32 s1, s0, 0x2000
	s_addk_i32 s0, 0x1000
	s_cmp_lt_i32 s1, s29
	s_cbranch_scc0 .LBB83_133
.LBB83_69:                              ; =>This Inner Loop Header: Depth=1
	s_ashr_i32 s1, s0, 31
	s_delay_alu instid0(SALU_CYCLE_1) | instskip(SKIP_4) | instid1(VALU_DEP_2)
	s_lshl_b64 s[2:3], s[0:1], 1
	s_mov_b32 s1, exec_lo
	s_waitcnt vmcnt(0)
	v_add_co_u32 v1, vcc_lo, v19, s2
	v_add_co_ci_u32_e32 v2, vcc_lo, s3, v20, vcc_lo
	v_add_co_u32 v21, vcc_lo, 0x1000, v1
	s_delay_alu instid0(VALU_DEP_2)
	v_add_co_ci_u32_e32 v22, vcc_lo, 0, v2, vcc_lo
	s_clause 0xf
	global_load_u16 v17, v[1:2], off
	global_load_u16 v16, v[1:2], off offset:512
	global_load_u16 v15, v[1:2], off offset:1024
	;; [unrolled: 1-line block ×7, first 2 shown]
	global_load_u16 v8, v[21:22], off
	global_load_u16 v7, v[21:22], off offset:512
	global_load_u16 v6, v[21:22], off offset:1024
	global_load_u16 v5, v[21:22], off offset:1536
	global_load_u16 v4, v[21:22], off offset:2048
	global_load_u16 v3, v[21:22], off offset:2560
	global_load_u16 v2, v[21:22], off offset:3072
	global_load_u16 v1, v[21:22], off offset:3584
	v_mov_b32_e32 v21, v9
	v_cmpx_o_f16_e32 v9, v9
	s_cbranch_execz .LBB83_73
; %bb.70:                               ;   in Loop: Header=BB83_69 Depth=1
	s_waitcnt vmcnt(15)
	v_mov_b32_e32 v21, v17
	s_mov_b32 s2, exec_lo
	v_cmpx_o_f16_e32 v17, v17
; %bb.71:                               ;   in Loop: Header=BB83_69 Depth=1
	v_cmp_gt_f16_e32 vcc_lo, v17, v9
	v_cndmask_b32_e32 v21, v9, v17, vcc_lo
; %bb.72:                               ;   in Loop: Header=BB83_69 Depth=1
	s_or_b32 exec_lo, exec_lo, s2
	s_delay_alu instid0(VALU_DEP_1)
	v_mov_b32_e32 v9, v21
.LBB83_73:                              ;   in Loop: Header=BB83_69 Depth=1
	s_or_b32 exec_lo, exec_lo, s1
	s_delay_alu instid0(SALU_CYCLE_1)
	s_mov_b32 s1, exec_lo
	v_cmpx_o_f16_e32 v21, v21
	s_cbranch_execz .LBB83_77
; %bb.74:                               ;   in Loop: Header=BB83_69 Depth=1
	s_waitcnt vmcnt(14)
	v_mov_b32_e32 v22, v16
	s_mov_b32 s2, exec_lo
	v_cmpx_o_f16_e32 v16, v16
; %bb.75:                               ;   in Loop: Header=BB83_69 Depth=1
	v_cmp_lt_f16_e32 vcc_lo, v21, v16
	v_cndmask_b32_e32 v22, v9, v16, vcc_lo
; %bb.76:                               ;   in Loop: Header=BB83_69 Depth=1
	s_or_b32 exec_lo, exec_lo, s2
	s_delay_alu instid0(VALU_DEP_1)
	v_mov_b32_e32 v21, v22
	v_mov_b32_e32 v9, v22
.LBB83_77:                              ;   in Loop: Header=BB83_69 Depth=1
	s_or_b32 exec_lo, exec_lo, s1
	s_delay_alu instid0(SALU_CYCLE_1) | instskip(NEXT) | instid1(VALU_DEP_2)
	s_mov_b32 s1, exec_lo
	v_cmpx_o_f16_e32 v21, v21
	s_cbranch_execz .LBB83_81
; %bb.78:                               ;   in Loop: Header=BB83_69 Depth=1
	s_waitcnt vmcnt(13)
	v_mov_b32_e32 v22, v15
	s_mov_b32 s2, exec_lo
	v_cmpx_o_f16_e32 v15, v15
; %bb.79:                               ;   in Loop: Header=BB83_69 Depth=1
	v_cmp_lt_f16_e32 vcc_lo, v21, v15
	v_cndmask_b32_e32 v22, v9, v15, vcc_lo
; %bb.80:                               ;   in Loop: Header=BB83_69 Depth=1
	s_or_b32 exec_lo, exec_lo, s2
	s_delay_alu instid0(VALU_DEP_1)
	v_mov_b32_e32 v21, v22
	v_mov_b32_e32 v9, v22
.LBB83_81:                              ;   in Loop: Header=BB83_69 Depth=1
	s_or_b32 exec_lo, exec_lo, s1
	s_delay_alu instid0(SALU_CYCLE_1) | instskip(NEXT) | instid1(VALU_DEP_2)
	;; [unrolled: 19-line block ×6, first 2 shown]
	s_mov_b32 s1, exec_lo
	v_cmpx_o_f16_e32 v21, v21
	s_cbranch_execz .LBB83_101
; %bb.98:                               ;   in Loop: Header=BB83_69 Depth=1
	s_waitcnt vmcnt(8)
	v_mov_b32_e32 v22, v10
	s_mov_b32 s2, exec_lo
	v_cmpx_o_f16_e32 v10, v10
; %bb.99:                               ;   in Loop: Header=BB83_69 Depth=1
	v_cmp_lt_f16_e32 vcc_lo, v21, v10
	v_cndmask_b32_e32 v22, v9, v10, vcc_lo
; %bb.100:                              ;   in Loop: Header=BB83_69 Depth=1
	s_or_b32 exec_lo, exec_lo, s2
	s_delay_alu instid0(VALU_DEP_1)
	v_mov_b32_e32 v21, v22
	v_mov_b32_e32 v9, v22
.LBB83_101:                             ;   in Loop: Header=BB83_69 Depth=1
	s_or_b32 exec_lo, exec_lo, s1
	s_delay_alu instid0(SALU_CYCLE_1) | instskip(NEXT) | instid1(VALU_DEP_2)
	s_mov_b32 s1, exec_lo
	v_cmpx_o_f16_e32 v21, v21
	s_cbranch_execz .LBB83_105
; %bb.102:                              ;   in Loop: Header=BB83_69 Depth=1
	s_waitcnt vmcnt(7)
	v_mov_b32_e32 v22, v8
	s_mov_b32 s2, exec_lo
	v_cmpx_o_f16_e32 v8, v8
; %bb.103:                              ;   in Loop: Header=BB83_69 Depth=1
	v_cmp_lt_f16_e32 vcc_lo, v21, v8
	v_cndmask_b32_e32 v22, v9, v8, vcc_lo
; %bb.104:                              ;   in Loop: Header=BB83_69 Depth=1
	s_or_b32 exec_lo, exec_lo, s2
	s_delay_alu instid0(VALU_DEP_1)
	v_mov_b32_e32 v21, v22
	v_mov_b32_e32 v9, v22
.LBB83_105:                             ;   in Loop: Header=BB83_69 Depth=1
	s_or_b32 exec_lo, exec_lo, s1
	s_delay_alu instid0(SALU_CYCLE_1) | instskip(NEXT) | instid1(VALU_DEP_2)
	s_mov_b32 s1, exec_lo
	v_cmpx_o_f16_e32 v21, v21
	s_cbranch_execz .LBB83_109
; %bb.106:                              ;   in Loop: Header=BB83_69 Depth=1
	s_waitcnt vmcnt(6)
	v_mov_b32_e32 v22, v7
	s_mov_b32 s2, exec_lo
	v_cmpx_o_f16_e32 v7, v7
; %bb.107:                              ;   in Loop: Header=BB83_69 Depth=1
	v_cmp_lt_f16_e32 vcc_lo, v21, v7
	v_cndmask_b32_e32 v22, v9, v7, vcc_lo
; %bb.108:                              ;   in Loop: Header=BB83_69 Depth=1
	s_or_b32 exec_lo, exec_lo, s2
	s_delay_alu instid0(VALU_DEP_1)
	v_mov_b32_e32 v21, v22
	v_mov_b32_e32 v9, v22
.LBB83_109:                             ;   in Loop: Header=BB83_69 Depth=1
	;; [unrolled: 19-line block ×7, first 2 shown]
	s_or_b32 exec_lo, exec_lo, s1
	s_delay_alu instid0(SALU_CYCLE_1) | instskip(NEXT) | instid1(VALU_DEP_2)
	s_mov_b32 s1, exec_lo
	v_cmpx_o_f16_e32 v21, v21
	s_cbranch_execz .LBB83_68
; %bb.130:                              ;   in Loop: Header=BB83_69 Depth=1
	s_waitcnt vmcnt(0)
	v_mov_b32_e32 v22, v1
	s_mov_b32 s2, exec_lo
	v_cmpx_o_f16_e32 v1, v1
	s_cbranch_execz .LBB83_67
; %bb.131:                              ;   in Loop: Header=BB83_69 Depth=1
	v_cmp_lt_f16_e32 vcc_lo, v21, v1
	v_cndmask_b32_e32 v22, v9, v1, vcc_lo
	s_branch .LBB83_67
.LBB83_132:
                                        ; implicit-def: $vgpr2
	s_cbranch_execnz .LBB83_298
	s_branch .LBB83_400
.LBB83_133:
	s_ashr_i32 s1, s0, 31
	s_sub_i32 s23, s29, s0
	s_lshl_b64 s[0:1], s[0:1], 1
	v_cmp_gt_u32_e64 s14, s23, v0
	s_add_u32 s26, s16, s0
	s_addc_u32 s27, s17, s1
	s_delay_alu instid0(VALU_DEP_1)
	s_and_saveexec_b32 s0, s14
	s_cbranch_execz .LBB83_135
; %bb.134:
	global_load_u16 v17, v18, s[26:27]
.LBB83_135:
	s_or_b32 exec_lo, exec_lo, s0
	v_or_b32_e32 v19, 0x100, v0
	s_delay_alu instid0(VALU_DEP_1) | instskip(NEXT) | instid1(VALU_DEP_1)
	v_cmp_gt_u32_e64 s13, s23, v19
	s_and_saveexec_b32 s0, s13
	s_cbranch_execz .LBB83_137
; %bb.136:
	global_load_u16 v16, v18, s[26:27] offset:512
.LBB83_137:
	s_or_b32 exec_lo, exec_lo, s0
	v_or_b32_e32 v19, 0x200, v0
	s_delay_alu instid0(VALU_DEP_1) | instskip(NEXT) | instid1(VALU_DEP_1)
	v_cmp_gt_u32_e64 s12, s23, v19
	s_and_saveexec_b32 s0, s12
	s_cbranch_execz .LBB83_139
; %bb.138:
	global_load_u16 v15, v18, s[26:27] offset:1024
.LBB83_139:
	;; [unrolled: 9-line block ×7, first 2 shown]
	s_or_b32 exec_lo, exec_lo, s0
	v_or_b32_e32 v18, 0x800, v0
	s_delay_alu instid0(VALU_DEP_1) | instskip(NEXT) | instid1(VALU_DEP_1)
	v_cmp_gt_u32_e64 s6, s23, v18
	s_and_saveexec_b32 s0, s6
	s_cbranch_execz .LBB83_151
; %bb.150:
	s_waitcnt vmcnt(7)
	v_lshlrev_b32_e32 v8, 1, v18
	global_load_u16 v8, v8, s[26:27]
.LBB83_151:
	s_or_b32 exec_lo, exec_lo, s0
	v_or_b32_e32 v18, 0x900, v0
	s_delay_alu instid0(VALU_DEP_1) | instskip(NEXT) | instid1(VALU_DEP_1)
	v_cmp_gt_u32_e64 s5, s23, v18
	s_and_saveexec_b32 s0, s5
	s_cbranch_execz .LBB83_153
; %bb.152:
	s_waitcnt vmcnt(6)
	v_lshlrev_b32_e32 v7, 1, v18
	global_load_u16 v7, v7, s[26:27]
.LBB83_153:
	;; [unrolled: 11-line block ×7, first 2 shown]
	s_or_b32 exec_lo, exec_lo, s30
	v_or_b32_e32 v18, 0xf00, v0
	s_delay_alu instid0(VALU_DEP_1)
	v_cmp_gt_u32_e32 vcc_lo, s23, v18
	s_and_saveexec_b32 s23, vcc_lo
	s_cbranch_execnz .LBB83_180
; %bb.164:
	s_or_b32 exec_lo, exec_lo, s23
	s_and_saveexec_b32 s23, s14
	s_cbranch_execnz .LBB83_181
.LBB83_165:
	s_or_b32 exec_lo, exec_lo, s23
	s_and_saveexec_b32 s14, s13
	s_cbranch_execnz .LBB83_186
.LBB83_166:
	s_or_b32 exec_lo, exec_lo, s14
	s_and_saveexec_b32 s13, s12
	s_cbranch_execnz .LBB83_191
.LBB83_167:
	s_or_b32 exec_lo, exec_lo, s13
	s_and_saveexec_b32 s12, s11
	s_cbranch_execnz .LBB83_196
.LBB83_168:
	s_or_b32 exec_lo, exec_lo, s12
	s_and_saveexec_b32 s11, s10
	s_cbranch_execnz .LBB83_201
.LBB83_169:
	s_or_b32 exec_lo, exec_lo, s11
	s_and_saveexec_b32 s10, s9
	s_cbranch_execnz .LBB83_206
.LBB83_170:
	s_or_b32 exec_lo, exec_lo, s10
	s_and_saveexec_b32 s9, s8
	s_cbranch_execnz .LBB83_211
.LBB83_171:
	s_or_b32 exec_lo, exec_lo, s9
	s_and_saveexec_b32 s8, s7
	s_cbranch_execnz .LBB83_216
.LBB83_172:
	s_or_b32 exec_lo, exec_lo, s8
	s_and_saveexec_b32 s7, s6
	s_cbranch_execnz .LBB83_221
.LBB83_173:
	s_or_b32 exec_lo, exec_lo, s7
	s_and_saveexec_b32 s6, s5
	s_cbranch_execnz .LBB83_226
.LBB83_174:
	s_or_b32 exec_lo, exec_lo, s6
	s_and_saveexec_b32 s5, s4
	s_cbranch_execnz .LBB83_231
.LBB83_175:
	s_or_b32 exec_lo, exec_lo, s5
	s_and_saveexec_b32 s4, s3
	s_cbranch_execnz .LBB83_236
.LBB83_176:
	s_or_b32 exec_lo, exec_lo, s4
	s_and_saveexec_b32 s3, s2
	s_cbranch_execnz .LBB83_241
.LBB83_177:
	s_or_b32 exec_lo, exec_lo, s3
	s_and_saveexec_b32 s2, s1
	s_cbranch_execnz .LBB83_246
.LBB83_178:
	s_or_b32 exec_lo, exec_lo, s2
	s_and_saveexec_b32 s1, s0
	s_cbranch_execnz .LBB83_251
.LBB83_179:
	s_or_b32 exec_lo, exec_lo, s1
	s_and_saveexec_b32 s0, vcc_lo
	s_cbranch_execnz .LBB83_256
	s_branch .LBB83_261
.LBB83_180:
	s_waitcnt vmcnt(0)
	v_lshlrev_b32_e32 v1, 1, v18
	global_load_u16 v1, v1, s[26:27]
	s_or_b32 exec_lo, exec_lo, s23
	s_and_saveexec_b32 s23, s14
	s_cbranch_execz .LBB83_165
.LBB83_181:
	s_mov_b32 s26, exec_lo
	v_cmpx_o_f16_e32 v9, v9
	s_cbranch_execz .LBB83_185
; %bb.182:
	s_mov_b32 s27, exec_lo
	s_waitcnt vmcnt(0)
	v_cmpx_o_f16_e32 v17, v17
; %bb.183:
	v_cmp_gt_f16_e64 s14, v17, v9
	s_delay_alu instid0(VALU_DEP_1)
	v_cndmask_b32_e64 v17, v9, v17, s14
; %bb.184:
	s_or_b32 exec_lo, exec_lo, s27
	s_delay_alu instid0(VALU_DEP_1)
	v_mov_b32_e32 v9, v17
.LBB83_185:
	s_or_b32 exec_lo, exec_lo, s26
	s_delay_alu instid0(SALU_CYCLE_1)
	s_or_b32 exec_lo, exec_lo, s23
	s_and_saveexec_b32 s14, s13
	s_cbranch_execz .LBB83_166
.LBB83_186:
	s_mov_b32 s23, exec_lo
	v_cmpx_o_f16_e32 v9, v9
	s_cbranch_execz .LBB83_190
; %bb.187:
	s_mov_b32 s26, exec_lo
	s_waitcnt vmcnt(0)
	v_cmpx_o_f16_e32 v16, v16
; %bb.188:
	v_cmp_gt_f16_e64 s13, v16, v9
	s_delay_alu instid0(VALU_DEP_1)
	v_cndmask_b32_e64 v16, v9, v16, s13
; %bb.189:
	s_or_b32 exec_lo, exec_lo, s26
	s_delay_alu instid0(VALU_DEP_1)
	v_mov_b32_e32 v9, v16
.LBB83_190:
	s_or_b32 exec_lo, exec_lo, s23
	s_delay_alu instid0(SALU_CYCLE_1)
	s_or_b32 exec_lo, exec_lo, s14
	s_and_saveexec_b32 s13, s12
	s_cbranch_execz .LBB83_167
.LBB83_191:
	s_mov_b32 s14, exec_lo
	v_cmpx_o_f16_e32 v9, v9
	s_cbranch_execz .LBB83_195
; %bb.192:
	s_mov_b32 s23, exec_lo
	s_waitcnt vmcnt(0)
	v_cmpx_o_f16_e32 v15, v15
; %bb.193:
	v_cmp_gt_f16_e64 s12, v15, v9
	s_delay_alu instid0(VALU_DEP_1)
	v_cndmask_b32_e64 v15, v9, v15, s12
; %bb.194:
	s_or_b32 exec_lo, exec_lo, s23
	s_delay_alu instid0(VALU_DEP_1)
	v_mov_b32_e32 v9, v15
.LBB83_195:
	s_or_b32 exec_lo, exec_lo, s14
	s_delay_alu instid0(SALU_CYCLE_1)
	s_or_b32 exec_lo, exec_lo, s13
	s_and_saveexec_b32 s12, s11
	s_cbranch_execz .LBB83_168
.LBB83_196:
	s_mov_b32 s13, exec_lo
	v_cmpx_o_f16_e32 v9, v9
	s_cbranch_execz .LBB83_200
; %bb.197:
	s_mov_b32 s14, exec_lo
	s_waitcnt vmcnt(0)
	v_cmpx_o_f16_e32 v14, v14
; %bb.198:
	v_cmp_gt_f16_e64 s11, v14, v9
	s_delay_alu instid0(VALU_DEP_1)
	v_cndmask_b32_e64 v14, v9, v14, s11
; %bb.199:
	s_or_b32 exec_lo, exec_lo, s14
	s_delay_alu instid0(VALU_DEP_1)
	v_mov_b32_e32 v9, v14
.LBB83_200:
	s_or_b32 exec_lo, exec_lo, s13
	s_delay_alu instid0(SALU_CYCLE_1)
	s_or_b32 exec_lo, exec_lo, s12
	s_and_saveexec_b32 s11, s10
	s_cbranch_execz .LBB83_169
.LBB83_201:
	s_mov_b32 s12, exec_lo
	v_cmpx_o_f16_e32 v9, v9
	s_cbranch_execz .LBB83_205
; %bb.202:
	s_mov_b32 s13, exec_lo
	s_waitcnt vmcnt(0)
	v_cmpx_o_f16_e32 v13, v13
; %bb.203:
	v_cmp_gt_f16_e64 s10, v13, v9
	s_delay_alu instid0(VALU_DEP_1)
	v_cndmask_b32_e64 v13, v9, v13, s10
; %bb.204:
	s_or_b32 exec_lo, exec_lo, s13
	s_delay_alu instid0(VALU_DEP_1)
	v_mov_b32_e32 v9, v13
.LBB83_205:
	s_or_b32 exec_lo, exec_lo, s12
	s_delay_alu instid0(SALU_CYCLE_1)
	s_or_b32 exec_lo, exec_lo, s11
	s_and_saveexec_b32 s10, s9
	s_cbranch_execz .LBB83_170
.LBB83_206:
	s_mov_b32 s11, exec_lo
	v_cmpx_o_f16_e32 v9, v9
	s_cbranch_execz .LBB83_210
; %bb.207:
	s_mov_b32 s12, exec_lo
	s_waitcnt vmcnt(0)
	v_cmpx_o_f16_e32 v12, v12
; %bb.208:
	v_cmp_gt_f16_e64 s9, v12, v9
	s_delay_alu instid0(VALU_DEP_1)
	v_cndmask_b32_e64 v12, v9, v12, s9
; %bb.209:
	s_or_b32 exec_lo, exec_lo, s12
	s_delay_alu instid0(VALU_DEP_1)
	v_mov_b32_e32 v9, v12
.LBB83_210:
	s_or_b32 exec_lo, exec_lo, s11
	s_delay_alu instid0(SALU_CYCLE_1)
	s_or_b32 exec_lo, exec_lo, s10
	s_and_saveexec_b32 s9, s8
	s_cbranch_execz .LBB83_171
.LBB83_211:
	s_mov_b32 s10, exec_lo
	v_cmpx_o_f16_e32 v9, v9
	s_cbranch_execz .LBB83_215
; %bb.212:
	s_mov_b32 s11, exec_lo
	s_waitcnt vmcnt(0)
	v_cmpx_o_f16_e32 v11, v11
; %bb.213:
	v_cmp_gt_f16_e64 s8, v11, v9
	s_delay_alu instid0(VALU_DEP_1)
	v_cndmask_b32_e64 v11, v9, v11, s8
; %bb.214:
	s_or_b32 exec_lo, exec_lo, s11
	s_delay_alu instid0(VALU_DEP_1)
	v_mov_b32_e32 v9, v11
.LBB83_215:
	s_or_b32 exec_lo, exec_lo, s10
	s_delay_alu instid0(SALU_CYCLE_1)
	s_or_b32 exec_lo, exec_lo, s9
	s_and_saveexec_b32 s8, s7
	s_cbranch_execz .LBB83_172
.LBB83_216:
	s_mov_b32 s9, exec_lo
	v_cmpx_o_f16_e32 v9, v9
	s_cbranch_execz .LBB83_220
; %bb.217:
	s_mov_b32 s10, exec_lo
	s_waitcnt vmcnt(0)
	v_cmpx_o_f16_e32 v10, v10
; %bb.218:
	v_cmp_gt_f16_e64 s7, v10, v9
	s_delay_alu instid0(VALU_DEP_1)
	v_cndmask_b32_e64 v10, v9, v10, s7
; %bb.219:
	s_or_b32 exec_lo, exec_lo, s10
	s_delay_alu instid0(VALU_DEP_1)
	v_mov_b32_e32 v9, v10
.LBB83_220:
	s_or_b32 exec_lo, exec_lo, s9
	s_delay_alu instid0(SALU_CYCLE_1)
	s_or_b32 exec_lo, exec_lo, s8
	s_and_saveexec_b32 s7, s6
	s_cbranch_execz .LBB83_173
.LBB83_221:
	s_mov_b32 s8, exec_lo
	v_cmpx_o_f16_e32 v9, v9
	s_cbranch_execz .LBB83_225
; %bb.222:
	s_mov_b32 s9, exec_lo
	s_waitcnt vmcnt(0)
	v_cmpx_o_f16_e32 v8, v8
; %bb.223:
	v_cmp_gt_f16_e64 s6, v8, v9
	s_delay_alu instid0(VALU_DEP_1)
	v_cndmask_b32_e64 v8, v9, v8, s6
; %bb.224:
	s_or_b32 exec_lo, exec_lo, s9
	s_delay_alu instid0(VALU_DEP_1)
	v_mov_b32_e32 v9, v8
.LBB83_225:
	s_or_b32 exec_lo, exec_lo, s8
	s_delay_alu instid0(SALU_CYCLE_1)
	s_or_b32 exec_lo, exec_lo, s7
	s_and_saveexec_b32 s6, s5
	s_cbranch_execz .LBB83_174
.LBB83_226:
	s_mov_b32 s7, exec_lo
	v_cmpx_o_f16_e32 v9, v9
	s_cbranch_execz .LBB83_230
; %bb.227:
	s_mov_b32 s8, exec_lo
	s_waitcnt vmcnt(0)
	v_cmpx_o_f16_e32 v7, v7
; %bb.228:
	v_cmp_gt_f16_e64 s5, v7, v9
	s_delay_alu instid0(VALU_DEP_1)
	v_cndmask_b32_e64 v7, v9, v7, s5
; %bb.229:
	s_or_b32 exec_lo, exec_lo, s8
	s_delay_alu instid0(VALU_DEP_1)
	v_mov_b32_e32 v9, v7
.LBB83_230:
	s_or_b32 exec_lo, exec_lo, s7
	s_delay_alu instid0(SALU_CYCLE_1)
	s_or_b32 exec_lo, exec_lo, s6
	s_and_saveexec_b32 s5, s4
	s_cbranch_execz .LBB83_175
.LBB83_231:
	s_mov_b32 s6, exec_lo
	v_cmpx_o_f16_e32 v9, v9
	s_cbranch_execz .LBB83_235
; %bb.232:
	s_mov_b32 s7, exec_lo
	s_waitcnt vmcnt(0)
	v_cmpx_o_f16_e32 v6, v6
; %bb.233:
	v_cmp_gt_f16_e64 s4, v6, v9
	s_delay_alu instid0(VALU_DEP_1)
	v_cndmask_b32_e64 v6, v9, v6, s4
; %bb.234:
	s_or_b32 exec_lo, exec_lo, s7
	s_delay_alu instid0(VALU_DEP_1)
	v_mov_b32_e32 v9, v6
.LBB83_235:
	s_or_b32 exec_lo, exec_lo, s6
	s_delay_alu instid0(SALU_CYCLE_1)
	s_or_b32 exec_lo, exec_lo, s5
	s_and_saveexec_b32 s4, s3
	s_cbranch_execz .LBB83_176
.LBB83_236:
	s_mov_b32 s5, exec_lo
	v_cmpx_o_f16_e32 v9, v9
	s_cbranch_execz .LBB83_240
; %bb.237:
	s_mov_b32 s6, exec_lo
	s_waitcnt vmcnt(0)
	v_cmpx_o_f16_e32 v5, v5
; %bb.238:
	v_cmp_gt_f16_e64 s3, v5, v9
	s_delay_alu instid0(VALU_DEP_1)
	v_cndmask_b32_e64 v5, v9, v5, s3
; %bb.239:
	s_or_b32 exec_lo, exec_lo, s6
	s_delay_alu instid0(VALU_DEP_1)
	v_mov_b32_e32 v9, v5
.LBB83_240:
	s_or_b32 exec_lo, exec_lo, s5
	s_delay_alu instid0(SALU_CYCLE_1)
	s_or_b32 exec_lo, exec_lo, s4
	s_and_saveexec_b32 s3, s2
	s_cbranch_execz .LBB83_177
.LBB83_241:
	s_mov_b32 s4, exec_lo
	v_cmpx_o_f16_e32 v9, v9
	s_cbranch_execz .LBB83_245
; %bb.242:
	s_mov_b32 s5, exec_lo
	s_waitcnt vmcnt(0)
	v_cmpx_o_f16_e32 v4, v4
; %bb.243:
	v_cmp_gt_f16_e64 s2, v4, v9
	s_delay_alu instid0(VALU_DEP_1)
	v_cndmask_b32_e64 v4, v9, v4, s2
; %bb.244:
	s_or_b32 exec_lo, exec_lo, s5
	s_delay_alu instid0(VALU_DEP_1)
	v_mov_b32_e32 v9, v4
.LBB83_245:
	s_or_b32 exec_lo, exec_lo, s4
	s_delay_alu instid0(SALU_CYCLE_1)
	s_or_b32 exec_lo, exec_lo, s3
	s_and_saveexec_b32 s2, s1
	s_cbranch_execz .LBB83_178
.LBB83_246:
	s_mov_b32 s3, exec_lo
	v_cmpx_o_f16_e32 v9, v9
	s_cbranch_execz .LBB83_250
; %bb.247:
	s_mov_b32 s4, exec_lo
	s_waitcnt vmcnt(0)
	v_cmpx_o_f16_e32 v3, v3
; %bb.248:
	v_cmp_gt_f16_e64 s1, v3, v9
	s_delay_alu instid0(VALU_DEP_1)
	v_cndmask_b32_e64 v3, v9, v3, s1
; %bb.249:
	s_or_b32 exec_lo, exec_lo, s4
	s_delay_alu instid0(VALU_DEP_1)
	v_mov_b32_e32 v9, v3
.LBB83_250:
	s_or_b32 exec_lo, exec_lo, s3
	s_delay_alu instid0(SALU_CYCLE_1)
	s_or_b32 exec_lo, exec_lo, s2
	s_and_saveexec_b32 s1, s0
	s_cbranch_execz .LBB83_179
.LBB83_251:
	s_mov_b32 s2, exec_lo
	v_cmpx_o_f16_e32 v9, v9
	s_cbranch_execz .LBB83_255
; %bb.252:
	s_mov_b32 s3, exec_lo
	s_waitcnt vmcnt(0)
	v_cmpx_o_f16_e32 v2, v2
; %bb.253:
	v_cmp_gt_f16_e64 s0, v2, v9
	s_delay_alu instid0(VALU_DEP_1)
	v_cndmask_b32_e64 v2, v9, v2, s0
; %bb.254:
	s_or_b32 exec_lo, exec_lo, s3
	s_delay_alu instid0(VALU_DEP_1)
	v_mov_b32_e32 v9, v2
.LBB83_255:
	s_or_b32 exec_lo, exec_lo, s2
	s_delay_alu instid0(SALU_CYCLE_1)
	s_or_b32 exec_lo, exec_lo, s1
	s_and_saveexec_b32 s0, vcc_lo
	s_cbranch_execz .LBB83_261
.LBB83_256:
	s_mov_b32 s1, exec_lo
	v_cmpx_o_f16_e32 v9, v9
	s_cbranch_execz .LBB83_260
; %bb.257:
	s_mov_b32 s2, exec_lo
	s_waitcnt vmcnt(0)
	v_cmpx_o_f16_e32 v1, v1
; %bb.258:
	v_cmp_gt_f16_e32 vcc_lo, v1, v9
	v_cndmask_b32_e32 v1, v9, v1, vcc_lo
; %bb.259:
	s_or_b32 exec_lo, exec_lo, s2
	s_delay_alu instid0(VALU_DEP_1)
	v_mov_b32_e32 v9, v1
.LBB83_260:
	s_or_b32 exec_lo, exec_lo, s1
.LBB83_261:
	s_delay_alu instid0(SALU_CYCLE_1) | instskip(SKIP_1) | instid1(VALU_DEP_1)
	s_or_b32 exec_lo, exec_lo, s0
	s_waitcnt vmcnt(0)
	v_and_b32_e32 v1, 0xffff, v9
	s_mov_b32 s0, exec_lo
	s_delay_alu instid0(VALU_DEP_1) | instskip(NEXT) | instid1(VALU_DEP_1)
	v_mov_b32_dpp v1, v1 quad_perm:[1,0,3,2] row_mask:0xf bank_mask:0xf
	v_cmpx_o_f16_e32 v1, v1
	s_xor_b32 s0, exec_lo, s0
	s_cbranch_execz .LBB83_265
; %bb.262:
	s_mov_b32 s1, exec_lo
	v_cmpx_o_f16_e32 v9, v9
; %bb.263:
	v_cmp_gt_f16_e32 vcc_lo, v9, v1
	v_cndmask_b32_e32 v9, v1, v9, vcc_lo
; %bb.264:
	s_or_b32 exec_lo, exec_lo, s1
	s_delay_alu instid0(VALU_DEP_1)
	v_mov_b32_e32 v1, v9
.LBB83_265:
	s_or_b32 exec_lo, exec_lo, s0
	s_delay_alu instid0(VALU_DEP_1) | instskip(SKIP_1) | instid1(VALU_DEP_1)
	v_and_b32_e32 v2, 0xffff, v1
	s_mov_b32 s0, exec_lo
	v_mov_b32_dpp v2, v2 quad_perm:[2,3,0,1] row_mask:0xf bank_mask:0xf
	s_delay_alu instid0(VALU_DEP_1)
	v_cmpx_o_f16_e32 v2, v2
	s_cbranch_execz .LBB83_269
; %bb.266:
	s_mov_b32 s1, exec_lo
	v_cmpx_o_f16_e32 v1, v1
; %bb.267:
	v_cmp_gt_f16_e32 vcc_lo, v1, v2
	v_cndmask_b32_e32 v1, v2, v1, vcc_lo
; %bb.268:
	s_or_b32 exec_lo, exec_lo, s1
	s_delay_alu instid0(VALU_DEP_1)
	v_mov_b32_e32 v2, v1
.LBB83_269:
	s_or_b32 exec_lo, exec_lo, s0
	s_delay_alu instid0(VALU_DEP_1) | instskip(SKIP_1) | instid1(VALU_DEP_1)
	v_and_b32_e32 v1, 0xffff, v2
	s_mov_b32 s0, exec_lo
	v_mov_b32_dpp v1, v1 row_ror:4 row_mask:0xf bank_mask:0xf
	s_delay_alu instid0(VALU_DEP_1)
	v_cmpx_o_f16_e32 v1, v1
	s_cbranch_execz .LBB83_273
; %bb.270:
	s_mov_b32 s1, exec_lo
	v_cmpx_o_f16_e32 v2, v2
; %bb.271:
	v_cmp_gt_f16_e32 vcc_lo, v2, v1
	v_cndmask_b32_e32 v2, v1, v2, vcc_lo
; %bb.272:
	s_or_b32 exec_lo, exec_lo, s1
	s_delay_alu instid0(VALU_DEP_1)
	v_mov_b32_e32 v1, v2
.LBB83_273:
	s_or_b32 exec_lo, exec_lo, s0
	s_delay_alu instid0(VALU_DEP_1) | instskip(SKIP_1) | instid1(VALU_DEP_1)
	v_and_b32_e32 v2, 0xffff, v1
	s_mov_b32 s0, exec_lo
	v_mov_b32_dpp v2, v2 row_ror:8 row_mask:0xf bank_mask:0xf
	s_delay_alu instid0(VALU_DEP_1)
	v_cmpx_o_f16_e32 v2, v2
	s_cbranch_execz .LBB83_277
; %bb.274:
	s_mov_b32 s1, exec_lo
	v_cmpx_o_f16_e32 v1, v1
; %bb.275:
	v_cmp_gt_f16_e32 vcc_lo, v1, v2
	v_cndmask_b32_e32 v1, v2, v1, vcc_lo
; %bb.276:
	s_or_b32 exec_lo, exec_lo, s1
	s_delay_alu instid0(VALU_DEP_1)
	v_mov_b32_e32 v2, v1
.LBB83_277:
	s_or_b32 exec_lo, exec_lo, s0
	s_delay_alu instid0(VALU_DEP_1)
	v_and_b32_e32 v1, 0xffff, v2
	s_mov_b32 s0, exec_lo
	ds_swizzle_b32 v1, v1 offset:swizzle(BROADCAST,32,15)
	s_waitcnt lgkmcnt(0)
	v_cmpx_o_f16_e32 v1, v1
	s_cbranch_execz .LBB83_281
; %bb.278:
	s_mov_b32 s1, exec_lo
	v_cmpx_o_f16_e32 v2, v2
; %bb.279:
	v_cmp_gt_f16_e32 vcc_lo, v2, v1
	v_cndmask_b32_e32 v2, v1, v2, vcc_lo
; %bb.280:
	s_or_b32 exec_lo, exec_lo, s1
	s_delay_alu instid0(VALU_DEP_1)
	v_mov_b32_e32 v1, v2
.LBB83_281:
	s_or_b32 exec_lo, exec_lo, s0
	s_delay_alu instid0(VALU_DEP_1) | instskip(SKIP_3) | instid1(VALU_DEP_1)
	v_dual_mov_b32 v2, 0 :: v_dual_and_b32 v1, 0xffff, v1
	s_mov_b32 s0, exec_lo
	ds_bpermute_b32 v2, v2, v1 offset:124
	v_mbcnt_lo_u32_b32 v1, -1, 0
	v_cmpx_eq_u32_e32 0, v1
	s_cbranch_execz .LBB83_283
; %bb.282:
	v_lshrrev_b32_e32 v3, 4, v0
	s_delay_alu instid0(VALU_DEP_1)
	v_and_b32_e32 v3, 14, v3
	s_waitcnt lgkmcnt(0)
	ds_store_b16 v3, v2
.LBB83_283:
	s_or_b32 exec_lo, exec_lo, s0
	s_delay_alu instid0(SALU_CYCLE_1)
	s_mov_b32 s0, exec_lo
	s_waitcnt lgkmcnt(0)
	s_barrier
	buffer_gl0_inv
	v_cmpx_gt_u32_e32 32, v0
	s_cbranch_execz .LBB83_297
; %bb.284:
	v_and_b32_e32 v3, 7, v1
	s_mov_b32 s1, exec_lo
	s_delay_alu instid0(VALU_DEP_1) | instskip(SKIP_3) | instid1(VALU_DEP_1)
	v_lshlrev_b32_e32 v2, 1, v3
	v_cmp_ne_u32_e32 vcc_lo, 7, v3
	ds_load_u16 v2, v2
	v_add_co_ci_u32_e32 v4, vcc_lo, 0, v1, vcc_lo
	v_lshlrev_b32_e32 v4, 2, v4
	s_waitcnt lgkmcnt(0)
	v_and_b32_e32 v5, 0xffff, v2
	ds_bpermute_b32 v4, v4, v5
	v_cmpx_o_f16_e32 v2, v2
	s_cbranch_execz .LBB83_288
; %bb.285:
	s_mov_b32 s2, exec_lo
	s_waitcnt lgkmcnt(0)
	v_cmpx_o_f16_e32 v4, v4
; %bb.286:
	v_cmp_lt_f16_e32 vcc_lo, v2, v4
	v_cndmask_b32_e32 v4, v2, v4, vcc_lo
; %bb.287:
	s_or_b32 exec_lo, exec_lo, s2
	s_delay_alu instid0(VALU_DEP_1)
	v_mov_b32_e32 v2, v4
.LBB83_288:
	s_or_b32 exec_lo, exec_lo, s1
	v_cmp_gt_u32_e32 vcc_lo, 6, v3
	s_delay_alu instid0(VALU_DEP_2) | instskip(SKIP_3) | instid1(VALU_DEP_1)
	v_and_b32_e32 v5, 0xffff, v2
	s_mov_b32 s1, exec_lo
	s_waitcnt lgkmcnt(0)
	v_cndmask_b32_e64 v4, 0, 1, vcc_lo
	v_lshlrev_b32_e32 v4, 1, v4
	s_delay_alu instid0(VALU_DEP_1)
	v_add_lshl_u32 v4, v4, v1, 2
	ds_bpermute_b32 v4, v4, v5
	v_cmpx_o_f16_e32 v2, v2
	s_cbranch_execz .LBB83_292
; %bb.289:
	s_mov_b32 s2, exec_lo
	s_waitcnt lgkmcnt(0)
	v_cmpx_o_f16_e32 v4, v4
; %bb.290:
	v_cmp_lt_f16_e32 vcc_lo, v2, v4
	v_cndmask_b32_e32 v4, v2, v4, vcc_lo
; %bb.291:
	s_or_b32 exec_lo, exec_lo, s2
	s_delay_alu instid0(VALU_DEP_1)
	v_mov_b32_e32 v2, v4
.LBB83_292:
	s_or_b32 exec_lo, exec_lo, s1
	v_cmp_gt_u32_e32 vcc_lo, 4, v3
	s_waitcnt lgkmcnt(0)
	s_delay_alu instid0(VALU_DEP_2) | instskip(SKIP_2) | instid1(VALU_DEP_1)
	v_and_b32_e32 v4, 0xffff, v2
	s_mov_b32 s1, exec_lo
	v_cndmask_b32_e64 v3, 0, 1, vcc_lo
	v_lshlrev_b32_e32 v3, 2, v3
	s_delay_alu instid0(VALU_DEP_1)
	v_add_lshl_u32 v1, v3, v1, 2
	ds_bpermute_b32 v1, v1, v4
	v_cmpx_o_f16_e32 v2, v2
	s_cbranch_execz .LBB83_296
; %bb.293:
	s_mov_b32 s2, exec_lo
	s_waitcnt lgkmcnt(0)
	v_cmpx_o_f16_e32 v1, v1
; %bb.294:
	v_cmp_lt_f16_e32 vcc_lo, v2, v1
	v_cndmask_b32_e32 v1, v2, v1, vcc_lo
; %bb.295:
	s_or_b32 exec_lo, exec_lo, s2
	s_delay_alu instid0(VALU_DEP_1)
	v_mov_b32_e32 v2, v1
.LBB83_296:
	s_or_b32 exec_lo, exec_lo, s1
.LBB83_297:
	s_delay_alu instid0(SALU_CYCLE_1)
	s_or_b32 exec_lo, exec_lo, s0
	s_branch .LBB83_400
.LBB83_298:
	s_sub_i32 s0, s29, s22
	s_mov_b32 s1, exec_lo
                                        ; implicit-def: $vgpr4
	v_cmpx_gt_u32_e64 s0, v0
	s_cbranch_execz .LBB83_308
; %bb.299:
	s_waitcnt lgkmcnt(0)
	v_add_nc_u32_e32 v1, s22, v0
	s_mov_b32 s2, exec_lo
	s_delay_alu instid0(VALU_DEP_1) | instskip(NEXT) | instid1(VALU_DEP_1)
	v_ashrrev_i32_e32 v2, 31, v1
	v_lshlrev_b64 v[2:3], 1, v[1:2]
	v_add_nc_u32_e32 v1, 0x100, v1
	s_delay_alu instid0(VALU_DEP_2) | instskip(NEXT) | instid1(VALU_DEP_3)
	v_add_co_u32 v2, vcc_lo, s16, v2
	v_add_co_ci_u32_e32 v3, vcc_lo, s17, v3, vcc_lo
	global_load_u16 v4, v[2:3], off
	v_cmpx_gt_i32_e64 s29, v1
	s_cbranch_execz .LBB83_307
; %bb.300:
	s_mov_b32 s3, 0
	s_set_inst_prefetch_distance 0x1
	s_branch .LBB83_303
	.p2align	6
.LBB83_301:                             ;   in Loop: Header=BB83_303 Depth=1
	s_or_b32 exec_lo, exec_lo, s5
	s_delay_alu instid0(VALU_DEP_1)
	v_mov_b32_e32 v4, v2
.LBB83_302:                             ;   in Loop: Header=BB83_303 Depth=1
	s_or_b32 exec_lo, exec_lo, s4
	v_add_nc_u32_e32 v1, 0x100, v1
	s_delay_alu instid0(VALU_DEP_1) | instskip(SKIP_1) | instid1(SALU_CYCLE_1)
	v_cmp_le_i32_e32 vcc_lo, s29, v1
	s_or_b32 s3, vcc_lo, s3
	s_and_not1_b32 exec_lo, exec_lo, s3
	s_cbranch_execz .LBB83_306
.LBB83_303:                             ; =>This Inner Loop Header: Depth=1
	s_mov_b32 s4, exec_lo
	s_waitcnt vmcnt(0)
	v_cmpx_o_f16_e32 v4, v4
	s_cbranch_execz .LBB83_302
; %bb.304:                              ;   in Loop: Header=BB83_303 Depth=1
	v_ashrrev_i32_e32 v2, 31, v1
	s_mov_b32 s5, exec_lo
	s_delay_alu instid0(VALU_DEP_1) | instskip(NEXT) | instid1(VALU_DEP_1)
	v_lshlrev_b64 v[2:3], 1, v[1:2]
	v_add_co_u32 v2, vcc_lo, s16, v2
	s_delay_alu instid0(VALU_DEP_2)
	v_add_co_ci_u32_e32 v3, vcc_lo, s17, v3, vcc_lo
	global_load_u16 v2, v[2:3], off
	s_waitcnt vmcnt(0)
	v_cmpx_o_f16_e32 v2, v2
	s_cbranch_execz .LBB83_301
; %bb.305:                              ;   in Loop: Header=BB83_303 Depth=1
	v_cmp_lt_f16_e32 vcc_lo, v4, v2
	v_cndmask_b32_e32 v2, v4, v2, vcc_lo
	s_branch .LBB83_301
.LBB83_306:
	s_set_inst_prefetch_distance 0x2
	s_or_b32 exec_lo, exec_lo, s3
.LBB83_307:
	s_delay_alu instid0(SALU_CYCLE_1)
	s_or_b32 exec_lo, exec_lo, s2
.LBB83_308:
	s_delay_alu instid0(SALU_CYCLE_1)
	s_or_b32 exec_lo, exec_lo, s1
	v_lshrrev_b32_e32 v3, 5, v0
	s_waitcnt lgkmcnt(0)
	v_mbcnt_lo_u32_b32 v1, -1, 0
	s_waitcnt vmcnt(0)
	v_and_b32_e32 v5, 0xffff, v4
	s_cmpk_lt_u32 s0, 0x100
	s_mov_b32 s1, -1
	s_cbranch_scc0 .LBB83_362
; %bb.309:
	v_cmp_ne_u32_e32 vcc_lo, 31, v1
	v_mov_b32_e32 v7, v5
	v_add_co_ci_u32_e32 v2, vcc_lo, 0, v1, vcc_lo
	s_delay_alu instid0(VALU_DEP_1) | instskip(SKIP_2) | instid1(VALU_DEP_1)
	v_lshlrev_b32_e32 v2, 2, v2
	ds_bpermute_b32 v8, v2, v5
	v_and_b32_e32 v2, 0xe0, v0
	v_sub_nc_u32_e64 v6, s0, v2 clamp
	v_add_nc_u32_e32 v2, 1, v1
	s_delay_alu instid0(VALU_DEP_1)
	v_cmp_lt_u32_e32 vcc_lo, v2, v6
	v_mov_b32_e32 v2, v4
	s_and_saveexec_b32 s1, vcc_lo
	s_cbranch_execz .LBB83_315
; %bb.310:
	v_mov_b32_e32 v2, v4
	s_mov_b32 s2, exec_lo
	v_cmpx_o_f16_e32 v4, v4
	s_cbranch_execz .LBB83_314
; %bb.311:
	s_mov_b32 s3, exec_lo
	s_waitcnt lgkmcnt(0)
	v_cmpx_o_f16_e32 v8, v8
; %bb.312:
	v_cmp_lt_f16_e32 vcc_lo, v4, v8
	v_cndmask_b32_e32 v8, v4, v8, vcc_lo
; %bb.313:
	s_or_b32 exec_lo, exec_lo, s3
	s_delay_alu instid0(VALU_DEP_1)
	v_mov_b32_e32 v2, v8
.LBB83_314:
	s_or_b32 exec_lo, exec_lo, s2
	s_delay_alu instid0(VALU_DEP_1)
	v_and_b32_e32 v7, 0xffff, v2
.LBB83_315:
	s_or_b32 exec_lo, exec_lo, s1
	v_cmp_gt_u32_e32 vcc_lo, 30, v1
	v_add_nc_u32_e32 v9, 2, v1
	s_mov_b32 s1, exec_lo
	s_waitcnt lgkmcnt(0)
	v_cndmask_b32_e64 v8, 0, 1, vcc_lo
	s_delay_alu instid0(VALU_DEP_1) | instskip(NEXT) | instid1(VALU_DEP_1)
	v_lshlrev_b32_e32 v8, 1, v8
	v_add_lshl_u32 v8, v8, v1, 2
	ds_bpermute_b32 v8, v8, v7
	v_cmpx_lt_u32_e64 v9, v6
	s_cbranch_execz .LBB83_321
; %bb.316:
	s_mov_b32 s2, exec_lo
	v_cmpx_o_f16_e32 v2, v2
	s_cbranch_execz .LBB83_320
; %bb.317:
	s_mov_b32 s3, exec_lo
	s_waitcnt lgkmcnt(0)
	v_cmpx_o_f16_e32 v8, v8
; %bb.318:
	v_cmp_lt_f16_e32 vcc_lo, v2, v8
	v_cndmask_b32_e32 v8, v2, v8, vcc_lo
; %bb.319:
	s_or_b32 exec_lo, exec_lo, s3
	s_delay_alu instid0(VALU_DEP_1)
	v_mov_b32_e32 v2, v8
.LBB83_320:
	s_or_b32 exec_lo, exec_lo, s2
	s_delay_alu instid0(VALU_DEP_1)
	v_and_b32_e32 v7, 0xffff, v2
.LBB83_321:
	s_or_b32 exec_lo, exec_lo, s1
	v_cmp_gt_u32_e32 vcc_lo, 28, v1
	v_add_nc_u32_e32 v9, 4, v1
	s_mov_b32 s1, exec_lo
	s_waitcnt lgkmcnt(0)
	v_cndmask_b32_e64 v8, 0, 1, vcc_lo
	s_delay_alu instid0(VALU_DEP_1) | instskip(NEXT) | instid1(VALU_DEP_1)
	v_lshlrev_b32_e32 v8, 2, v8
	v_add_lshl_u32 v8, v8, v1, 2
	ds_bpermute_b32 v8, v8, v7
	v_cmpx_lt_u32_e64 v9, v6
	s_cbranch_execz .LBB83_327
; %bb.322:
	s_mov_b32 s2, exec_lo
	v_cmpx_o_f16_e32 v2, v2
	s_cbranch_execz .LBB83_326
; %bb.323:
	s_mov_b32 s3, exec_lo
	s_waitcnt lgkmcnt(0)
	v_cmpx_o_f16_e32 v8, v8
; %bb.324:
	v_cmp_lt_f16_e32 vcc_lo, v2, v8
	v_cndmask_b32_e32 v8, v2, v8, vcc_lo
; %bb.325:
	s_or_b32 exec_lo, exec_lo, s3
	s_delay_alu instid0(VALU_DEP_1)
	v_mov_b32_e32 v2, v8
.LBB83_326:
	s_or_b32 exec_lo, exec_lo, s2
	s_delay_alu instid0(VALU_DEP_1)
	v_and_b32_e32 v7, 0xffff, v2
.LBB83_327:
	;; [unrolled: 32-line block ×3, first 2 shown]
	s_or_b32 exec_lo, exec_lo, s1
	v_cmp_gt_u32_e32 vcc_lo, 16, v1
	s_mov_b32 s1, exec_lo
	s_waitcnt lgkmcnt(0)
	v_cndmask_b32_e64 v8, 0, 1, vcc_lo
	s_delay_alu instid0(VALU_DEP_1) | instskip(NEXT) | instid1(VALU_DEP_1)
	v_lshlrev_b32_e32 v8, 4, v8
	v_add_lshl_u32 v8, v8, v1, 2
	ds_bpermute_b32 v7, v8, v7
	v_add_nc_u32_e32 v8, 16, v1
	s_delay_alu instid0(VALU_DEP_1)
	v_cmpx_lt_u32_e64 v8, v6
	s_cbranch_execz .LBB83_339
; %bb.334:
	s_mov_b32 s2, exec_lo
	v_cmpx_o_f16_e32 v2, v2
	s_cbranch_execz .LBB83_338
; %bb.335:
	s_mov_b32 s3, exec_lo
	s_waitcnt lgkmcnt(0)
	v_cmpx_o_f16_e32 v7, v7
; %bb.336:
	v_cmp_lt_f16_e32 vcc_lo, v2, v7
	v_cndmask_b32_e32 v7, v2, v7, vcc_lo
; %bb.337:
	s_or_b32 exec_lo, exec_lo, s3
	s_delay_alu instid0(VALU_DEP_1)
	v_mov_b32_e32 v2, v7
.LBB83_338:
	s_or_b32 exec_lo, exec_lo, s2
.LBB83_339:
	s_delay_alu instid0(SALU_CYCLE_1) | instskip(NEXT) | instid1(SALU_CYCLE_1)
	s_or_b32 exec_lo, exec_lo, s1
	s_mov_b32 s1, exec_lo
	v_cmpx_eq_u32_e32 0, v1
	s_cbranch_execz .LBB83_341
; %bb.340:
	v_lshlrev_b32_e32 v6, 1, v3
	ds_store_b16 v6, v2
.LBB83_341:
	s_or_b32 exec_lo, exec_lo, s1
	s_delay_alu instid0(SALU_CYCLE_1)
	s_mov_b32 s1, exec_lo
	s_waitcnt lgkmcnt(0)
	s_barrier
	buffer_gl0_inv
	v_cmpx_gt_u32_e32 8, v0
	s_cbranch_execz .LBB83_361
; %bb.342:
	v_lshlrev_b32_e32 v2, 1, v1
	v_and_b32_e32 v6, 7, v1
	s_add_i32 s0, s0, 31
	s_mov_b32 s2, exec_lo
	s_lshr_b32 s0, s0, 5
	ds_load_u16 v2, v2
	v_cmp_ne_u32_e32 vcc_lo, 7, v6
	v_add_nc_u32_e32 v9, 1, v6
	v_add_co_ci_u32_e32 v8, vcc_lo, 0, v1, vcc_lo
	s_delay_alu instid0(VALU_DEP_1)
	v_lshlrev_b32_e32 v8, 2, v8
	s_waitcnt lgkmcnt(0)
	v_and_b32_e32 v7, 0xffff, v2
	ds_bpermute_b32 v8, v8, v7
	v_cmpx_gt_u32_e64 s0, v9
	s_cbranch_execz .LBB83_348
; %bb.343:
	s_mov_b32 s3, exec_lo
	v_cmpx_o_f16_e32 v2, v2
	s_cbranch_execz .LBB83_347
; %bb.344:
	s_mov_b32 s4, exec_lo
	s_waitcnt lgkmcnt(0)
	v_cmpx_o_f16_e32 v8, v8
; %bb.345:
	v_cmp_lt_f16_e32 vcc_lo, v2, v8
	v_cndmask_b32_e32 v8, v2, v8, vcc_lo
; %bb.346:
	s_or_b32 exec_lo, exec_lo, s4
	s_delay_alu instid0(VALU_DEP_1)
	v_mov_b32_e32 v2, v8
.LBB83_347:
	s_or_b32 exec_lo, exec_lo, s3
	s_delay_alu instid0(VALU_DEP_1)
	v_and_b32_e32 v7, 0xffff, v2
.LBB83_348:
	s_or_b32 exec_lo, exec_lo, s2
	v_cmp_gt_u32_e32 vcc_lo, 6, v6
	v_add_nc_u32_e32 v9, 2, v6
	s_mov_b32 s2, exec_lo
	s_waitcnt lgkmcnt(0)
	v_cndmask_b32_e64 v8, 0, 1, vcc_lo
	s_delay_alu instid0(VALU_DEP_1) | instskip(NEXT) | instid1(VALU_DEP_1)
	v_lshlrev_b32_e32 v8, 1, v8
	v_add_lshl_u32 v8, v8, v1, 2
	ds_bpermute_b32 v8, v8, v7
	v_cmpx_gt_u32_e64 s0, v9
	s_cbranch_execz .LBB83_354
; %bb.349:
	s_mov_b32 s3, exec_lo
	v_cmpx_o_f16_e32 v2, v2
	s_cbranch_execz .LBB83_353
; %bb.350:
	s_mov_b32 s4, exec_lo
	s_waitcnt lgkmcnt(0)
	v_cmpx_o_f16_e32 v8, v8
; %bb.351:
	v_cmp_lt_f16_e32 vcc_lo, v2, v8
	v_cndmask_b32_e32 v8, v2, v8, vcc_lo
; %bb.352:
	s_or_b32 exec_lo, exec_lo, s4
	s_delay_alu instid0(VALU_DEP_1)
	v_mov_b32_e32 v2, v8
.LBB83_353:
	s_or_b32 exec_lo, exec_lo, s3
	s_delay_alu instid0(VALU_DEP_1)
	v_and_b32_e32 v7, 0xffff, v2
.LBB83_354:
	s_or_b32 exec_lo, exec_lo, s2
	v_cmp_gt_u32_e32 vcc_lo, 4, v6
	v_add_nc_u32_e32 v6, 4, v6
	s_waitcnt lgkmcnt(0)
	v_cndmask_b32_e64 v8, 0, 1, vcc_lo
	s_delay_alu instid0(VALU_DEP_2) | instskip(NEXT) | instid1(VALU_DEP_2)
	v_cmp_gt_u32_e32 vcc_lo, s0, v6
	v_lshlrev_b32_e32 v8, 2, v8
	s_delay_alu instid0(VALU_DEP_1)
	v_add_lshl_u32 v8, v8, v1, 2
	ds_bpermute_b32 v7, v8, v7
	s_and_saveexec_b32 s0, vcc_lo
	s_cbranch_execz .LBB83_360
; %bb.355:
	s_mov_b32 s2, exec_lo
	v_cmpx_o_f16_e32 v2, v2
	s_cbranch_execz .LBB83_359
; %bb.356:
	s_mov_b32 s3, exec_lo
	s_waitcnt lgkmcnt(0)
	v_cmpx_o_f16_e32 v7, v7
; %bb.357:
	v_cmp_lt_f16_e32 vcc_lo, v2, v7
	v_cndmask_b32_e32 v7, v2, v7, vcc_lo
; %bb.358:
	s_or_b32 exec_lo, exec_lo, s3
	s_delay_alu instid0(VALU_DEP_1)
	v_mov_b32_e32 v2, v7
.LBB83_359:
	s_or_b32 exec_lo, exec_lo, s2
.LBB83_360:
	s_delay_alu instid0(SALU_CYCLE_1)
	s_or_b32 exec_lo, exec_lo, s0
.LBB83_361:
	s_delay_alu instid0(SALU_CYCLE_1)
	s_or_b32 exec_lo, exec_lo, s1
	s_branch .LBB83_400
.LBB83_362:
                                        ; implicit-def: $vgpr2
	s_and_b32 vcc_lo, exec_lo, s1
	s_cbranch_vccz .LBB83_400
; %bb.363:
	v_mov_b32_dpp v2, v5 quad_perm:[1,0,3,2] row_mask:0xf bank_mask:0xf
	s_mov_b32 s0, exec_lo
	s_delay_alu instid0(VALU_DEP_1)
	v_cmpx_o_f16_e32 v2, v2
	s_cbranch_execz .LBB83_367
; %bb.364:
	s_mov_b32 s1, exec_lo
	v_cmpx_o_f16_e32 v4, v4
; %bb.365:
	v_cmp_gt_f16_e32 vcc_lo, v4, v2
	v_cndmask_b32_e32 v4, v2, v4, vcc_lo
; %bb.366:
	s_or_b32 exec_lo, exec_lo, s1
	s_delay_alu instid0(VALU_DEP_1)
	v_mov_b32_e32 v2, v4
.LBB83_367:
	s_or_b32 exec_lo, exec_lo, s0
	s_delay_alu instid0(VALU_DEP_1) | instskip(SKIP_1) | instid1(VALU_DEP_1)
	v_and_b32_e32 v4, 0xffff, v2
	s_mov_b32 s0, exec_lo
	v_mov_b32_dpp v4, v4 quad_perm:[2,3,0,1] row_mask:0xf bank_mask:0xf
	s_delay_alu instid0(VALU_DEP_1)
	v_cmpx_o_f16_e32 v4, v4
	s_cbranch_execz .LBB83_371
; %bb.368:
	s_mov_b32 s1, exec_lo
	v_cmpx_o_f16_e32 v2, v2
; %bb.369:
	v_cmp_gt_f16_e32 vcc_lo, v2, v4
	v_cndmask_b32_e32 v2, v4, v2, vcc_lo
; %bb.370:
	s_or_b32 exec_lo, exec_lo, s1
	s_delay_alu instid0(VALU_DEP_1)
	v_mov_b32_e32 v4, v2
.LBB83_371:
	s_or_b32 exec_lo, exec_lo, s0
	s_delay_alu instid0(VALU_DEP_1) | instskip(SKIP_1) | instid1(VALU_DEP_1)
	v_and_b32_e32 v2, 0xffff, v4
	s_mov_b32 s0, exec_lo
	v_mov_b32_dpp v2, v2 row_ror:4 row_mask:0xf bank_mask:0xf
	s_delay_alu instid0(VALU_DEP_1)
	v_cmpx_o_f16_e32 v2, v2
	s_cbranch_execz .LBB83_375
; %bb.372:
	s_mov_b32 s1, exec_lo
	v_cmpx_o_f16_e32 v4, v4
; %bb.373:
	v_cmp_gt_f16_e32 vcc_lo, v4, v2
	v_cndmask_b32_e32 v4, v2, v4, vcc_lo
; %bb.374:
	s_or_b32 exec_lo, exec_lo, s1
	s_delay_alu instid0(VALU_DEP_1)
	v_mov_b32_e32 v2, v4
.LBB83_375:
	s_or_b32 exec_lo, exec_lo, s0
	s_delay_alu instid0(VALU_DEP_1) | instskip(SKIP_1) | instid1(VALU_DEP_1)
	v_and_b32_e32 v4, 0xffff, v2
	s_mov_b32 s0, exec_lo
	v_mov_b32_dpp v4, v4 row_ror:8 row_mask:0xf bank_mask:0xf
	s_delay_alu instid0(VALU_DEP_1)
	v_cmpx_o_f16_e32 v4, v4
	s_cbranch_execz .LBB83_379
; %bb.376:
	s_mov_b32 s1, exec_lo
	v_cmpx_o_f16_e32 v2, v2
; %bb.377:
	v_cmp_gt_f16_e32 vcc_lo, v2, v4
	v_cndmask_b32_e32 v2, v4, v2, vcc_lo
; %bb.378:
	s_or_b32 exec_lo, exec_lo, s1
	s_delay_alu instid0(VALU_DEP_1)
	v_mov_b32_e32 v4, v2
.LBB83_379:
	s_or_b32 exec_lo, exec_lo, s0
	s_delay_alu instid0(VALU_DEP_1)
	v_and_b32_e32 v2, 0xffff, v4
	s_mov_b32 s0, exec_lo
	ds_swizzle_b32 v2, v2 offset:swizzle(BROADCAST,32,15)
	s_waitcnt lgkmcnt(0)
	v_cmpx_o_f16_e32 v2, v2
	s_cbranch_execz .LBB83_383
; %bb.380:
	s_mov_b32 s1, exec_lo
	v_cmpx_o_f16_e32 v4, v4
; %bb.381:
	v_cmp_gt_f16_e32 vcc_lo, v4, v2
	v_cndmask_b32_e32 v4, v2, v4, vcc_lo
; %bb.382:
	s_or_b32 exec_lo, exec_lo, s1
	s_delay_alu instid0(VALU_DEP_1)
	v_mov_b32_e32 v2, v4
.LBB83_383:
	s_or_b32 exec_lo, exec_lo, s0
	s_delay_alu instid0(VALU_DEP_1)
	v_and_b32_e32 v2, 0xffff, v2
	v_mov_b32_e32 v4, 0
	s_mov_b32 s0, exec_lo
	ds_bpermute_b32 v2, v4, v2 offset:124
	v_cmpx_eq_u32_e32 0, v1
	s_cbranch_execz .LBB83_385
; %bb.384:
	v_lshlrev_b32_e32 v3, 1, v3
	s_waitcnt lgkmcnt(0)
	ds_store_b16 v3, v2
.LBB83_385:
	s_or_b32 exec_lo, exec_lo, s0
	s_delay_alu instid0(SALU_CYCLE_1)
	s_mov_b32 s0, exec_lo
	s_waitcnt lgkmcnt(0)
	s_barrier
	buffer_gl0_inv
	v_cmpx_gt_u32_e32 32, v0
	s_cbranch_execz .LBB83_399
; %bb.386:
	v_and_b32_e32 v3, 7, v1
	s_mov_b32 s1, exec_lo
	s_delay_alu instid0(VALU_DEP_1) | instskip(SKIP_3) | instid1(VALU_DEP_1)
	v_lshlrev_b32_e32 v2, 1, v3
	v_cmp_ne_u32_e32 vcc_lo, 7, v3
	ds_load_u16 v2, v2
	v_add_co_ci_u32_e32 v4, vcc_lo, 0, v1, vcc_lo
	v_lshlrev_b32_e32 v4, 2, v4
	s_waitcnt lgkmcnt(0)
	v_and_b32_e32 v5, 0xffff, v2
	ds_bpermute_b32 v4, v4, v5
	v_cmpx_o_f16_e32 v2, v2
	s_cbranch_execz .LBB83_390
; %bb.387:
	s_mov_b32 s2, exec_lo
	s_waitcnt lgkmcnt(0)
	v_cmpx_o_f16_e32 v4, v4
; %bb.388:
	v_cmp_lt_f16_e32 vcc_lo, v2, v4
	v_cndmask_b32_e32 v4, v2, v4, vcc_lo
; %bb.389:
	s_or_b32 exec_lo, exec_lo, s2
	s_delay_alu instid0(VALU_DEP_1)
	v_mov_b32_e32 v2, v4
.LBB83_390:
	s_or_b32 exec_lo, exec_lo, s1
	v_cmp_gt_u32_e32 vcc_lo, 6, v3
	s_delay_alu instid0(VALU_DEP_2) | instskip(SKIP_3) | instid1(VALU_DEP_1)
	v_and_b32_e32 v5, 0xffff, v2
	s_mov_b32 s1, exec_lo
	s_waitcnt lgkmcnt(0)
	v_cndmask_b32_e64 v4, 0, 1, vcc_lo
	v_lshlrev_b32_e32 v4, 1, v4
	s_delay_alu instid0(VALU_DEP_1)
	v_add_lshl_u32 v4, v4, v1, 2
	ds_bpermute_b32 v4, v4, v5
	v_cmpx_o_f16_e32 v2, v2
	s_cbranch_execz .LBB83_394
; %bb.391:
	s_mov_b32 s2, exec_lo
	s_waitcnt lgkmcnt(0)
	v_cmpx_o_f16_e32 v4, v4
; %bb.392:
	v_cmp_lt_f16_e32 vcc_lo, v2, v4
	v_cndmask_b32_e32 v4, v2, v4, vcc_lo
; %bb.393:
	s_or_b32 exec_lo, exec_lo, s2
	s_delay_alu instid0(VALU_DEP_1)
	v_mov_b32_e32 v2, v4
.LBB83_394:
	s_or_b32 exec_lo, exec_lo, s1
	v_cmp_gt_u32_e32 vcc_lo, 4, v3
	s_waitcnt lgkmcnt(0)
	s_delay_alu instid0(VALU_DEP_2) | instskip(SKIP_2) | instid1(VALU_DEP_1)
	v_and_b32_e32 v4, 0xffff, v2
	s_mov_b32 s1, exec_lo
	v_cndmask_b32_e64 v3, 0, 1, vcc_lo
	v_lshlrev_b32_e32 v3, 2, v3
	s_delay_alu instid0(VALU_DEP_1)
	v_add_lshl_u32 v1, v3, v1, 2
	ds_bpermute_b32 v1, v1, v4
	v_cmpx_o_f16_e32 v2, v2
	s_cbranch_execz .LBB83_398
; %bb.395:
	s_mov_b32 s2, exec_lo
	s_waitcnt lgkmcnt(0)
	v_cmpx_o_f16_e32 v1, v1
; %bb.396:
	v_cmp_lt_f16_e32 vcc_lo, v2, v1
	v_cndmask_b32_e32 v1, v2, v1, vcc_lo
; %bb.397:
	s_or_b32 exec_lo, exec_lo, s2
	s_delay_alu instid0(VALU_DEP_1)
	v_mov_b32_e32 v2, v1
.LBB83_398:
	s_or_b32 exec_lo, exec_lo, s1
.LBB83_399:
	s_delay_alu instid0(SALU_CYCLE_1)
	s_or_b32 exec_lo, exec_lo, s0
.LBB83_400:
	s_delay_alu instid0(SALU_CYCLE_1)
	s_mov_b32 s0, exec_lo
                                        ; implicit-def: $vgpr1
	v_cmpx_eq_u32_e32 0, v0
	s_cbranch_execz .LBB83_406
; %bb.401:
	v_cmp_u_f16_e64 s1, s15, s15
	s_waitcnt lgkmcnt(0)
	v_mov_b32_e32 v1, s15
	s_delay_alu instid0(VALU_DEP_2)
	s_and_b32 vcc_lo, exec_lo, s1
	s_cbranch_vccnz .LBB83_405
; %bb.402:
	s_mov_b32 s1, exec_lo
	v_cmpx_o_f16_e32 v2, v2
; %bb.403:
	v_cmp_lt_f16_e32 vcc_lo, s15, v2
	v_cndmask_b32_e32 v2, s15, v2, vcc_lo
; %bb.404:
	s_or_b32 exec_lo, exec_lo, s1
	s_delay_alu instid0(VALU_DEP_1)
	v_mov_b32_e32 v1, v2
.LBB83_405:
	s_or_b32 s28, s28, exec_lo
.LBB83_406:
	s_or_b32 exec_lo, exec_lo, s0
	s_and_saveexec_b32 s0, s28
	s_cbranch_execz .LBB83_408
.LBB83_407:
	s_lshl_b64 s[0:1], s[20:21], 1
	v_mov_b32_e32 v0, 0
	s_add_u32 s2, s18, s0
	s_addc_u32 s3, s19, s1
	s_lshl_b64 s[0:1], s[24:25], 1
	s_delay_alu instid0(SALU_CYCLE_1)
	s_add_u32 s0, s2, s0
	s_addc_u32 s1, s3, s1
	s_waitcnt lgkmcnt(0)
	global_store_b16 v0, v1, s[0:1]
.LBB83_408:
	s_nop 0
	s_sendmsg sendmsg(MSG_DEALLOC_VGPRS)
	s_endpgm
	.section	.rodata,"a",@progbits
	.p2align	6, 0x0
	.amdhsa_kernel _ZN7rocprim17ROCPRIM_400000_NS6detail17trampoline_kernelINS0_14default_configENS1_32segmented_reduce_config_selectorIN3c104HalfEEEZNS1_21segmented_reduce_implIS3_PKS6_PS6_PKiS6_N6hipcub16HIPCUB_304000_NS6detail27convert_result_type_wrapperISA_SB_N2at6native12_GLOBAL__N_19CustomMaxEEEEE10hipError_tPvRmT0_T1_jT2_SS_T4_T3_P12ihipStream_tbEUlT_E_NS1_11comp_targetILNS1_3genE9ELNS1_11target_archE1100ELNS1_3gpuE3ELNS1_3repE0EEENS1_30default_config_static_selectorELNS0_4arch9wavefront6targetE0EEEvSR_
		.amdhsa_group_segment_fixed_size 16
		.amdhsa_private_segment_fixed_size 0
		.amdhsa_kernarg_size 48
		.amdhsa_user_sgpr_count 15
		.amdhsa_user_sgpr_dispatch_ptr 0
		.amdhsa_user_sgpr_queue_ptr 0
		.amdhsa_user_sgpr_kernarg_segment_ptr 1
		.amdhsa_user_sgpr_dispatch_id 0
		.amdhsa_user_sgpr_private_segment_size 0
		.amdhsa_wavefront_size32 1
		.amdhsa_uses_dynamic_stack 0
		.amdhsa_enable_private_segment 0
		.amdhsa_system_sgpr_workgroup_id_x 1
		.amdhsa_system_sgpr_workgroup_id_y 0
		.amdhsa_system_sgpr_workgroup_id_z 0
		.amdhsa_system_sgpr_workgroup_info 0
		.amdhsa_system_vgpr_workitem_id 0
		.amdhsa_next_free_vgpr 23
		.amdhsa_next_free_sgpr 31
		.amdhsa_reserve_vcc 1
		.amdhsa_float_round_mode_32 0
		.amdhsa_float_round_mode_16_64 0
		.amdhsa_float_denorm_mode_32 3
		.amdhsa_float_denorm_mode_16_64 3
		.amdhsa_dx10_clamp 1
		.amdhsa_ieee_mode 1
		.amdhsa_fp16_overflow 0
		.amdhsa_workgroup_processor_mode 1
		.amdhsa_memory_ordered 1
		.amdhsa_forward_progress 0
		.amdhsa_shared_vgpr_count 0
		.amdhsa_exception_fp_ieee_invalid_op 0
		.amdhsa_exception_fp_denorm_src 0
		.amdhsa_exception_fp_ieee_div_zero 0
		.amdhsa_exception_fp_ieee_overflow 0
		.amdhsa_exception_fp_ieee_underflow 0
		.amdhsa_exception_fp_ieee_inexact 0
		.amdhsa_exception_int_div_zero 0
	.end_amdhsa_kernel
	.section	.text._ZN7rocprim17ROCPRIM_400000_NS6detail17trampoline_kernelINS0_14default_configENS1_32segmented_reduce_config_selectorIN3c104HalfEEEZNS1_21segmented_reduce_implIS3_PKS6_PS6_PKiS6_N6hipcub16HIPCUB_304000_NS6detail27convert_result_type_wrapperISA_SB_N2at6native12_GLOBAL__N_19CustomMaxEEEEE10hipError_tPvRmT0_T1_jT2_SS_T4_T3_P12ihipStream_tbEUlT_E_NS1_11comp_targetILNS1_3genE9ELNS1_11target_archE1100ELNS1_3gpuE3ELNS1_3repE0EEENS1_30default_config_static_selectorELNS0_4arch9wavefront6targetE0EEEvSR_,"axG",@progbits,_ZN7rocprim17ROCPRIM_400000_NS6detail17trampoline_kernelINS0_14default_configENS1_32segmented_reduce_config_selectorIN3c104HalfEEEZNS1_21segmented_reduce_implIS3_PKS6_PS6_PKiS6_N6hipcub16HIPCUB_304000_NS6detail27convert_result_type_wrapperISA_SB_N2at6native12_GLOBAL__N_19CustomMaxEEEEE10hipError_tPvRmT0_T1_jT2_SS_T4_T3_P12ihipStream_tbEUlT_E_NS1_11comp_targetILNS1_3genE9ELNS1_11target_archE1100ELNS1_3gpuE3ELNS1_3repE0EEENS1_30default_config_static_selectorELNS0_4arch9wavefront6targetE0EEEvSR_,comdat
.Lfunc_end83:
	.size	_ZN7rocprim17ROCPRIM_400000_NS6detail17trampoline_kernelINS0_14default_configENS1_32segmented_reduce_config_selectorIN3c104HalfEEEZNS1_21segmented_reduce_implIS3_PKS6_PS6_PKiS6_N6hipcub16HIPCUB_304000_NS6detail27convert_result_type_wrapperISA_SB_N2at6native12_GLOBAL__N_19CustomMaxEEEEE10hipError_tPvRmT0_T1_jT2_SS_T4_T3_P12ihipStream_tbEUlT_E_NS1_11comp_targetILNS1_3genE9ELNS1_11target_archE1100ELNS1_3gpuE3ELNS1_3repE0EEENS1_30default_config_static_selectorELNS0_4arch9wavefront6targetE0EEEvSR_, .Lfunc_end83-_ZN7rocprim17ROCPRIM_400000_NS6detail17trampoline_kernelINS0_14default_configENS1_32segmented_reduce_config_selectorIN3c104HalfEEEZNS1_21segmented_reduce_implIS3_PKS6_PS6_PKiS6_N6hipcub16HIPCUB_304000_NS6detail27convert_result_type_wrapperISA_SB_N2at6native12_GLOBAL__N_19CustomMaxEEEEE10hipError_tPvRmT0_T1_jT2_SS_T4_T3_P12ihipStream_tbEUlT_E_NS1_11comp_targetILNS1_3genE9ELNS1_11target_archE1100ELNS1_3gpuE3ELNS1_3repE0EEENS1_30default_config_static_selectorELNS0_4arch9wavefront6targetE0EEEvSR_
                                        ; -- End function
	.section	.AMDGPU.csdata,"",@progbits
; Kernel info:
; codeLenInByte = 7544
; NumSgprs: 33
; NumVgprs: 23
; ScratchSize: 0
; MemoryBound: 0
; FloatMode: 240
; IeeeMode: 1
; LDSByteSize: 16 bytes/workgroup (compile time only)
; SGPRBlocks: 4
; VGPRBlocks: 2
; NumSGPRsForWavesPerEU: 33
; NumVGPRsForWavesPerEU: 23
; Occupancy: 16
; WaveLimiterHint : 1
; COMPUTE_PGM_RSRC2:SCRATCH_EN: 0
; COMPUTE_PGM_RSRC2:USER_SGPR: 15
; COMPUTE_PGM_RSRC2:TRAP_HANDLER: 0
; COMPUTE_PGM_RSRC2:TGID_X_EN: 1
; COMPUTE_PGM_RSRC2:TGID_Y_EN: 0
; COMPUTE_PGM_RSRC2:TGID_Z_EN: 0
; COMPUTE_PGM_RSRC2:TIDIG_COMP_CNT: 0
	.section	.text._ZN7rocprim17ROCPRIM_400000_NS6detail17trampoline_kernelINS0_14default_configENS1_32segmented_reduce_config_selectorIN3c104HalfEEEZNS1_21segmented_reduce_implIS3_PKS6_PS6_PKiS6_N6hipcub16HIPCUB_304000_NS6detail27convert_result_type_wrapperISA_SB_N2at6native12_GLOBAL__N_19CustomMaxEEEEE10hipError_tPvRmT0_T1_jT2_SS_T4_T3_P12ihipStream_tbEUlT_E_NS1_11comp_targetILNS1_3genE8ELNS1_11target_archE1030ELNS1_3gpuE2ELNS1_3repE0EEENS1_30default_config_static_selectorELNS0_4arch9wavefront6targetE0EEEvSR_,"axG",@progbits,_ZN7rocprim17ROCPRIM_400000_NS6detail17trampoline_kernelINS0_14default_configENS1_32segmented_reduce_config_selectorIN3c104HalfEEEZNS1_21segmented_reduce_implIS3_PKS6_PS6_PKiS6_N6hipcub16HIPCUB_304000_NS6detail27convert_result_type_wrapperISA_SB_N2at6native12_GLOBAL__N_19CustomMaxEEEEE10hipError_tPvRmT0_T1_jT2_SS_T4_T3_P12ihipStream_tbEUlT_E_NS1_11comp_targetILNS1_3genE8ELNS1_11target_archE1030ELNS1_3gpuE2ELNS1_3repE0EEENS1_30default_config_static_selectorELNS0_4arch9wavefront6targetE0EEEvSR_,comdat
	.globl	_ZN7rocprim17ROCPRIM_400000_NS6detail17trampoline_kernelINS0_14default_configENS1_32segmented_reduce_config_selectorIN3c104HalfEEEZNS1_21segmented_reduce_implIS3_PKS6_PS6_PKiS6_N6hipcub16HIPCUB_304000_NS6detail27convert_result_type_wrapperISA_SB_N2at6native12_GLOBAL__N_19CustomMaxEEEEE10hipError_tPvRmT0_T1_jT2_SS_T4_T3_P12ihipStream_tbEUlT_E_NS1_11comp_targetILNS1_3genE8ELNS1_11target_archE1030ELNS1_3gpuE2ELNS1_3repE0EEENS1_30default_config_static_selectorELNS0_4arch9wavefront6targetE0EEEvSR_ ; -- Begin function _ZN7rocprim17ROCPRIM_400000_NS6detail17trampoline_kernelINS0_14default_configENS1_32segmented_reduce_config_selectorIN3c104HalfEEEZNS1_21segmented_reduce_implIS3_PKS6_PS6_PKiS6_N6hipcub16HIPCUB_304000_NS6detail27convert_result_type_wrapperISA_SB_N2at6native12_GLOBAL__N_19CustomMaxEEEEE10hipError_tPvRmT0_T1_jT2_SS_T4_T3_P12ihipStream_tbEUlT_E_NS1_11comp_targetILNS1_3genE8ELNS1_11target_archE1030ELNS1_3gpuE2ELNS1_3repE0EEENS1_30default_config_static_selectorELNS0_4arch9wavefront6targetE0EEEvSR_
	.p2align	8
	.type	_ZN7rocprim17ROCPRIM_400000_NS6detail17trampoline_kernelINS0_14default_configENS1_32segmented_reduce_config_selectorIN3c104HalfEEEZNS1_21segmented_reduce_implIS3_PKS6_PS6_PKiS6_N6hipcub16HIPCUB_304000_NS6detail27convert_result_type_wrapperISA_SB_N2at6native12_GLOBAL__N_19CustomMaxEEEEE10hipError_tPvRmT0_T1_jT2_SS_T4_T3_P12ihipStream_tbEUlT_E_NS1_11comp_targetILNS1_3genE8ELNS1_11target_archE1030ELNS1_3gpuE2ELNS1_3repE0EEENS1_30default_config_static_selectorELNS0_4arch9wavefront6targetE0EEEvSR_,@function
_ZN7rocprim17ROCPRIM_400000_NS6detail17trampoline_kernelINS0_14default_configENS1_32segmented_reduce_config_selectorIN3c104HalfEEEZNS1_21segmented_reduce_implIS3_PKS6_PS6_PKiS6_N6hipcub16HIPCUB_304000_NS6detail27convert_result_type_wrapperISA_SB_N2at6native12_GLOBAL__N_19CustomMaxEEEEE10hipError_tPvRmT0_T1_jT2_SS_T4_T3_P12ihipStream_tbEUlT_E_NS1_11comp_targetILNS1_3genE8ELNS1_11target_archE1030ELNS1_3gpuE2ELNS1_3repE0EEENS1_30default_config_static_selectorELNS0_4arch9wavefront6targetE0EEEvSR_: ; @_ZN7rocprim17ROCPRIM_400000_NS6detail17trampoline_kernelINS0_14default_configENS1_32segmented_reduce_config_selectorIN3c104HalfEEEZNS1_21segmented_reduce_implIS3_PKS6_PS6_PKiS6_N6hipcub16HIPCUB_304000_NS6detail27convert_result_type_wrapperISA_SB_N2at6native12_GLOBAL__N_19CustomMaxEEEEE10hipError_tPvRmT0_T1_jT2_SS_T4_T3_P12ihipStream_tbEUlT_E_NS1_11comp_targetILNS1_3genE8ELNS1_11target_archE1030ELNS1_3gpuE2ELNS1_3repE0EEENS1_30default_config_static_selectorELNS0_4arch9wavefront6targetE0EEEvSR_
; %bb.0:
	.section	.rodata,"a",@progbits
	.p2align	6, 0x0
	.amdhsa_kernel _ZN7rocprim17ROCPRIM_400000_NS6detail17trampoline_kernelINS0_14default_configENS1_32segmented_reduce_config_selectorIN3c104HalfEEEZNS1_21segmented_reduce_implIS3_PKS6_PS6_PKiS6_N6hipcub16HIPCUB_304000_NS6detail27convert_result_type_wrapperISA_SB_N2at6native12_GLOBAL__N_19CustomMaxEEEEE10hipError_tPvRmT0_T1_jT2_SS_T4_T3_P12ihipStream_tbEUlT_E_NS1_11comp_targetILNS1_3genE8ELNS1_11target_archE1030ELNS1_3gpuE2ELNS1_3repE0EEENS1_30default_config_static_selectorELNS0_4arch9wavefront6targetE0EEEvSR_
		.amdhsa_group_segment_fixed_size 0
		.amdhsa_private_segment_fixed_size 0
		.amdhsa_kernarg_size 48
		.amdhsa_user_sgpr_count 15
		.amdhsa_user_sgpr_dispatch_ptr 0
		.amdhsa_user_sgpr_queue_ptr 0
		.amdhsa_user_sgpr_kernarg_segment_ptr 1
		.amdhsa_user_sgpr_dispatch_id 0
		.amdhsa_user_sgpr_private_segment_size 0
		.amdhsa_wavefront_size32 1
		.amdhsa_uses_dynamic_stack 0
		.amdhsa_enable_private_segment 0
		.amdhsa_system_sgpr_workgroup_id_x 1
		.amdhsa_system_sgpr_workgroup_id_y 0
		.amdhsa_system_sgpr_workgroup_id_z 0
		.amdhsa_system_sgpr_workgroup_info 0
		.amdhsa_system_vgpr_workitem_id 0
		.amdhsa_next_free_vgpr 1
		.amdhsa_next_free_sgpr 1
		.amdhsa_reserve_vcc 0
		.amdhsa_float_round_mode_32 0
		.amdhsa_float_round_mode_16_64 0
		.amdhsa_float_denorm_mode_32 3
		.amdhsa_float_denorm_mode_16_64 3
		.amdhsa_dx10_clamp 1
		.amdhsa_ieee_mode 1
		.amdhsa_fp16_overflow 0
		.amdhsa_workgroup_processor_mode 1
		.amdhsa_memory_ordered 1
		.amdhsa_forward_progress 0
		.amdhsa_shared_vgpr_count 0
		.amdhsa_exception_fp_ieee_invalid_op 0
		.amdhsa_exception_fp_denorm_src 0
		.amdhsa_exception_fp_ieee_div_zero 0
		.amdhsa_exception_fp_ieee_overflow 0
		.amdhsa_exception_fp_ieee_underflow 0
		.amdhsa_exception_fp_ieee_inexact 0
		.amdhsa_exception_int_div_zero 0
	.end_amdhsa_kernel
	.section	.text._ZN7rocprim17ROCPRIM_400000_NS6detail17trampoline_kernelINS0_14default_configENS1_32segmented_reduce_config_selectorIN3c104HalfEEEZNS1_21segmented_reduce_implIS3_PKS6_PS6_PKiS6_N6hipcub16HIPCUB_304000_NS6detail27convert_result_type_wrapperISA_SB_N2at6native12_GLOBAL__N_19CustomMaxEEEEE10hipError_tPvRmT0_T1_jT2_SS_T4_T3_P12ihipStream_tbEUlT_E_NS1_11comp_targetILNS1_3genE8ELNS1_11target_archE1030ELNS1_3gpuE2ELNS1_3repE0EEENS1_30default_config_static_selectorELNS0_4arch9wavefront6targetE0EEEvSR_,"axG",@progbits,_ZN7rocprim17ROCPRIM_400000_NS6detail17trampoline_kernelINS0_14default_configENS1_32segmented_reduce_config_selectorIN3c104HalfEEEZNS1_21segmented_reduce_implIS3_PKS6_PS6_PKiS6_N6hipcub16HIPCUB_304000_NS6detail27convert_result_type_wrapperISA_SB_N2at6native12_GLOBAL__N_19CustomMaxEEEEE10hipError_tPvRmT0_T1_jT2_SS_T4_T3_P12ihipStream_tbEUlT_E_NS1_11comp_targetILNS1_3genE8ELNS1_11target_archE1030ELNS1_3gpuE2ELNS1_3repE0EEENS1_30default_config_static_selectorELNS0_4arch9wavefront6targetE0EEEvSR_,comdat
.Lfunc_end84:
	.size	_ZN7rocprim17ROCPRIM_400000_NS6detail17trampoline_kernelINS0_14default_configENS1_32segmented_reduce_config_selectorIN3c104HalfEEEZNS1_21segmented_reduce_implIS3_PKS6_PS6_PKiS6_N6hipcub16HIPCUB_304000_NS6detail27convert_result_type_wrapperISA_SB_N2at6native12_GLOBAL__N_19CustomMaxEEEEE10hipError_tPvRmT0_T1_jT2_SS_T4_T3_P12ihipStream_tbEUlT_E_NS1_11comp_targetILNS1_3genE8ELNS1_11target_archE1030ELNS1_3gpuE2ELNS1_3repE0EEENS1_30default_config_static_selectorELNS0_4arch9wavefront6targetE0EEEvSR_, .Lfunc_end84-_ZN7rocprim17ROCPRIM_400000_NS6detail17trampoline_kernelINS0_14default_configENS1_32segmented_reduce_config_selectorIN3c104HalfEEEZNS1_21segmented_reduce_implIS3_PKS6_PS6_PKiS6_N6hipcub16HIPCUB_304000_NS6detail27convert_result_type_wrapperISA_SB_N2at6native12_GLOBAL__N_19CustomMaxEEEEE10hipError_tPvRmT0_T1_jT2_SS_T4_T3_P12ihipStream_tbEUlT_E_NS1_11comp_targetILNS1_3genE8ELNS1_11target_archE1030ELNS1_3gpuE2ELNS1_3repE0EEENS1_30default_config_static_selectorELNS0_4arch9wavefront6targetE0EEEvSR_
                                        ; -- End function
	.section	.AMDGPU.csdata,"",@progbits
; Kernel info:
; codeLenInByte = 0
; NumSgprs: 0
; NumVgprs: 0
; ScratchSize: 0
; MemoryBound: 0
; FloatMode: 240
; IeeeMode: 1
; LDSByteSize: 0 bytes/workgroup (compile time only)
; SGPRBlocks: 0
; VGPRBlocks: 0
; NumSGPRsForWavesPerEU: 1
; NumVGPRsForWavesPerEU: 1
; Occupancy: 16
; WaveLimiterHint : 0
; COMPUTE_PGM_RSRC2:SCRATCH_EN: 0
; COMPUTE_PGM_RSRC2:USER_SGPR: 15
; COMPUTE_PGM_RSRC2:TRAP_HANDLER: 0
; COMPUTE_PGM_RSRC2:TGID_X_EN: 1
; COMPUTE_PGM_RSRC2:TGID_Y_EN: 0
; COMPUTE_PGM_RSRC2:TGID_Z_EN: 0
; COMPUTE_PGM_RSRC2:TIDIG_COMP_CNT: 0
	.section	.text._ZN7rocprim17ROCPRIM_400000_NS6detail17trampoline_kernelINS0_14default_configENS1_32segmented_reduce_config_selectorIN3c104HalfEEEZNS1_21segmented_reduce_implIS3_PKS6_PS6_PKiS6_N6hipcub16HIPCUB_304000_NS6detail27convert_result_type_wrapperISA_SB_N2at6native12_GLOBAL__N_19CustomSumEEEEE10hipError_tPvRmT0_T1_jT2_SS_T4_T3_P12ihipStream_tbEUlT_E_NS1_11comp_targetILNS1_3genE0ELNS1_11target_archE4294967295ELNS1_3gpuE0ELNS1_3repE0EEENS1_30default_config_static_selectorELNS0_4arch9wavefront6targetE0EEEvSR_,"axG",@progbits,_ZN7rocprim17ROCPRIM_400000_NS6detail17trampoline_kernelINS0_14default_configENS1_32segmented_reduce_config_selectorIN3c104HalfEEEZNS1_21segmented_reduce_implIS3_PKS6_PS6_PKiS6_N6hipcub16HIPCUB_304000_NS6detail27convert_result_type_wrapperISA_SB_N2at6native12_GLOBAL__N_19CustomSumEEEEE10hipError_tPvRmT0_T1_jT2_SS_T4_T3_P12ihipStream_tbEUlT_E_NS1_11comp_targetILNS1_3genE0ELNS1_11target_archE4294967295ELNS1_3gpuE0ELNS1_3repE0EEENS1_30default_config_static_selectorELNS0_4arch9wavefront6targetE0EEEvSR_,comdat
	.globl	_ZN7rocprim17ROCPRIM_400000_NS6detail17trampoline_kernelINS0_14default_configENS1_32segmented_reduce_config_selectorIN3c104HalfEEEZNS1_21segmented_reduce_implIS3_PKS6_PS6_PKiS6_N6hipcub16HIPCUB_304000_NS6detail27convert_result_type_wrapperISA_SB_N2at6native12_GLOBAL__N_19CustomSumEEEEE10hipError_tPvRmT0_T1_jT2_SS_T4_T3_P12ihipStream_tbEUlT_E_NS1_11comp_targetILNS1_3genE0ELNS1_11target_archE4294967295ELNS1_3gpuE0ELNS1_3repE0EEENS1_30default_config_static_selectorELNS0_4arch9wavefront6targetE0EEEvSR_ ; -- Begin function _ZN7rocprim17ROCPRIM_400000_NS6detail17trampoline_kernelINS0_14default_configENS1_32segmented_reduce_config_selectorIN3c104HalfEEEZNS1_21segmented_reduce_implIS3_PKS6_PS6_PKiS6_N6hipcub16HIPCUB_304000_NS6detail27convert_result_type_wrapperISA_SB_N2at6native12_GLOBAL__N_19CustomSumEEEEE10hipError_tPvRmT0_T1_jT2_SS_T4_T3_P12ihipStream_tbEUlT_E_NS1_11comp_targetILNS1_3genE0ELNS1_11target_archE4294967295ELNS1_3gpuE0ELNS1_3repE0EEENS1_30default_config_static_selectorELNS0_4arch9wavefront6targetE0EEEvSR_
	.p2align	8
	.type	_ZN7rocprim17ROCPRIM_400000_NS6detail17trampoline_kernelINS0_14default_configENS1_32segmented_reduce_config_selectorIN3c104HalfEEEZNS1_21segmented_reduce_implIS3_PKS6_PS6_PKiS6_N6hipcub16HIPCUB_304000_NS6detail27convert_result_type_wrapperISA_SB_N2at6native12_GLOBAL__N_19CustomSumEEEEE10hipError_tPvRmT0_T1_jT2_SS_T4_T3_P12ihipStream_tbEUlT_E_NS1_11comp_targetILNS1_3genE0ELNS1_11target_archE4294967295ELNS1_3gpuE0ELNS1_3repE0EEENS1_30default_config_static_selectorELNS0_4arch9wavefront6targetE0EEEvSR_,@function
_ZN7rocprim17ROCPRIM_400000_NS6detail17trampoline_kernelINS0_14default_configENS1_32segmented_reduce_config_selectorIN3c104HalfEEEZNS1_21segmented_reduce_implIS3_PKS6_PS6_PKiS6_N6hipcub16HIPCUB_304000_NS6detail27convert_result_type_wrapperISA_SB_N2at6native12_GLOBAL__N_19CustomSumEEEEE10hipError_tPvRmT0_T1_jT2_SS_T4_T3_P12ihipStream_tbEUlT_E_NS1_11comp_targetILNS1_3genE0ELNS1_11target_archE4294967295ELNS1_3gpuE0ELNS1_3repE0EEENS1_30default_config_static_selectorELNS0_4arch9wavefront6targetE0EEEvSR_: ; @_ZN7rocprim17ROCPRIM_400000_NS6detail17trampoline_kernelINS0_14default_configENS1_32segmented_reduce_config_selectorIN3c104HalfEEEZNS1_21segmented_reduce_implIS3_PKS6_PS6_PKiS6_N6hipcub16HIPCUB_304000_NS6detail27convert_result_type_wrapperISA_SB_N2at6native12_GLOBAL__N_19CustomSumEEEEE10hipError_tPvRmT0_T1_jT2_SS_T4_T3_P12ihipStream_tbEUlT_E_NS1_11comp_targetILNS1_3genE0ELNS1_11target_archE4294967295ELNS1_3gpuE0ELNS1_3repE0EEENS1_30default_config_static_selectorELNS0_4arch9wavefront6targetE0EEEvSR_
; %bb.0:
	.section	.rodata,"a",@progbits
	.p2align	6, 0x0
	.amdhsa_kernel _ZN7rocprim17ROCPRIM_400000_NS6detail17trampoline_kernelINS0_14default_configENS1_32segmented_reduce_config_selectorIN3c104HalfEEEZNS1_21segmented_reduce_implIS3_PKS6_PS6_PKiS6_N6hipcub16HIPCUB_304000_NS6detail27convert_result_type_wrapperISA_SB_N2at6native12_GLOBAL__N_19CustomSumEEEEE10hipError_tPvRmT0_T1_jT2_SS_T4_T3_P12ihipStream_tbEUlT_E_NS1_11comp_targetILNS1_3genE0ELNS1_11target_archE4294967295ELNS1_3gpuE0ELNS1_3repE0EEENS1_30default_config_static_selectorELNS0_4arch9wavefront6targetE0EEEvSR_
		.amdhsa_group_segment_fixed_size 0
		.amdhsa_private_segment_fixed_size 0
		.amdhsa_kernarg_size 48
		.amdhsa_user_sgpr_count 15
		.amdhsa_user_sgpr_dispatch_ptr 0
		.amdhsa_user_sgpr_queue_ptr 0
		.amdhsa_user_sgpr_kernarg_segment_ptr 1
		.amdhsa_user_sgpr_dispatch_id 0
		.amdhsa_user_sgpr_private_segment_size 0
		.amdhsa_wavefront_size32 1
		.amdhsa_uses_dynamic_stack 0
		.amdhsa_enable_private_segment 0
		.amdhsa_system_sgpr_workgroup_id_x 1
		.amdhsa_system_sgpr_workgroup_id_y 0
		.amdhsa_system_sgpr_workgroup_id_z 0
		.amdhsa_system_sgpr_workgroup_info 0
		.amdhsa_system_vgpr_workitem_id 0
		.amdhsa_next_free_vgpr 1
		.amdhsa_next_free_sgpr 1
		.amdhsa_reserve_vcc 0
		.amdhsa_float_round_mode_32 0
		.amdhsa_float_round_mode_16_64 0
		.amdhsa_float_denorm_mode_32 3
		.amdhsa_float_denorm_mode_16_64 3
		.amdhsa_dx10_clamp 1
		.amdhsa_ieee_mode 1
		.amdhsa_fp16_overflow 0
		.amdhsa_workgroup_processor_mode 1
		.amdhsa_memory_ordered 1
		.amdhsa_forward_progress 0
		.amdhsa_shared_vgpr_count 0
		.amdhsa_exception_fp_ieee_invalid_op 0
		.amdhsa_exception_fp_denorm_src 0
		.amdhsa_exception_fp_ieee_div_zero 0
		.amdhsa_exception_fp_ieee_overflow 0
		.amdhsa_exception_fp_ieee_underflow 0
		.amdhsa_exception_fp_ieee_inexact 0
		.amdhsa_exception_int_div_zero 0
	.end_amdhsa_kernel
	.section	.text._ZN7rocprim17ROCPRIM_400000_NS6detail17trampoline_kernelINS0_14default_configENS1_32segmented_reduce_config_selectorIN3c104HalfEEEZNS1_21segmented_reduce_implIS3_PKS6_PS6_PKiS6_N6hipcub16HIPCUB_304000_NS6detail27convert_result_type_wrapperISA_SB_N2at6native12_GLOBAL__N_19CustomSumEEEEE10hipError_tPvRmT0_T1_jT2_SS_T4_T3_P12ihipStream_tbEUlT_E_NS1_11comp_targetILNS1_3genE0ELNS1_11target_archE4294967295ELNS1_3gpuE0ELNS1_3repE0EEENS1_30default_config_static_selectorELNS0_4arch9wavefront6targetE0EEEvSR_,"axG",@progbits,_ZN7rocprim17ROCPRIM_400000_NS6detail17trampoline_kernelINS0_14default_configENS1_32segmented_reduce_config_selectorIN3c104HalfEEEZNS1_21segmented_reduce_implIS3_PKS6_PS6_PKiS6_N6hipcub16HIPCUB_304000_NS6detail27convert_result_type_wrapperISA_SB_N2at6native12_GLOBAL__N_19CustomSumEEEEE10hipError_tPvRmT0_T1_jT2_SS_T4_T3_P12ihipStream_tbEUlT_E_NS1_11comp_targetILNS1_3genE0ELNS1_11target_archE4294967295ELNS1_3gpuE0ELNS1_3repE0EEENS1_30default_config_static_selectorELNS0_4arch9wavefront6targetE0EEEvSR_,comdat
.Lfunc_end85:
	.size	_ZN7rocprim17ROCPRIM_400000_NS6detail17trampoline_kernelINS0_14default_configENS1_32segmented_reduce_config_selectorIN3c104HalfEEEZNS1_21segmented_reduce_implIS3_PKS6_PS6_PKiS6_N6hipcub16HIPCUB_304000_NS6detail27convert_result_type_wrapperISA_SB_N2at6native12_GLOBAL__N_19CustomSumEEEEE10hipError_tPvRmT0_T1_jT2_SS_T4_T3_P12ihipStream_tbEUlT_E_NS1_11comp_targetILNS1_3genE0ELNS1_11target_archE4294967295ELNS1_3gpuE0ELNS1_3repE0EEENS1_30default_config_static_selectorELNS0_4arch9wavefront6targetE0EEEvSR_, .Lfunc_end85-_ZN7rocprim17ROCPRIM_400000_NS6detail17trampoline_kernelINS0_14default_configENS1_32segmented_reduce_config_selectorIN3c104HalfEEEZNS1_21segmented_reduce_implIS3_PKS6_PS6_PKiS6_N6hipcub16HIPCUB_304000_NS6detail27convert_result_type_wrapperISA_SB_N2at6native12_GLOBAL__N_19CustomSumEEEEE10hipError_tPvRmT0_T1_jT2_SS_T4_T3_P12ihipStream_tbEUlT_E_NS1_11comp_targetILNS1_3genE0ELNS1_11target_archE4294967295ELNS1_3gpuE0ELNS1_3repE0EEENS1_30default_config_static_selectorELNS0_4arch9wavefront6targetE0EEEvSR_
                                        ; -- End function
	.section	.AMDGPU.csdata,"",@progbits
; Kernel info:
; codeLenInByte = 0
; NumSgprs: 0
; NumVgprs: 0
; ScratchSize: 0
; MemoryBound: 0
; FloatMode: 240
; IeeeMode: 1
; LDSByteSize: 0 bytes/workgroup (compile time only)
; SGPRBlocks: 0
; VGPRBlocks: 0
; NumSGPRsForWavesPerEU: 1
; NumVGPRsForWavesPerEU: 1
; Occupancy: 16
; WaveLimiterHint : 0
; COMPUTE_PGM_RSRC2:SCRATCH_EN: 0
; COMPUTE_PGM_RSRC2:USER_SGPR: 15
; COMPUTE_PGM_RSRC2:TRAP_HANDLER: 0
; COMPUTE_PGM_RSRC2:TGID_X_EN: 1
; COMPUTE_PGM_RSRC2:TGID_Y_EN: 0
; COMPUTE_PGM_RSRC2:TGID_Z_EN: 0
; COMPUTE_PGM_RSRC2:TIDIG_COMP_CNT: 0
	.section	.text._ZN7rocprim17ROCPRIM_400000_NS6detail17trampoline_kernelINS0_14default_configENS1_32segmented_reduce_config_selectorIN3c104HalfEEEZNS1_21segmented_reduce_implIS3_PKS6_PS6_PKiS6_N6hipcub16HIPCUB_304000_NS6detail27convert_result_type_wrapperISA_SB_N2at6native12_GLOBAL__N_19CustomSumEEEEE10hipError_tPvRmT0_T1_jT2_SS_T4_T3_P12ihipStream_tbEUlT_E_NS1_11comp_targetILNS1_3genE5ELNS1_11target_archE942ELNS1_3gpuE9ELNS1_3repE0EEENS1_30default_config_static_selectorELNS0_4arch9wavefront6targetE0EEEvSR_,"axG",@progbits,_ZN7rocprim17ROCPRIM_400000_NS6detail17trampoline_kernelINS0_14default_configENS1_32segmented_reduce_config_selectorIN3c104HalfEEEZNS1_21segmented_reduce_implIS3_PKS6_PS6_PKiS6_N6hipcub16HIPCUB_304000_NS6detail27convert_result_type_wrapperISA_SB_N2at6native12_GLOBAL__N_19CustomSumEEEEE10hipError_tPvRmT0_T1_jT2_SS_T4_T3_P12ihipStream_tbEUlT_E_NS1_11comp_targetILNS1_3genE5ELNS1_11target_archE942ELNS1_3gpuE9ELNS1_3repE0EEENS1_30default_config_static_selectorELNS0_4arch9wavefront6targetE0EEEvSR_,comdat
	.globl	_ZN7rocprim17ROCPRIM_400000_NS6detail17trampoline_kernelINS0_14default_configENS1_32segmented_reduce_config_selectorIN3c104HalfEEEZNS1_21segmented_reduce_implIS3_PKS6_PS6_PKiS6_N6hipcub16HIPCUB_304000_NS6detail27convert_result_type_wrapperISA_SB_N2at6native12_GLOBAL__N_19CustomSumEEEEE10hipError_tPvRmT0_T1_jT2_SS_T4_T3_P12ihipStream_tbEUlT_E_NS1_11comp_targetILNS1_3genE5ELNS1_11target_archE942ELNS1_3gpuE9ELNS1_3repE0EEENS1_30default_config_static_selectorELNS0_4arch9wavefront6targetE0EEEvSR_ ; -- Begin function _ZN7rocprim17ROCPRIM_400000_NS6detail17trampoline_kernelINS0_14default_configENS1_32segmented_reduce_config_selectorIN3c104HalfEEEZNS1_21segmented_reduce_implIS3_PKS6_PS6_PKiS6_N6hipcub16HIPCUB_304000_NS6detail27convert_result_type_wrapperISA_SB_N2at6native12_GLOBAL__N_19CustomSumEEEEE10hipError_tPvRmT0_T1_jT2_SS_T4_T3_P12ihipStream_tbEUlT_E_NS1_11comp_targetILNS1_3genE5ELNS1_11target_archE942ELNS1_3gpuE9ELNS1_3repE0EEENS1_30default_config_static_selectorELNS0_4arch9wavefront6targetE0EEEvSR_
	.p2align	8
	.type	_ZN7rocprim17ROCPRIM_400000_NS6detail17trampoline_kernelINS0_14default_configENS1_32segmented_reduce_config_selectorIN3c104HalfEEEZNS1_21segmented_reduce_implIS3_PKS6_PS6_PKiS6_N6hipcub16HIPCUB_304000_NS6detail27convert_result_type_wrapperISA_SB_N2at6native12_GLOBAL__N_19CustomSumEEEEE10hipError_tPvRmT0_T1_jT2_SS_T4_T3_P12ihipStream_tbEUlT_E_NS1_11comp_targetILNS1_3genE5ELNS1_11target_archE942ELNS1_3gpuE9ELNS1_3repE0EEENS1_30default_config_static_selectorELNS0_4arch9wavefront6targetE0EEEvSR_,@function
_ZN7rocprim17ROCPRIM_400000_NS6detail17trampoline_kernelINS0_14default_configENS1_32segmented_reduce_config_selectorIN3c104HalfEEEZNS1_21segmented_reduce_implIS3_PKS6_PS6_PKiS6_N6hipcub16HIPCUB_304000_NS6detail27convert_result_type_wrapperISA_SB_N2at6native12_GLOBAL__N_19CustomSumEEEEE10hipError_tPvRmT0_T1_jT2_SS_T4_T3_P12ihipStream_tbEUlT_E_NS1_11comp_targetILNS1_3genE5ELNS1_11target_archE942ELNS1_3gpuE9ELNS1_3repE0EEENS1_30default_config_static_selectorELNS0_4arch9wavefront6targetE0EEEvSR_: ; @_ZN7rocprim17ROCPRIM_400000_NS6detail17trampoline_kernelINS0_14default_configENS1_32segmented_reduce_config_selectorIN3c104HalfEEEZNS1_21segmented_reduce_implIS3_PKS6_PS6_PKiS6_N6hipcub16HIPCUB_304000_NS6detail27convert_result_type_wrapperISA_SB_N2at6native12_GLOBAL__N_19CustomSumEEEEE10hipError_tPvRmT0_T1_jT2_SS_T4_T3_P12ihipStream_tbEUlT_E_NS1_11comp_targetILNS1_3genE5ELNS1_11target_archE942ELNS1_3gpuE9ELNS1_3repE0EEENS1_30default_config_static_selectorELNS0_4arch9wavefront6targetE0EEEvSR_
; %bb.0:
	.section	.rodata,"a",@progbits
	.p2align	6, 0x0
	.amdhsa_kernel _ZN7rocprim17ROCPRIM_400000_NS6detail17trampoline_kernelINS0_14default_configENS1_32segmented_reduce_config_selectorIN3c104HalfEEEZNS1_21segmented_reduce_implIS3_PKS6_PS6_PKiS6_N6hipcub16HIPCUB_304000_NS6detail27convert_result_type_wrapperISA_SB_N2at6native12_GLOBAL__N_19CustomSumEEEEE10hipError_tPvRmT0_T1_jT2_SS_T4_T3_P12ihipStream_tbEUlT_E_NS1_11comp_targetILNS1_3genE5ELNS1_11target_archE942ELNS1_3gpuE9ELNS1_3repE0EEENS1_30default_config_static_selectorELNS0_4arch9wavefront6targetE0EEEvSR_
		.amdhsa_group_segment_fixed_size 0
		.amdhsa_private_segment_fixed_size 0
		.amdhsa_kernarg_size 48
		.amdhsa_user_sgpr_count 15
		.amdhsa_user_sgpr_dispatch_ptr 0
		.amdhsa_user_sgpr_queue_ptr 0
		.amdhsa_user_sgpr_kernarg_segment_ptr 1
		.amdhsa_user_sgpr_dispatch_id 0
		.amdhsa_user_sgpr_private_segment_size 0
		.amdhsa_wavefront_size32 1
		.amdhsa_uses_dynamic_stack 0
		.amdhsa_enable_private_segment 0
		.amdhsa_system_sgpr_workgroup_id_x 1
		.amdhsa_system_sgpr_workgroup_id_y 0
		.amdhsa_system_sgpr_workgroup_id_z 0
		.amdhsa_system_sgpr_workgroup_info 0
		.amdhsa_system_vgpr_workitem_id 0
		.amdhsa_next_free_vgpr 1
		.amdhsa_next_free_sgpr 1
		.amdhsa_reserve_vcc 0
		.amdhsa_float_round_mode_32 0
		.amdhsa_float_round_mode_16_64 0
		.amdhsa_float_denorm_mode_32 3
		.amdhsa_float_denorm_mode_16_64 3
		.amdhsa_dx10_clamp 1
		.amdhsa_ieee_mode 1
		.amdhsa_fp16_overflow 0
		.amdhsa_workgroup_processor_mode 1
		.amdhsa_memory_ordered 1
		.amdhsa_forward_progress 0
		.amdhsa_shared_vgpr_count 0
		.amdhsa_exception_fp_ieee_invalid_op 0
		.amdhsa_exception_fp_denorm_src 0
		.amdhsa_exception_fp_ieee_div_zero 0
		.amdhsa_exception_fp_ieee_overflow 0
		.amdhsa_exception_fp_ieee_underflow 0
		.amdhsa_exception_fp_ieee_inexact 0
		.amdhsa_exception_int_div_zero 0
	.end_amdhsa_kernel
	.section	.text._ZN7rocprim17ROCPRIM_400000_NS6detail17trampoline_kernelINS0_14default_configENS1_32segmented_reduce_config_selectorIN3c104HalfEEEZNS1_21segmented_reduce_implIS3_PKS6_PS6_PKiS6_N6hipcub16HIPCUB_304000_NS6detail27convert_result_type_wrapperISA_SB_N2at6native12_GLOBAL__N_19CustomSumEEEEE10hipError_tPvRmT0_T1_jT2_SS_T4_T3_P12ihipStream_tbEUlT_E_NS1_11comp_targetILNS1_3genE5ELNS1_11target_archE942ELNS1_3gpuE9ELNS1_3repE0EEENS1_30default_config_static_selectorELNS0_4arch9wavefront6targetE0EEEvSR_,"axG",@progbits,_ZN7rocprim17ROCPRIM_400000_NS6detail17trampoline_kernelINS0_14default_configENS1_32segmented_reduce_config_selectorIN3c104HalfEEEZNS1_21segmented_reduce_implIS3_PKS6_PS6_PKiS6_N6hipcub16HIPCUB_304000_NS6detail27convert_result_type_wrapperISA_SB_N2at6native12_GLOBAL__N_19CustomSumEEEEE10hipError_tPvRmT0_T1_jT2_SS_T4_T3_P12ihipStream_tbEUlT_E_NS1_11comp_targetILNS1_3genE5ELNS1_11target_archE942ELNS1_3gpuE9ELNS1_3repE0EEENS1_30default_config_static_selectorELNS0_4arch9wavefront6targetE0EEEvSR_,comdat
.Lfunc_end86:
	.size	_ZN7rocprim17ROCPRIM_400000_NS6detail17trampoline_kernelINS0_14default_configENS1_32segmented_reduce_config_selectorIN3c104HalfEEEZNS1_21segmented_reduce_implIS3_PKS6_PS6_PKiS6_N6hipcub16HIPCUB_304000_NS6detail27convert_result_type_wrapperISA_SB_N2at6native12_GLOBAL__N_19CustomSumEEEEE10hipError_tPvRmT0_T1_jT2_SS_T4_T3_P12ihipStream_tbEUlT_E_NS1_11comp_targetILNS1_3genE5ELNS1_11target_archE942ELNS1_3gpuE9ELNS1_3repE0EEENS1_30default_config_static_selectorELNS0_4arch9wavefront6targetE0EEEvSR_, .Lfunc_end86-_ZN7rocprim17ROCPRIM_400000_NS6detail17trampoline_kernelINS0_14default_configENS1_32segmented_reduce_config_selectorIN3c104HalfEEEZNS1_21segmented_reduce_implIS3_PKS6_PS6_PKiS6_N6hipcub16HIPCUB_304000_NS6detail27convert_result_type_wrapperISA_SB_N2at6native12_GLOBAL__N_19CustomSumEEEEE10hipError_tPvRmT0_T1_jT2_SS_T4_T3_P12ihipStream_tbEUlT_E_NS1_11comp_targetILNS1_3genE5ELNS1_11target_archE942ELNS1_3gpuE9ELNS1_3repE0EEENS1_30default_config_static_selectorELNS0_4arch9wavefront6targetE0EEEvSR_
                                        ; -- End function
	.section	.AMDGPU.csdata,"",@progbits
; Kernel info:
; codeLenInByte = 0
; NumSgprs: 0
; NumVgprs: 0
; ScratchSize: 0
; MemoryBound: 0
; FloatMode: 240
; IeeeMode: 1
; LDSByteSize: 0 bytes/workgroup (compile time only)
; SGPRBlocks: 0
; VGPRBlocks: 0
; NumSGPRsForWavesPerEU: 1
; NumVGPRsForWavesPerEU: 1
; Occupancy: 16
; WaveLimiterHint : 0
; COMPUTE_PGM_RSRC2:SCRATCH_EN: 0
; COMPUTE_PGM_RSRC2:USER_SGPR: 15
; COMPUTE_PGM_RSRC2:TRAP_HANDLER: 0
; COMPUTE_PGM_RSRC2:TGID_X_EN: 1
; COMPUTE_PGM_RSRC2:TGID_Y_EN: 0
; COMPUTE_PGM_RSRC2:TGID_Z_EN: 0
; COMPUTE_PGM_RSRC2:TIDIG_COMP_CNT: 0
	.section	.text._ZN7rocprim17ROCPRIM_400000_NS6detail17trampoline_kernelINS0_14default_configENS1_32segmented_reduce_config_selectorIN3c104HalfEEEZNS1_21segmented_reduce_implIS3_PKS6_PS6_PKiS6_N6hipcub16HIPCUB_304000_NS6detail27convert_result_type_wrapperISA_SB_N2at6native12_GLOBAL__N_19CustomSumEEEEE10hipError_tPvRmT0_T1_jT2_SS_T4_T3_P12ihipStream_tbEUlT_E_NS1_11comp_targetILNS1_3genE10ELNS1_11target_archE1201ELNS1_3gpuE5ELNS1_3repE0EEENS1_30default_config_static_selectorELNS0_4arch9wavefront6targetE0EEEvSR_,"axG",@progbits,_ZN7rocprim17ROCPRIM_400000_NS6detail17trampoline_kernelINS0_14default_configENS1_32segmented_reduce_config_selectorIN3c104HalfEEEZNS1_21segmented_reduce_implIS3_PKS6_PS6_PKiS6_N6hipcub16HIPCUB_304000_NS6detail27convert_result_type_wrapperISA_SB_N2at6native12_GLOBAL__N_19CustomSumEEEEE10hipError_tPvRmT0_T1_jT2_SS_T4_T3_P12ihipStream_tbEUlT_E_NS1_11comp_targetILNS1_3genE10ELNS1_11target_archE1201ELNS1_3gpuE5ELNS1_3repE0EEENS1_30default_config_static_selectorELNS0_4arch9wavefront6targetE0EEEvSR_,comdat
	.globl	_ZN7rocprim17ROCPRIM_400000_NS6detail17trampoline_kernelINS0_14default_configENS1_32segmented_reduce_config_selectorIN3c104HalfEEEZNS1_21segmented_reduce_implIS3_PKS6_PS6_PKiS6_N6hipcub16HIPCUB_304000_NS6detail27convert_result_type_wrapperISA_SB_N2at6native12_GLOBAL__N_19CustomSumEEEEE10hipError_tPvRmT0_T1_jT2_SS_T4_T3_P12ihipStream_tbEUlT_E_NS1_11comp_targetILNS1_3genE10ELNS1_11target_archE1201ELNS1_3gpuE5ELNS1_3repE0EEENS1_30default_config_static_selectorELNS0_4arch9wavefront6targetE0EEEvSR_ ; -- Begin function _ZN7rocprim17ROCPRIM_400000_NS6detail17trampoline_kernelINS0_14default_configENS1_32segmented_reduce_config_selectorIN3c104HalfEEEZNS1_21segmented_reduce_implIS3_PKS6_PS6_PKiS6_N6hipcub16HIPCUB_304000_NS6detail27convert_result_type_wrapperISA_SB_N2at6native12_GLOBAL__N_19CustomSumEEEEE10hipError_tPvRmT0_T1_jT2_SS_T4_T3_P12ihipStream_tbEUlT_E_NS1_11comp_targetILNS1_3genE10ELNS1_11target_archE1201ELNS1_3gpuE5ELNS1_3repE0EEENS1_30default_config_static_selectorELNS0_4arch9wavefront6targetE0EEEvSR_
	.p2align	8
	.type	_ZN7rocprim17ROCPRIM_400000_NS6detail17trampoline_kernelINS0_14default_configENS1_32segmented_reduce_config_selectorIN3c104HalfEEEZNS1_21segmented_reduce_implIS3_PKS6_PS6_PKiS6_N6hipcub16HIPCUB_304000_NS6detail27convert_result_type_wrapperISA_SB_N2at6native12_GLOBAL__N_19CustomSumEEEEE10hipError_tPvRmT0_T1_jT2_SS_T4_T3_P12ihipStream_tbEUlT_E_NS1_11comp_targetILNS1_3genE10ELNS1_11target_archE1201ELNS1_3gpuE5ELNS1_3repE0EEENS1_30default_config_static_selectorELNS0_4arch9wavefront6targetE0EEEvSR_,@function
_ZN7rocprim17ROCPRIM_400000_NS6detail17trampoline_kernelINS0_14default_configENS1_32segmented_reduce_config_selectorIN3c104HalfEEEZNS1_21segmented_reduce_implIS3_PKS6_PS6_PKiS6_N6hipcub16HIPCUB_304000_NS6detail27convert_result_type_wrapperISA_SB_N2at6native12_GLOBAL__N_19CustomSumEEEEE10hipError_tPvRmT0_T1_jT2_SS_T4_T3_P12ihipStream_tbEUlT_E_NS1_11comp_targetILNS1_3genE10ELNS1_11target_archE1201ELNS1_3gpuE5ELNS1_3repE0EEENS1_30default_config_static_selectorELNS0_4arch9wavefront6targetE0EEEvSR_: ; @_ZN7rocprim17ROCPRIM_400000_NS6detail17trampoline_kernelINS0_14default_configENS1_32segmented_reduce_config_selectorIN3c104HalfEEEZNS1_21segmented_reduce_implIS3_PKS6_PS6_PKiS6_N6hipcub16HIPCUB_304000_NS6detail27convert_result_type_wrapperISA_SB_N2at6native12_GLOBAL__N_19CustomSumEEEEE10hipError_tPvRmT0_T1_jT2_SS_T4_T3_P12ihipStream_tbEUlT_E_NS1_11comp_targetILNS1_3genE10ELNS1_11target_archE1201ELNS1_3gpuE5ELNS1_3repE0EEENS1_30default_config_static_selectorELNS0_4arch9wavefront6targetE0EEEvSR_
; %bb.0:
	.section	.rodata,"a",@progbits
	.p2align	6, 0x0
	.amdhsa_kernel _ZN7rocprim17ROCPRIM_400000_NS6detail17trampoline_kernelINS0_14default_configENS1_32segmented_reduce_config_selectorIN3c104HalfEEEZNS1_21segmented_reduce_implIS3_PKS6_PS6_PKiS6_N6hipcub16HIPCUB_304000_NS6detail27convert_result_type_wrapperISA_SB_N2at6native12_GLOBAL__N_19CustomSumEEEEE10hipError_tPvRmT0_T1_jT2_SS_T4_T3_P12ihipStream_tbEUlT_E_NS1_11comp_targetILNS1_3genE10ELNS1_11target_archE1201ELNS1_3gpuE5ELNS1_3repE0EEENS1_30default_config_static_selectorELNS0_4arch9wavefront6targetE0EEEvSR_
		.amdhsa_group_segment_fixed_size 0
		.amdhsa_private_segment_fixed_size 0
		.amdhsa_kernarg_size 48
		.amdhsa_user_sgpr_count 15
		.amdhsa_user_sgpr_dispatch_ptr 0
		.amdhsa_user_sgpr_queue_ptr 0
		.amdhsa_user_sgpr_kernarg_segment_ptr 1
		.amdhsa_user_sgpr_dispatch_id 0
		.amdhsa_user_sgpr_private_segment_size 0
		.amdhsa_wavefront_size32 1
		.amdhsa_uses_dynamic_stack 0
		.amdhsa_enable_private_segment 0
		.amdhsa_system_sgpr_workgroup_id_x 1
		.amdhsa_system_sgpr_workgroup_id_y 0
		.amdhsa_system_sgpr_workgroup_id_z 0
		.amdhsa_system_sgpr_workgroup_info 0
		.amdhsa_system_vgpr_workitem_id 0
		.amdhsa_next_free_vgpr 1
		.amdhsa_next_free_sgpr 1
		.amdhsa_reserve_vcc 0
		.amdhsa_float_round_mode_32 0
		.amdhsa_float_round_mode_16_64 0
		.amdhsa_float_denorm_mode_32 3
		.amdhsa_float_denorm_mode_16_64 3
		.amdhsa_dx10_clamp 1
		.amdhsa_ieee_mode 1
		.amdhsa_fp16_overflow 0
		.amdhsa_workgroup_processor_mode 1
		.amdhsa_memory_ordered 1
		.amdhsa_forward_progress 0
		.amdhsa_shared_vgpr_count 0
		.amdhsa_exception_fp_ieee_invalid_op 0
		.amdhsa_exception_fp_denorm_src 0
		.amdhsa_exception_fp_ieee_div_zero 0
		.amdhsa_exception_fp_ieee_overflow 0
		.amdhsa_exception_fp_ieee_underflow 0
		.amdhsa_exception_fp_ieee_inexact 0
		.amdhsa_exception_int_div_zero 0
	.end_amdhsa_kernel
	.section	.text._ZN7rocprim17ROCPRIM_400000_NS6detail17trampoline_kernelINS0_14default_configENS1_32segmented_reduce_config_selectorIN3c104HalfEEEZNS1_21segmented_reduce_implIS3_PKS6_PS6_PKiS6_N6hipcub16HIPCUB_304000_NS6detail27convert_result_type_wrapperISA_SB_N2at6native12_GLOBAL__N_19CustomSumEEEEE10hipError_tPvRmT0_T1_jT2_SS_T4_T3_P12ihipStream_tbEUlT_E_NS1_11comp_targetILNS1_3genE10ELNS1_11target_archE1201ELNS1_3gpuE5ELNS1_3repE0EEENS1_30default_config_static_selectorELNS0_4arch9wavefront6targetE0EEEvSR_,"axG",@progbits,_ZN7rocprim17ROCPRIM_400000_NS6detail17trampoline_kernelINS0_14default_configENS1_32segmented_reduce_config_selectorIN3c104HalfEEEZNS1_21segmented_reduce_implIS3_PKS6_PS6_PKiS6_N6hipcub16HIPCUB_304000_NS6detail27convert_result_type_wrapperISA_SB_N2at6native12_GLOBAL__N_19CustomSumEEEEE10hipError_tPvRmT0_T1_jT2_SS_T4_T3_P12ihipStream_tbEUlT_E_NS1_11comp_targetILNS1_3genE10ELNS1_11target_archE1201ELNS1_3gpuE5ELNS1_3repE0EEENS1_30default_config_static_selectorELNS0_4arch9wavefront6targetE0EEEvSR_,comdat
.Lfunc_end87:
	.size	_ZN7rocprim17ROCPRIM_400000_NS6detail17trampoline_kernelINS0_14default_configENS1_32segmented_reduce_config_selectorIN3c104HalfEEEZNS1_21segmented_reduce_implIS3_PKS6_PS6_PKiS6_N6hipcub16HIPCUB_304000_NS6detail27convert_result_type_wrapperISA_SB_N2at6native12_GLOBAL__N_19CustomSumEEEEE10hipError_tPvRmT0_T1_jT2_SS_T4_T3_P12ihipStream_tbEUlT_E_NS1_11comp_targetILNS1_3genE10ELNS1_11target_archE1201ELNS1_3gpuE5ELNS1_3repE0EEENS1_30default_config_static_selectorELNS0_4arch9wavefront6targetE0EEEvSR_, .Lfunc_end87-_ZN7rocprim17ROCPRIM_400000_NS6detail17trampoline_kernelINS0_14default_configENS1_32segmented_reduce_config_selectorIN3c104HalfEEEZNS1_21segmented_reduce_implIS3_PKS6_PS6_PKiS6_N6hipcub16HIPCUB_304000_NS6detail27convert_result_type_wrapperISA_SB_N2at6native12_GLOBAL__N_19CustomSumEEEEE10hipError_tPvRmT0_T1_jT2_SS_T4_T3_P12ihipStream_tbEUlT_E_NS1_11comp_targetILNS1_3genE10ELNS1_11target_archE1201ELNS1_3gpuE5ELNS1_3repE0EEENS1_30default_config_static_selectorELNS0_4arch9wavefront6targetE0EEEvSR_
                                        ; -- End function
	.section	.AMDGPU.csdata,"",@progbits
; Kernel info:
; codeLenInByte = 0
; NumSgprs: 0
; NumVgprs: 0
; ScratchSize: 0
; MemoryBound: 0
; FloatMode: 240
; IeeeMode: 1
; LDSByteSize: 0 bytes/workgroup (compile time only)
; SGPRBlocks: 0
; VGPRBlocks: 0
; NumSGPRsForWavesPerEU: 1
; NumVGPRsForWavesPerEU: 1
; Occupancy: 16
; WaveLimiterHint : 0
; COMPUTE_PGM_RSRC2:SCRATCH_EN: 0
; COMPUTE_PGM_RSRC2:USER_SGPR: 15
; COMPUTE_PGM_RSRC2:TRAP_HANDLER: 0
; COMPUTE_PGM_RSRC2:TGID_X_EN: 1
; COMPUTE_PGM_RSRC2:TGID_Y_EN: 0
; COMPUTE_PGM_RSRC2:TGID_Z_EN: 0
; COMPUTE_PGM_RSRC2:TIDIG_COMP_CNT: 0
	.section	.text._ZN7rocprim17ROCPRIM_400000_NS6detail17trampoline_kernelINS0_14default_configENS1_32segmented_reduce_config_selectorIN3c104HalfEEEZNS1_21segmented_reduce_implIS3_PKS6_PS6_PKiS6_N6hipcub16HIPCUB_304000_NS6detail27convert_result_type_wrapperISA_SB_N2at6native12_GLOBAL__N_19CustomSumEEEEE10hipError_tPvRmT0_T1_jT2_SS_T4_T3_P12ihipStream_tbEUlT_E_NS1_11comp_targetILNS1_3genE4ELNS1_11target_archE910ELNS1_3gpuE8ELNS1_3repE0EEENS1_30default_config_static_selectorELNS0_4arch9wavefront6targetE0EEEvSR_,"axG",@progbits,_ZN7rocprim17ROCPRIM_400000_NS6detail17trampoline_kernelINS0_14default_configENS1_32segmented_reduce_config_selectorIN3c104HalfEEEZNS1_21segmented_reduce_implIS3_PKS6_PS6_PKiS6_N6hipcub16HIPCUB_304000_NS6detail27convert_result_type_wrapperISA_SB_N2at6native12_GLOBAL__N_19CustomSumEEEEE10hipError_tPvRmT0_T1_jT2_SS_T4_T3_P12ihipStream_tbEUlT_E_NS1_11comp_targetILNS1_3genE4ELNS1_11target_archE910ELNS1_3gpuE8ELNS1_3repE0EEENS1_30default_config_static_selectorELNS0_4arch9wavefront6targetE0EEEvSR_,comdat
	.globl	_ZN7rocprim17ROCPRIM_400000_NS6detail17trampoline_kernelINS0_14default_configENS1_32segmented_reduce_config_selectorIN3c104HalfEEEZNS1_21segmented_reduce_implIS3_PKS6_PS6_PKiS6_N6hipcub16HIPCUB_304000_NS6detail27convert_result_type_wrapperISA_SB_N2at6native12_GLOBAL__N_19CustomSumEEEEE10hipError_tPvRmT0_T1_jT2_SS_T4_T3_P12ihipStream_tbEUlT_E_NS1_11comp_targetILNS1_3genE4ELNS1_11target_archE910ELNS1_3gpuE8ELNS1_3repE0EEENS1_30default_config_static_selectorELNS0_4arch9wavefront6targetE0EEEvSR_ ; -- Begin function _ZN7rocprim17ROCPRIM_400000_NS6detail17trampoline_kernelINS0_14default_configENS1_32segmented_reduce_config_selectorIN3c104HalfEEEZNS1_21segmented_reduce_implIS3_PKS6_PS6_PKiS6_N6hipcub16HIPCUB_304000_NS6detail27convert_result_type_wrapperISA_SB_N2at6native12_GLOBAL__N_19CustomSumEEEEE10hipError_tPvRmT0_T1_jT2_SS_T4_T3_P12ihipStream_tbEUlT_E_NS1_11comp_targetILNS1_3genE4ELNS1_11target_archE910ELNS1_3gpuE8ELNS1_3repE0EEENS1_30default_config_static_selectorELNS0_4arch9wavefront6targetE0EEEvSR_
	.p2align	8
	.type	_ZN7rocprim17ROCPRIM_400000_NS6detail17trampoline_kernelINS0_14default_configENS1_32segmented_reduce_config_selectorIN3c104HalfEEEZNS1_21segmented_reduce_implIS3_PKS6_PS6_PKiS6_N6hipcub16HIPCUB_304000_NS6detail27convert_result_type_wrapperISA_SB_N2at6native12_GLOBAL__N_19CustomSumEEEEE10hipError_tPvRmT0_T1_jT2_SS_T4_T3_P12ihipStream_tbEUlT_E_NS1_11comp_targetILNS1_3genE4ELNS1_11target_archE910ELNS1_3gpuE8ELNS1_3repE0EEENS1_30default_config_static_selectorELNS0_4arch9wavefront6targetE0EEEvSR_,@function
_ZN7rocprim17ROCPRIM_400000_NS6detail17trampoline_kernelINS0_14default_configENS1_32segmented_reduce_config_selectorIN3c104HalfEEEZNS1_21segmented_reduce_implIS3_PKS6_PS6_PKiS6_N6hipcub16HIPCUB_304000_NS6detail27convert_result_type_wrapperISA_SB_N2at6native12_GLOBAL__N_19CustomSumEEEEE10hipError_tPvRmT0_T1_jT2_SS_T4_T3_P12ihipStream_tbEUlT_E_NS1_11comp_targetILNS1_3genE4ELNS1_11target_archE910ELNS1_3gpuE8ELNS1_3repE0EEENS1_30default_config_static_selectorELNS0_4arch9wavefront6targetE0EEEvSR_: ; @_ZN7rocprim17ROCPRIM_400000_NS6detail17trampoline_kernelINS0_14default_configENS1_32segmented_reduce_config_selectorIN3c104HalfEEEZNS1_21segmented_reduce_implIS3_PKS6_PS6_PKiS6_N6hipcub16HIPCUB_304000_NS6detail27convert_result_type_wrapperISA_SB_N2at6native12_GLOBAL__N_19CustomSumEEEEE10hipError_tPvRmT0_T1_jT2_SS_T4_T3_P12ihipStream_tbEUlT_E_NS1_11comp_targetILNS1_3genE4ELNS1_11target_archE910ELNS1_3gpuE8ELNS1_3repE0EEENS1_30default_config_static_selectorELNS0_4arch9wavefront6targetE0EEEvSR_
; %bb.0:
	.section	.rodata,"a",@progbits
	.p2align	6, 0x0
	.amdhsa_kernel _ZN7rocprim17ROCPRIM_400000_NS6detail17trampoline_kernelINS0_14default_configENS1_32segmented_reduce_config_selectorIN3c104HalfEEEZNS1_21segmented_reduce_implIS3_PKS6_PS6_PKiS6_N6hipcub16HIPCUB_304000_NS6detail27convert_result_type_wrapperISA_SB_N2at6native12_GLOBAL__N_19CustomSumEEEEE10hipError_tPvRmT0_T1_jT2_SS_T4_T3_P12ihipStream_tbEUlT_E_NS1_11comp_targetILNS1_3genE4ELNS1_11target_archE910ELNS1_3gpuE8ELNS1_3repE0EEENS1_30default_config_static_selectorELNS0_4arch9wavefront6targetE0EEEvSR_
		.amdhsa_group_segment_fixed_size 0
		.amdhsa_private_segment_fixed_size 0
		.amdhsa_kernarg_size 48
		.amdhsa_user_sgpr_count 15
		.amdhsa_user_sgpr_dispatch_ptr 0
		.amdhsa_user_sgpr_queue_ptr 0
		.amdhsa_user_sgpr_kernarg_segment_ptr 1
		.amdhsa_user_sgpr_dispatch_id 0
		.amdhsa_user_sgpr_private_segment_size 0
		.amdhsa_wavefront_size32 1
		.amdhsa_uses_dynamic_stack 0
		.amdhsa_enable_private_segment 0
		.amdhsa_system_sgpr_workgroup_id_x 1
		.amdhsa_system_sgpr_workgroup_id_y 0
		.amdhsa_system_sgpr_workgroup_id_z 0
		.amdhsa_system_sgpr_workgroup_info 0
		.amdhsa_system_vgpr_workitem_id 0
		.amdhsa_next_free_vgpr 1
		.amdhsa_next_free_sgpr 1
		.amdhsa_reserve_vcc 0
		.amdhsa_float_round_mode_32 0
		.amdhsa_float_round_mode_16_64 0
		.amdhsa_float_denorm_mode_32 3
		.amdhsa_float_denorm_mode_16_64 3
		.amdhsa_dx10_clamp 1
		.amdhsa_ieee_mode 1
		.amdhsa_fp16_overflow 0
		.amdhsa_workgroup_processor_mode 1
		.amdhsa_memory_ordered 1
		.amdhsa_forward_progress 0
		.amdhsa_shared_vgpr_count 0
		.amdhsa_exception_fp_ieee_invalid_op 0
		.amdhsa_exception_fp_denorm_src 0
		.amdhsa_exception_fp_ieee_div_zero 0
		.amdhsa_exception_fp_ieee_overflow 0
		.amdhsa_exception_fp_ieee_underflow 0
		.amdhsa_exception_fp_ieee_inexact 0
		.amdhsa_exception_int_div_zero 0
	.end_amdhsa_kernel
	.section	.text._ZN7rocprim17ROCPRIM_400000_NS6detail17trampoline_kernelINS0_14default_configENS1_32segmented_reduce_config_selectorIN3c104HalfEEEZNS1_21segmented_reduce_implIS3_PKS6_PS6_PKiS6_N6hipcub16HIPCUB_304000_NS6detail27convert_result_type_wrapperISA_SB_N2at6native12_GLOBAL__N_19CustomSumEEEEE10hipError_tPvRmT0_T1_jT2_SS_T4_T3_P12ihipStream_tbEUlT_E_NS1_11comp_targetILNS1_3genE4ELNS1_11target_archE910ELNS1_3gpuE8ELNS1_3repE0EEENS1_30default_config_static_selectorELNS0_4arch9wavefront6targetE0EEEvSR_,"axG",@progbits,_ZN7rocprim17ROCPRIM_400000_NS6detail17trampoline_kernelINS0_14default_configENS1_32segmented_reduce_config_selectorIN3c104HalfEEEZNS1_21segmented_reduce_implIS3_PKS6_PS6_PKiS6_N6hipcub16HIPCUB_304000_NS6detail27convert_result_type_wrapperISA_SB_N2at6native12_GLOBAL__N_19CustomSumEEEEE10hipError_tPvRmT0_T1_jT2_SS_T4_T3_P12ihipStream_tbEUlT_E_NS1_11comp_targetILNS1_3genE4ELNS1_11target_archE910ELNS1_3gpuE8ELNS1_3repE0EEENS1_30default_config_static_selectorELNS0_4arch9wavefront6targetE0EEEvSR_,comdat
.Lfunc_end88:
	.size	_ZN7rocprim17ROCPRIM_400000_NS6detail17trampoline_kernelINS0_14default_configENS1_32segmented_reduce_config_selectorIN3c104HalfEEEZNS1_21segmented_reduce_implIS3_PKS6_PS6_PKiS6_N6hipcub16HIPCUB_304000_NS6detail27convert_result_type_wrapperISA_SB_N2at6native12_GLOBAL__N_19CustomSumEEEEE10hipError_tPvRmT0_T1_jT2_SS_T4_T3_P12ihipStream_tbEUlT_E_NS1_11comp_targetILNS1_3genE4ELNS1_11target_archE910ELNS1_3gpuE8ELNS1_3repE0EEENS1_30default_config_static_selectorELNS0_4arch9wavefront6targetE0EEEvSR_, .Lfunc_end88-_ZN7rocprim17ROCPRIM_400000_NS6detail17trampoline_kernelINS0_14default_configENS1_32segmented_reduce_config_selectorIN3c104HalfEEEZNS1_21segmented_reduce_implIS3_PKS6_PS6_PKiS6_N6hipcub16HIPCUB_304000_NS6detail27convert_result_type_wrapperISA_SB_N2at6native12_GLOBAL__N_19CustomSumEEEEE10hipError_tPvRmT0_T1_jT2_SS_T4_T3_P12ihipStream_tbEUlT_E_NS1_11comp_targetILNS1_3genE4ELNS1_11target_archE910ELNS1_3gpuE8ELNS1_3repE0EEENS1_30default_config_static_selectorELNS0_4arch9wavefront6targetE0EEEvSR_
                                        ; -- End function
	.section	.AMDGPU.csdata,"",@progbits
; Kernel info:
; codeLenInByte = 0
; NumSgprs: 0
; NumVgprs: 0
; ScratchSize: 0
; MemoryBound: 0
; FloatMode: 240
; IeeeMode: 1
; LDSByteSize: 0 bytes/workgroup (compile time only)
; SGPRBlocks: 0
; VGPRBlocks: 0
; NumSGPRsForWavesPerEU: 1
; NumVGPRsForWavesPerEU: 1
; Occupancy: 16
; WaveLimiterHint : 0
; COMPUTE_PGM_RSRC2:SCRATCH_EN: 0
; COMPUTE_PGM_RSRC2:USER_SGPR: 15
; COMPUTE_PGM_RSRC2:TRAP_HANDLER: 0
; COMPUTE_PGM_RSRC2:TGID_X_EN: 1
; COMPUTE_PGM_RSRC2:TGID_Y_EN: 0
; COMPUTE_PGM_RSRC2:TGID_Z_EN: 0
; COMPUTE_PGM_RSRC2:TIDIG_COMP_CNT: 0
	.section	.text._ZN7rocprim17ROCPRIM_400000_NS6detail17trampoline_kernelINS0_14default_configENS1_32segmented_reduce_config_selectorIN3c104HalfEEEZNS1_21segmented_reduce_implIS3_PKS6_PS6_PKiS6_N6hipcub16HIPCUB_304000_NS6detail27convert_result_type_wrapperISA_SB_N2at6native12_GLOBAL__N_19CustomSumEEEEE10hipError_tPvRmT0_T1_jT2_SS_T4_T3_P12ihipStream_tbEUlT_E_NS1_11comp_targetILNS1_3genE3ELNS1_11target_archE908ELNS1_3gpuE7ELNS1_3repE0EEENS1_30default_config_static_selectorELNS0_4arch9wavefront6targetE0EEEvSR_,"axG",@progbits,_ZN7rocprim17ROCPRIM_400000_NS6detail17trampoline_kernelINS0_14default_configENS1_32segmented_reduce_config_selectorIN3c104HalfEEEZNS1_21segmented_reduce_implIS3_PKS6_PS6_PKiS6_N6hipcub16HIPCUB_304000_NS6detail27convert_result_type_wrapperISA_SB_N2at6native12_GLOBAL__N_19CustomSumEEEEE10hipError_tPvRmT0_T1_jT2_SS_T4_T3_P12ihipStream_tbEUlT_E_NS1_11comp_targetILNS1_3genE3ELNS1_11target_archE908ELNS1_3gpuE7ELNS1_3repE0EEENS1_30default_config_static_selectorELNS0_4arch9wavefront6targetE0EEEvSR_,comdat
	.globl	_ZN7rocprim17ROCPRIM_400000_NS6detail17trampoline_kernelINS0_14default_configENS1_32segmented_reduce_config_selectorIN3c104HalfEEEZNS1_21segmented_reduce_implIS3_PKS6_PS6_PKiS6_N6hipcub16HIPCUB_304000_NS6detail27convert_result_type_wrapperISA_SB_N2at6native12_GLOBAL__N_19CustomSumEEEEE10hipError_tPvRmT0_T1_jT2_SS_T4_T3_P12ihipStream_tbEUlT_E_NS1_11comp_targetILNS1_3genE3ELNS1_11target_archE908ELNS1_3gpuE7ELNS1_3repE0EEENS1_30default_config_static_selectorELNS0_4arch9wavefront6targetE0EEEvSR_ ; -- Begin function _ZN7rocprim17ROCPRIM_400000_NS6detail17trampoline_kernelINS0_14default_configENS1_32segmented_reduce_config_selectorIN3c104HalfEEEZNS1_21segmented_reduce_implIS3_PKS6_PS6_PKiS6_N6hipcub16HIPCUB_304000_NS6detail27convert_result_type_wrapperISA_SB_N2at6native12_GLOBAL__N_19CustomSumEEEEE10hipError_tPvRmT0_T1_jT2_SS_T4_T3_P12ihipStream_tbEUlT_E_NS1_11comp_targetILNS1_3genE3ELNS1_11target_archE908ELNS1_3gpuE7ELNS1_3repE0EEENS1_30default_config_static_selectorELNS0_4arch9wavefront6targetE0EEEvSR_
	.p2align	8
	.type	_ZN7rocprim17ROCPRIM_400000_NS6detail17trampoline_kernelINS0_14default_configENS1_32segmented_reduce_config_selectorIN3c104HalfEEEZNS1_21segmented_reduce_implIS3_PKS6_PS6_PKiS6_N6hipcub16HIPCUB_304000_NS6detail27convert_result_type_wrapperISA_SB_N2at6native12_GLOBAL__N_19CustomSumEEEEE10hipError_tPvRmT0_T1_jT2_SS_T4_T3_P12ihipStream_tbEUlT_E_NS1_11comp_targetILNS1_3genE3ELNS1_11target_archE908ELNS1_3gpuE7ELNS1_3repE0EEENS1_30default_config_static_selectorELNS0_4arch9wavefront6targetE0EEEvSR_,@function
_ZN7rocprim17ROCPRIM_400000_NS6detail17trampoline_kernelINS0_14default_configENS1_32segmented_reduce_config_selectorIN3c104HalfEEEZNS1_21segmented_reduce_implIS3_PKS6_PS6_PKiS6_N6hipcub16HIPCUB_304000_NS6detail27convert_result_type_wrapperISA_SB_N2at6native12_GLOBAL__N_19CustomSumEEEEE10hipError_tPvRmT0_T1_jT2_SS_T4_T3_P12ihipStream_tbEUlT_E_NS1_11comp_targetILNS1_3genE3ELNS1_11target_archE908ELNS1_3gpuE7ELNS1_3repE0EEENS1_30default_config_static_selectorELNS0_4arch9wavefront6targetE0EEEvSR_: ; @_ZN7rocprim17ROCPRIM_400000_NS6detail17trampoline_kernelINS0_14default_configENS1_32segmented_reduce_config_selectorIN3c104HalfEEEZNS1_21segmented_reduce_implIS3_PKS6_PS6_PKiS6_N6hipcub16HIPCUB_304000_NS6detail27convert_result_type_wrapperISA_SB_N2at6native12_GLOBAL__N_19CustomSumEEEEE10hipError_tPvRmT0_T1_jT2_SS_T4_T3_P12ihipStream_tbEUlT_E_NS1_11comp_targetILNS1_3genE3ELNS1_11target_archE908ELNS1_3gpuE7ELNS1_3repE0EEENS1_30default_config_static_selectorELNS0_4arch9wavefront6targetE0EEEvSR_
; %bb.0:
	.section	.rodata,"a",@progbits
	.p2align	6, 0x0
	.amdhsa_kernel _ZN7rocprim17ROCPRIM_400000_NS6detail17trampoline_kernelINS0_14default_configENS1_32segmented_reduce_config_selectorIN3c104HalfEEEZNS1_21segmented_reduce_implIS3_PKS6_PS6_PKiS6_N6hipcub16HIPCUB_304000_NS6detail27convert_result_type_wrapperISA_SB_N2at6native12_GLOBAL__N_19CustomSumEEEEE10hipError_tPvRmT0_T1_jT2_SS_T4_T3_P12ihipStream_tbEUlT_E_NS1_11comp_targetILNS1_3genE3ELNS1_11target_archE908ELNS1_3gpuE7ELNS1_3repE0EEENS1_30default_config_static_selectorELNS0_4arch9wavefront6targetE0EEEvSR_
		.amdhsa_group_segment_fixed_size 0
		.amdhsa_private_segment_fixed_size 0
		.amdhsa_kernarg_size 48
		.amdhsa_user_sgpr_count 15
		.amdhsa_user_sgpr_dispatch_ptr 0
		.amdhsa_user_sgpr_queue_ptr 0
		.amdhsa_user_sgpr_kernarg_segment_ptr 1
		.amdhsa_user_sgpr_dispatch_id 0
		.amdhsa_user_sgpr_private_segment_size 0
		.amdhsa_wavefront_size32 1
		.amdhsa_uses_dynamic_stack 0
		.amdhsa_enable_private_segment 0
		.amdhsa_system_sgpr_workgroup_id_x 1
		.amdhsa_system_sgpr_workgroup_id_y 0
		.amdhsa_system_sgpr_workgroup_id_z 0
		.amdhsa_system_sgpr_workgroup_info 0
		.amdhsa_system_vgpr_workitem_id 0
		.amdhsa_next_free_vgpr 1
		.amdhsa_next_free_sgpr 1
		.amdhsa_reserve_vcc 0
		.amdhsa_float_round_mode_32 0
		.amdhsa_float_round_mode_16_64 0
		.amdhsa_float_denorm_mode_32 3
		.amdhsa_float_denorm_mode_16_64 3
		.amdhsa_dx10_clamp 1
		.amdhsa_ieee_mode 1
		.amdhsa_fp16_overflow 0
		.amdhsa_workgroup_processor_mode 1
		.amdhsa_memory_ordered 1
		.amdhsa_forward_progress 0
		.amdhsa_shared_vgpr_count 0
		.amdhsa_exception_fp_ieee_invalid_op 0
		.amdhsa_exception_fp_denorm_src 0
		.amdhsa_exception_fp_ieee_div_zero 0
		.amdhsa_exception_fp_ieee_overflow 0
		.amdhsa_exception_fp_ieee_underflow 0
		.amdhsa_exception_fp_ieee_inexact 0
		.amdhsa_exception_int_div_zero 0
	.end_amdhsa_kernel
	.section	.text._ZN7rocprim17ROCPRIM_400000_NS6detail17trampoline_kernelINS0_14default_configENS1_32segmented_reduce_config_selectorIN3c104HalfEEEZNS1_21segmented_reduce_implIS3_PKS6_PS6_PKiS6_N6hipcub16HIPCUB_304000_NS6detail27convert_result_type_wrapperISA_SB_N2at6native12_GLOBAL__N_19CustomSumEEEEE10hipError_tPvRmT0_T1_jT2_SS_T4_T3_P12ihipStream_tbEUlT_E_NS1_11comp_targetILNS1_3genE3ELNS1_11target_archE908ELNS1_3gpuE7ELNS1_3repE0EEENS1_30default_config_static_selectorELNS0_4arch9wavefront6targetE0EEEvSR_,"axG",@progbits,_ZN7rocprim17ROCPRIM_400000_NS6detail17trampoline_kernelINS0_14default_configENS1_32segmented_reduce_config_selectorIN3c104HalfEEEZNS1_21segmented_reduce_implIS3_PKS6_PS6_PKiS6_N6hipcub16HIPCUB_304000_NS6detail27convert_result_type_wrapperISA_SB_N2at6native12_GLOBAL__N_19CustomSumEEEEE10hipError_tPvRmT0_T1_jT2_SS_T4_T3_P12ihipStream_tbEUlT_E_NS1_11comp_targetILNS1_3genE3ELNS1_11target_archE908ELNS1_3gpuE7ELNS1_3repE0EEENS1_30default_config_static_selectorELNS0_4arch9wavefront6targetE0EEEvSR_,comdat
.Lfunc_end89:
	.size	_ZN7rocprim17ROCPRIM_400000_NS6detail17trampoline_kernelINS0_14default_configENS1_32segmented_reduce_config_selectorIN3c104HalfEEEZNS1_21segmented_reduce_implIS3_PKS6_PS6_PKiS6_N6hipcub16HIPCUB_304000_NS6detail27convert_result_type_wrapperISA_SB_N2at6native12_GLOBAL__N_19CustomSumEEEEE10hipError_tPvRmT0_T1_jT2_SS_T4_T3_P12ihipStream_tbEUlT_E_NS1_11comp_targetILNS1_3genE3ELNS1_11target_archE908ELNS1_3gpuE7ELNS1_3repE0EEENS1_30default_config_static_selectorELNS0_4arch9wavefront6targetE0EEEvSR_, .Lfunc_end89-_ZN7rocprim17ROCPRIM_400000_NS6detail17trampoline_kernelINS0_14default_configENS1_32segmented_reduce_config_selectorIN3c104HalfEEEZNS1_21segmented_reduce_implIS3_PKS6_PS6_PKiS6_N6hipcub16HIPCUB_304000_NS6detail27convert_result_type_wrapperISA_SB_N2at6native12_GLOBAL__N_19CustomSumEEEEE10hipError_tPvRmT0_T1_jT2_SS_T4_T3_P12ihipStream_tbEUlT_E_NS1_11comp_targetILNS1_3genE3ELNS1_11target_archE908ELNS1_3gpuE7ELNS1_3repE0EEENS1_30default_config_static_selectorELNS0_4arch9wavefront6targetE0EEEvSR_
                                        ; -- End function
	.section	.AMDGPU.csdata,"",@progbits
; Kernel info:
; codeLenInByte = 0
; NumSgprs: 0
; NumVgprs: 0
; ScratchSize: 0
; MemoryBound: 0
; FloatMode: 240
; IeeeMode: 1
; LDSByteSize: 0 bytes/workgroup (compile time only)
; SGPRBlocks: 0
; VGPRBlocks: 0
; NumSGPRsForWavesPerEU: 1
; NumVGPRsForWavesPerEU: 1
; Occupancy: 16
; WaveLimiterHint : 0
; COMPUTE_PGM_RSRC2:SCRATCH_EN: 0
; COMPUTE_PGM_RSRC2:USER_SGPR: 15
; COMPUTE_PGM_RSRC2:TRAP_HANDLER: 0
; COMPUTE_PGM_RSRC2:TGID_X_EN: 1
; COMPUTE_PGM_RSRC2:TGID_Y_EN: 0
; COMPUTE_PGM_RSRC2:TGID_Z_EN: 0
; COMPUTE_PGM_RSRC2:TIDIG_COMP_CNT: 0
	.section	.text._ZN7rocprim17ROCPRIM_400000_NS6detail17trampoline_kernelINS0_14default_configENS1_32segmented_reduce_config_selectorIN3c104HalfEEEZNS1_21segmented_reduce_implIS3_PKS6_PS6_PKiS6_N6hipcub16HIPCUB_304000_NS6detail27convert_result_type_wrapperISA_SB_N2at6native12_GLOBAL__N_19CustomSumEEEEE10hipError_tPvRmT0_T1_jT2_SS_T4_T3_P12ihipStream_tbEUlT_E_NS1_11comp_targetILNS1_3genE2ELNS1_11target_archE906ELNS1_3gpuE6ELNS1_3repE0EEENS1_30default_config_static_selectorELNS0_4arch9wavefront6targetE0EEEvSR_,"axG",@progbits,_ZN7rocprim17ROCPRIM_400000_NS6detail17trampoline_kernelINS0_14default_configENS1_32segmented_reduce_config_selectorIN3c104HalfEEEZNS1_21segmented_reduce_implIS3_PKS6_PS6_PKiS6_N6hipcub16HIPCUB_304000_NS6detail27convert_result_type_wrapperISA_SB_N2at6native12_GLOBAL__N_19CustomSumEEEEE10hipError_tPvRmT0_T1_jT2_SS_T4_T3_P12ihipStream_tbEUlT_E_NS1_11comp_targetILNS1_3genE2ELNS1_11target_archE906ELNS1_3gpuE6ELNS1_3repE0EEENS1_30default_config_static_selectorELNS0_4arch9wavefront6targetE0EEEvSR_,comdat
	.globl	_ZN7rocprim17ROCPRIM_400000_NS6detail17trampoline_kernelINS0_14default_configENS1_32segmented_reduce_config_selectorIN3c104HalfEEEZNS1_21segmented_reduce_implIS3_PKS6_PS6_PKiS6_N6hipcub16HIPCUB_304000_NS6detail27convert_result_type_wrapperISA_SB_N2at6native12_GLOBAL__N_19CustomSumEEEEE10hipError_tPvRmT0_T1_jT2_SS_T4_T3_P12ihipStream_tbEUlT_E_NS1_11comp_targetILNS1_3genE2ELNS1_11target_archE906ELNS1_3gpuE6ELNS1_3repE0EEENS1_30default_config_static_selectorELNS0_4arch9wavefront6targetE0EEEvSR_ ; -- Begin function _ZN7rocprim17ROCPRIM_400000_NS6detail17trampoline_kernelINS0_14default_configENS1_32segmented_reduce_config_selectorIN3c104HalfEEEZNS1_21segmented_reduce_implIS3_PKS6_PS6_PKiS6_N6hipcub16HIPCUB_304000_NS6detail27convert_result_type_wrapperISA_SB_N2at6native12_GLOBAL__N_19CustomSumEEEEE10hipError_tPvRmT0_T1_jT2_SS_T4_T3_P12ihipStream_tbEUlT_E_NS1_11comp_targetILNS1_3genE2ELNS1_11target_archE906ELNS1_3gpuE6ELNS1_3repE0EEENS1_30default_config_static_selectorELNS0_4arch9wavefront6targetE0EEEvSR_
	.p2align	8
	.type	_ZN7rocprim17ROCPRIM_400000_NS6detail17trampoline_kernelINS0_14default_configENS1_32segmented_reduce_config_selectorIN3c104HalfEEEZNS1_21segmented_reduce_implIS3_PKS6_PS6_PKiS6_N6hipcub16HIPCUB_304000_NS6detail27convert_result_type_wrapperISA_SB_N2at6native12_GLOBAL__N_19CustomSumEEEEE10hipError_tPvRmT0_T1_jT2_SS_T4_T3_P12ihipStream_tbEUlT_E_NS1_11comp_targetILNS1_3genE2ELNS1_11target_archE906ELNS1_3gpuE6ELNS1_3repE0EEENS1_30default_config_static_selectorELNS0_4arch9wavefront6targetE0EEEvSR_,@function
_ZN7rocprim17ROCPRIM_400000_NS6detail17trampoline_kernelINS0_14default_configENS1_32segmented_reduce_config_selectorIN3c104HalfEEEZNS1_21segmented_reduce_implIS3_PKS6_PS6_PKiS6_N6hipcub16HIPCUB_304000_NS6detail27convert_result_type_wrapperISA_SB_N2at6native12_GLOBAL__N_19CustomSumEEEEE10hipError_tPvRmT0_T1_jT2_SS_T4_T3_P12ihipStream_tbEUlT_E_NS1_11comp_targetILNS1_3genE2ELNS1_11target_archE906ELNS1_3gpuE6ELNS1_3repE0EEENS1_30default_config_static_selectorELNS0_4arch9wavefront6targetE0EEEvSR_: ; @_ZN7rocprim17ROCPRIM_400000_NS6detail17trampoline_kernelINS0_14default_configENS1_32segmented_reduce_config_selectorIN3c104HalfEEEZNS1_21segmented_reduce_implIS3_PKS6_PS6_PKiS6_N6hipcub16HIPCUB_304000_NS6detail27convert_result_type_wrapperISA_SB_N2at6native12_GLOBAL__N_19CustomSumEEEEE10hipError_tPvRmT0_T1_jT2_SS_T4_T3_P12ihipStream_tbEUlT_E_NS1_11comp_targetILNS1_3genE2ELNS1_11target_archE906ELNS1_3gpuE6ELNS1_3repE0EEENS1_30default_config_static_selectorELNS0_4arch9wavefront6targetE0EEEvSR_
; %bb.0:
	.section	.rodata,"a",@progbits
	.p2align	6, 0x0
	.amdhsa_kernel _ZN7rocprim17ROCPRIM_400000_NS6detail17trampoline_kernelINS0_14default_configENS1_32segmented_reduce_config_selectorIN3c104HalfEEEZNS1_21segmented_reduce_implIS3_PKS6_PS6_PKiS6_N6hipcub16HIPCUB_304000_NS6detail27convert_result_type_wrapperISA_SB_N2at6native12_GLOBAL__N_19CustomSumEEEEE10hipError_tPvRmT0_T1_jT2_SS_T4_T3_P12ihipStream_tbEUlT_E_NS1_11comp_targetILNS1_3genE2ELNS1_11target_archE906ELNS1_3gpuE6ELNS1_3repE0EEENS1_30default_config_static_selectorELNS0_4arch9wavefront6targetE0EEEvSR_
		.amdhsa_group_segment_fixed_size 0
		.amdhsa_private_segment_fixed_size 0
		.amdhsa_kernarg_size 48
		.amdhsa_user_sgpr_count 15
		.amdhsa_user_sgpr_dispatch_ptr 0
		.amdhsa_user_sgpr_queue_ptr 0
		.amdhsa_user_sgpr_kernarg_segment_ptr 1
		.amdhsa_user_sgpr_dispatch_id 0
		.amdhsa_user_sgpr_private_segment_size 0
		.amdhsa_wavefront_size32 1
		.amdhsa_uses_dynamic_stack 0
		.amdhsa_enable_private_segment 0
		.amdhsa_system_sgpr_workgroup_id_x 1
		.amdhsa_system_sgpr_workgroup_id_y 0
		.amdhsa_system_sgpr_workgroup_id_z 0
		.amdhsa_system_sgpr_workgroup_info 0
		.amdhsa_system_vgpr_workitem_id 0
		.amdhsa_next_free_vgpr 1
		.amdhsa_next_free_sgpr 1
		.amdhsa_reserve_vcc 0
		.amdhsa_float_round_mode_32 0
		.amdhsa_float_round_mode_16_64 0
		.amdhsa_float_denorm_mode_32 3
		.amdhsa_float_denorm_mode_16_64 3
		.amdhsa_dx10_clamp 1
		.amdhsa_ieee_mode 1
		.amdhsa_fp16_overflow 0
		.amdhsa_workgroup_processor_mode 1
		.amdhsa_memory_ordered 1
		.amdhsa_forward_progress 0
		.amdhsa_shared_vgpr_count 0
		.amdhsa_exception_fp_ieee_invalid_op 0
		.amdhsa_exception_fp_denorm_src 0
		.amdhsa_exception_fp_ieee_div_zero 0
		.amdhsa_exception_fp_ieee_overflow 0
		.amdhsa_exception_fp_ieee_underflow 0
		.amdhsa_exception_fp_ieee_inexact 0
		.amdhsa_exception_int_div_zero 0
	.end_amdhsa_kernel
	.section	.text._ZN7rocprim17ROCPRIM_400000_NS6detail17trampoline_kernelINS0_14default_configENS1_32segmented_reduce_config_selectorIN3c104HalfEEEZNS1_21segmented_reduce_implIS3_PKS6_PS6_PKiS6_N6hipcub16HIPCUB_304000_NS6detail27convert_result_type_wrapperISA_SB_N2at6native12_GLOBAL__N_19CustomSumEEEEE10hipError_tPvRmT0_T1_jT2_SS_T4_T3_P12ihipStream_tbEUlT_E_NS1_11comp_targetILNS1_3genE2ELNS1_11target_archE906ELNS1_3gpuE6ELNS1_3repE0EEENS1_30default_config_static_selectorELNS0_4arch9wavefront6targetE0EEEvSR_,"axG",@progbits,_ZN7rocprim17ROCPRIM_400000_NS6detail17trampoline_kernelINS0_14default_configENS1_32segmented_reduce_config_selectorIN3c104HalfEEEZNS1_21segmented_reduce_implIS3_PKS6_PS6_PKiS6_N6hipcub16HIPCUB_304000_NS6detail27convert_result_type_wrapperISA_SB_N2at6native12_GLOBAL__N_19CustomSumEEEEE10hipError_tPvRmT0_T1_jT2_SS_T4_T3_P12ihipStream_tbEUlT_E_NS1_11comp_targetILNS1_3genE2ELNS1_11target_archE906ELNS1_3gpuE6ELNS1_3repE0EEENS1_30default_config_static_selectorELNS0_4arch9wavefront6targetE0EEEvSR_,comdat
.Lfunc_end90:
	.size	_ZN7rocprim17ROCPRIM_400000_NS6detail17trampoline_kernelINS0_14default_configENS1_32segmented_reduce_config_selectorIN3c104HalfEEEZNS1_21segmented_reduce_implIS3_PKS6_PS6_PKiS6_N6hipcub16HIPCUB_304000_NS6detail27convert_result_type_wrapperISA_SB_N2at6native12_GLOBAL__N_19CustomSumEEEEE10hipError_tPvRmT0_T1_jT2_SS_T4_T3_P12ihipStream_tbEUlT_E_NS1_11comp_targetILNS1_3genE2ELNS1_11target_archE906ELNS1_3gpuE6ELNS1_3repE0EEENS1_30default_config_static_selectorELNS0_4arch9wavefront6targetE0EEEvSR_, .Lfunc_end90-_ZN7rocprim17ROCPRIM_400000_NS6detail17trampoline_kernelINS0_14default_configENS1_32segmented_reduce_config_selectorIN3c104HalfEEEZNS1_21segmented_reduce_implIS3_PKS6_PS6_PKiS6_N6hipcub16HIPCUB_304000_NS6detail27convert_result_type_wrapperISA_SB_N2at6native12_GLOBAL__N_19CustomSumEEEEE10hipError_tPvRmT0_T1_jT2_SS_T4_T3_P12ihipStream_tbEUlT_E_NS1_11comp_targetILNS1_3genE2ELNS1_11target_archE906ELNS1_3gpuE6ELNS1_3repE0EEENS1_30default_config_static_selectorELNS0_4arch9wavefront6targetE0EEEvSR_
                                        ; -- End function
	.section	.AMDGPU.csdata,"",@progbits
; Kernel info:
; codeLenInByte = 0
; NumSgprs: 0
; NumVgprs: 0
; ScratchSize: 0
; MemoryBound: 0
; FloatMode: 240
; IeeeMode: 1
; LDSByteSize: 0 bytes/workgroup (compile time only)
; SGPRBlocks: 0
; VGPRBlocks: 0
; NumSGPRsForWavesPerEU: 1
; NumVGPRsForWavesPerEU: 1
; Occupancy: 16
; WaveLimiterHint : 0
; COMPUTE_PGM_RSRC2:SCRATCH_EN: 0
; COMPUTE_PGM_RSRC2:USER_SGPR: 15
; COMPUTE_PGM_RSRC2:TRAP_HANDLER: 0
; COMPUTE_PGM_RSRC2:TGID_X_EN: 1
; COMPUTE_PGM_RSRC2:TGID_Y_EN: 0
; COMPUTE_PGM_RSRC2:TGID_Z_EN: 0
; COMPUTE_PGM_RSRC2:TIDIG_COMP_CNT: 0
	.section	.text._ZN7rocprim17ROCPRIM_400000_NS6detail17trampoline_kernelINS0_14default_configENS1_32segmented_reduce_config_selectorIN3c104HalfEEEZNS1_21segmented_reduce_implIS3_PKS6_PS6_PKiS6_N6hipcub16HIPCUB_304000_NS6detail27convert_result_type_wrapperISA_SB_N2at6native12_GLOBAL__N_19CustomSumEEEEE10hipError_tPvRmT0_T1_jT2_SS_T4_T3_P12ihipStream_tbEUlT_E_NS1_11comp_targetILNS1_3genE9ELNS1_11target_archE1100ELNS1_3gpuE3ELNS1_3repE0EEENS1_30default_config_static_selectorELNS0_4arch9wavefront6targetE0EEEvSR_,"axG",@progbits,_ZN7rocprim17ROCPRIM_400000_NS6detail17trampoline_kernelINS0_14default_configENS1_32segmented_reduce_config_selectorIN3c104HalfEEEZNS1_21segmented_reduce_implIS3_PKS6_PS6_PKiS6_N6hipcub16HIPCUB_304000_NS6detail27convert_result_type_wrapperISA_SB_N2at6native12_GLOBAL__N_19CustomSumEEEEE10hipError_tPvRmT0_T1_jT2_SS_T4_T3_P12ihipStream_tbEUlT_E_NS1_11comp_targetILNS1_3genE9ELNS1_11target_archE1100ELNS1_3gpuE3ELNS1_3repE0EEENS1_30default_config_static_selectorELNS0_4arch9wavefront6targetE0EEEvSR_,comdat
	.globl	_ZN7rocprim17ROCPRIM_400000_NS6detail17trampoline_kernelINS0_14default_configENS1_32segmented_reduce_config_selectorIN3c104HalfEEEZNS1_21segmented_reduce_implIS3_PKS6_PS6_PKiS6_N6hipcub16HIPCUB_304000_NS6detail27convert_result_type_wrapperISA_SB_N2at6native12_GLOBAL__N_19CustomSumEEEEE10hipError_tPvRmT0_T1_jT2_SS_T4_T3_P12ihipStream_tbEUlT_E_NS1_11comp_targetILNS1_3genE9ELNS1_11target_archE1100ELNS1_3gpuE3ELNS1_3repE0EEENS1_30default_config_static_selectorELNS0_4arch9wavefront6targetE0EEEvSR_ ; -- Begin function _ZN7rocprim17ROCPRIM_400000_NS6detail17trampoline_kernelINS0_14default_configENS1_32segmented_reduce_config_selectorIN3c104HalfEEEZNS1_21segmented_reduce_implIS3_PKS6_PS6_PKiS6_N6hipcub16HIPCUB_304000_NS6detail27convert_result_type_wrapperISA_SB_N2at6native12_GLOBAL__N_19CustomSumEEEEE10hipError_tPvRmT0_T1_jT2_SS_T4_T3_P12ihipStream_tbEUlT_E_NS1_11comp_targetILNS1_3genE9ELNS1_11target_archE1100ELNS1_3gpuE3ELNS1_3repE0EEENS1_30default_config_static_selectorELNS0_4arch9wavefront6targetE0EEEvSR_
	.p2align	8
	.type	_ZN7rocprim17ROCPRIM_400000_NS6detail17trampoline_kernelINS0_14default_configENS1_32segmented_reduce_config_selectorIN3c104HalfEEEZNS1_21segmented_reduce_implIS3_PKS6_PS6_PKiS6_N6hipcub16HIPCUB_304000_NS6detail27convert_result_type_wrapperISA_SB_N2at6native12_GLOBAL__N_19CustomSumEEEEE10hipError_tPvRmT0_T1_jT2_SS_T4_T3_P12ihipStream_tbEUlT_E_NS1_11comp_targetILNS1_3genE9ELNS1_11target_archE1100ELNS1_3gpuE3ELNS1_3repE0EEENS1_30default_config_static_selectorELNS0_4arch9wavefront6targetE0EEEvSR_,@function
_ZN7rocprim17ROCPRIM_400000_NS6detail17trampoline_kernelINS0_14default_configENS1_32segmented_reduce_config_selectorIN3c104HalfEEEZNS1_21segmented_reduce_implIS3_PKS6_PS6_PKiS6_N6hipcub16HIPCUB_304000_NS6detail27convert_result_type_wrapperISA_SB_N2at6native12_GLOBAL__N_19CustomSumEEEEE10hipError_tPvRmT0_T1_jT2_SS_T4_T3_P12ihipStream_tbEUlT_E_NS1_11comp_targetILNS1_3genE9ELNS1_11target_archE1100ELNS1_3gpuE3ELNS1_3repE0EEENS1_30default_config_static_selectorELNS0_4arch9wavefront6targetE0EEEvSR_: ; @_ZN7rocprim17ROCPRIM_400000_NS6detail17trampoline_kernelINS0_14default_configENS1_32segmented_reduce_config_selectorIN3c104HalfEEEZNS1_21segmented_reduce_implIS3_PKS6_PS6_PKiS6_N6hipcub16HIPCUB_304000_NS6detail27convert_result_type_wrapperISA_SB_N2at6native12_GLOBAL__N_19CustomSumEEEEE10hipError_tPvRmT0_T1_jT2_SS_T4_T3_P12ihipStream_tbEUlT_E_NS1_11comp_targetILNS1_3genE9ELNS1_11target_archE1100ELNS1_3gpuE3ELNS1_3repE0EEENS1_30default_config_static_selectorELNS0_4arch9wavefront6targetE0EEEvSR_
; %bb.0:
	s_clause 0x2
	s_load_b256 s[16:23], s[0:1], 0x0
	s_load_b32 s4, s[0:1], 0x28
	s_load_b64 s[0:1], s[0:1], 0x20
	s_mov_b32 s24, s15
	s_mov_b32 s25, 0
	v_cmp_eq_u32_e32 vcc_lo, 0, v0
	s_waitcnt lgkmcnt(0)
	s_lshl_b64 s[2:3], s[20:21], 1
	s_lshr_b32 s15, s4, 16
	s_add_u32 s26, s18, s2
	s_addc_u32 s27, s19, s3
	s_lshl_b64 s[2:3], s[20:21], 2
	s_delay_alu instid0(SALU_CYCLE_1) | instskip(SKIP_4) | instid1(SALU_CYCLE_1)
	s_add_u32 s4, s22, s2
	s_addc_u32 s5, s23, s3
	s_add_u32 s6, s0, s2
	s_addc_u32 s7, s1, s3
	s_lshl_b64 s[0:1], s[24:25], 2
	s_add_u32 s2, s4, s0
	s_addc_u32 s3, s5, s1
	s_add_u32 s0, s6, s0
	s_addc_u32 s1, s7, s1
	s_load_b32 s18, s[2:3], 0x0
	s_load_b32 s22, s[0:1], 0x0
	s_mov_b32 s0, -1
	s_waitcnt lgkmcnt(0)
	s_cmp_gt_i32 s22, s18
	s_cbranch_scc1 .LBB91_4
; %bb.1:
	s_and_saveexec_b32 s0, vcc_lo
	s_cbranch_execz .LBB91_3
; %bb.2:
	s_lshl_b64 s[2:3], s[24:25], 1
	v_dual_mov_b32 v1, 0 :: v_dual_mov_b32 v2, s15
	s_add_u32 s2, s26, s2
	s_addc_u32 s3, s27, s3
	global_store_b16 v1, v2, s[2:3]
.LBB91_3:
	s_or_b32 exec_lo, exec_lo, s0
	s_mov_b32 s0, 0
.LBB91_4:
	s_delay_alu instid0(SALU_CYCLE_1)
	s_and_not1_b32 vcc_lo, exec_lo, s0
	s_cbranch_vccnz .LBB91_71
; %bb.5:
	s_add_i32 s0, s18, 0x1000
	s_delay_alu instid0(SALU_CYCLE_1)
	s_cmp_le_i32 s0, s22
	s_cbranch_scc0 .LBB91_46
; %bb.6:
	s_ashr_i32 s19, s18, 31
	v_lshlrev_b32_e32 v18, 1, v0
	s_lshl_b64 s[2:3], s[18:19], 1
	s_delay_alu instid0(SALU_CYCLE_1) | instskip(SKIP_1) | instid1(VALU_DEP_1)
	s_add_u32 s2, s16, s2
	s_addc_u32 s3, s17, s3
	v_add_co_u32 v9, s1, s2, v18
	s_clause 0x7
	global_load_u16 v1, v18, s[2:3]
	global_load_u16 v2, v18, s[2:3] offset:512
	global_load_u16 v3, v18, s[2:3] offset:1024
	;; [unrolled: 1-line block ×7, first 2 shown]
	v_add_co_ci_u32_e64 v10, null, s3, 0, s1
	v_add_co_u32 v16, vcc_lo, 0x1000, v9
	s_add_i32 s1, s18, 0x2000
	s_delay_alu instid0(VALU_DEP_2)
	v_add_co_ci_u32_e32 v17, vcc_lo, 0, v10, vcc_lo
	s_cmp_ge_i32 s1, s22
	s_clause 0x7
	global_load_u16 v9, v[16:17], off
	global_load_u16 v10, v[16:17], off offset:512
	global_load_u16 v11, v[16:17], off offset:1024
	;; [unrolled: 1-line block ×7, first 2 shown]
	s_waitcnt vmcnt(14)
	v_add_f16_e32 v17, v1, v2
	s_waitcnt vmcnt(13)
	s_delay_alu instid0(VALU_DEP_1) | instskip(SKIP_1) | instid1(VALU_DEP_1)
	v_add_f16_e32 v17, v17, v3
	s_waitcnt vmcnt(12)
	v_add_f16_e32 v17, v17, v4
	s_waitcnt vmcnt(11)
	s_delay_alu instid0(VALU_DEP_1) | instskip(SKIP_1) | instid1(VALU_DEP_1)
	v_add_f16_e32 v17, v17, v5
	;; [unrolled: 5-line block ×7, first 2 shown]
	s_waitcnt vmcnt(0)
	v_add_f16_e32 v17, v17, v16
	s_cbranch_scc1 .LBB91_9
; %bb.7:
	v_add_co_u32 v19, s1, s16, v18
	s_delay_alu instid0(VALU_DEP_1)
	v_add_co_ci_u32_e64 v20, null, s17, 0, s1
.LBB91_8:                               ; =>This Inner Loop Header: Depth=1
	s_ashr_i32 s1, s0, 31
	s_delay_alu instid0(SALU_CYCLE_1) | instskip(SKIP_4) | instid1(VALU_DEP_2)
	s_lshl_b64 s[2:3], s[0:1], 1
	s_add_i32 s1, s0, 0x2000
	v_add_co_u32 v9, vcc_lo, v19, s2
	v_add_co_ci_u32_e32 v10, vcc_lo, s3, v20, vcc_lo
	s_addk_i32 s0, 0x1000
	v_add_co_u32 v21, vcc_lo, 0x1000, v9
	s_clause 0x7
	global_load_u16 v1, v[9:10], off
	global_load_u16 v2, v[9:10], off offset:512
	global_load_u16 v3, v[9:10], off offset:1024
	;; [unrolled: 1-line block ×7, first 2 shown]
	v_add_co_ci_u32_e32 v22, vcc_lo, 0, v10, vcc_lo
	s_cmp_lt_i32 s1, s22
	s_clause 0x7
	global_load_u16 v9, v[21:22], off
	global_load_u16 v10, v[21:22], off offset:512
	global_load_u16 v11, v[21:22], off offset:1024
	global_load_u16 v12, v[21:22], off offset:1536
	global_load_u16 v13, v[21:22], off offset:2048
	global_load_u16 v14, v[21:22], off offset:2560
	global_load_u16 v15, v[21:22], off offset:3072
	global_load_u16 v16, v[21:22], off offset:3584
	s_waitcnt vmcnt(15)
	v_add_f16_e32 v17, v17, v1
	s_waitcnt vmcnt(14)
	s_delay_alu instid0(VALU_DEP_1) | instskip(SKIP_1) | instid1(VALU_DEP_1)
	v_add_f16_e32 v17, v17, v2
	s_waitcnt vmcnt(13)
	v_add_f16_e32 v17, v17, v3
	s_waitcnt vmcnt(12)
	s_delay_alu instid0(VALU_DEP_1) | instskip(SKIP_1) | instid1(VALU_DEP_1)
	v_add_f16_e32 v17, v17, v4
	;; [unrolled: 5-line block ×7, first 2 shown]
	s_waitcnt vmcnt(1)
	v_add_f16_e32 v17, v17, v15
	s_waitcnt vmcnt(0)
	s_delay_alu instid0(VALU_DEP_1)
	v_add_f16_e32 v17, v17, v16
	s_cbranch_scc1 .LBB91_8
.LBB91_9:
	s_ashr_i32 s1, s0, 31
	s_sub_i32 s14, s22, s0
	s_lshl_b64 s[0:1], s[0:1], 1
	v_cmp_gt_u32_e32 vcc_lo, s14, v0
	s_add_u32 s20, s16, s0
	s_addc_u32 s21, s17, s1
	s_and_saveexec_b32 s0, vcc_lo
	s_cbranch_execz .LBB91_11
; %bb.10:
	global_load_u16 v1, v18, s[20:21]
.LBB91_11:
	s_or_b32 exec_lo, exec_lo, s0
	v_or_b32_e32 v19, 0x100, v0
	s_delay_alu instid0(VALU_DEP_1) | instskip(NEXT) | instid1(VALU_DEP_1)
	v_cmp_gt_u32_e64 s0, s14, v19
	s_and_saveexec_b32 s1, s0
	s_cbranch_execz .LBB91_13
; %bb.12:
	global_load_u16 v2, v18, s[20:21] offset:512
.LBB91_13:
	s_or_b32 exec_lo, exec_lo, s1
	v_or_b32_e32 v19, 0x200, v0
	s_delay_alu instid0(VALU_DEP_1) | instskip(NEXT) | instid1(VALU_DEP_1)
	v_cmp_gt_u32_e64 s1, s14, v19
	s_and_saveexec_b32 s2, s1
	s_cbranch_execz .LBB91_15
; %bb.14:
	global_load_u16 v3, v18, s[20:21] offset:1024
.LBB91_15:
	;; [unrolled: 9-line block ×7, first 2 shown]
	s_or_b32 exec_lo, exec_lo, s7
	v_or_b32_e32 v18, 0x800, v0
	s_delay_alu instid0(VALU_DEP_1) | instskip(NEXT) | instid1(VALU_DEP_1)
	v_cmp_gt_u32_e64 s7, s14, v18
	s_and_saveexec_b32 s8, s7
	s_cbranch_execz .LBB91_27
; %bb.26:
	v_lshlrev_b32_e32 v9, 1, v18
	global_load_u16 v9, v9, s[20:21]
.LBB91_27:
	s_or_b32 exec_lo, exec_lo, s8
	v_or_b32_e32 v18, 0x900, v0
	s_delay_alu instid0(VALU_DEP_1) | instskip(NEXT) | instid1(VALU_DEP_1)
	v_cmp_gt_u32_e64 s8, s14, v18
	s_and_saveexec_b32 s9, s8
	s_cbranch_execz .LBB91_29
; %bb.28:
	v_lshlrev_b32_e32 v10, 1, v18
	global_load_u16 v10, v10, s[20:21]
.LBB91_29:
	s_or_b32 exec_lo, exec_lo, s9
	v_or_b32_e32 v18, 0xa00, v0
	s_delay_alu instid0(VALU_DEP_1) | instskip(NEXT) | instid1(VALU_DEP_1)
	v_cmp_gt_u32_e64 s9, s14, v18
	s_and_saveexec_b32 s10, s9
	s_cbranch_execz .LBB91_31
; %bb.30:
	v_lshlrev_b32_e32 v11, 1, v18
	global_load_u16 v11, v11, s[20:21]
.LBB91_31:
	s_or_b32 exec_lo, exec_lo, s10
	v_or_b32_e32 v18, 0xb00, v0
	s_delay_alu instid0(VALU_DEP_1) | instskip(NEXT) | instid1(VALU_DEP_1)
	v_cmp_gt_u32_e64 s10, s14, v18
	s_and_saveexec_b32 s11, s10
	s_cbranch_execz .LBB91_33
; %bb.32:
	v_lshlrev_b32_e32 v12, 1, v18
	global_load_u16 v12, v12, s[20:21]
.LBB91_33:
	s_or_b32 exec_lo, exec_lo, s11
	v_or_b32_e32 v18, 0xc00, v0
	s_delay_alu instid0(VALU_DEP_1) | instskip(NEXT) | instid1(VALU_DEP_1)
	v_cmp_gt_u32_e64 s11, s14, v18
	s_and_saveexec_b32 s12, s11
	s_cbranch_execz .LBB91_35
; %bb.34:
	v_lshlrev_b32_e32 v13, 1, v18
	global_load_u16 v13, v13, s[20:21]
.LBB91_35:
	s_or_b32 exec_lo, exec_lo, s12
	v_or_b32_e32 v18, 0xd00, v0
	s_delay_alu instid0(VALU_DEP_1) | instskip(NEXT) | instid1(VALU_DEP_1)
	v_cmp_gt_u32_e64 s12, s14, v18
	s_and_saveexec_b32 s13, s12
	s_cbranch_execz .LBB91_37
; %bb.36:
	v_lshlrev_b32_e32 v14, 1, v18
	global_load_u16 v14, v14, s[20:21]
.LBB91_37:
	s_or_b32 exec_lo, exec_lo, s13
	v_or_b32_e32 v18, 0xe00, v0
	s_delay_alu instid0(VALU_DEP_1) | instskip(NEXT) | instid1(VALU_DEP_1)
	v_cmp_gt_u32_e64 s13, s14, v18
	s_and_saveexec_b32 s19, s13
	s_cbranch_execz .LBB91_39
; %bb.38:
	v_lshlrev_b32_e32 v15, 1, v18
	global_load_u16 v15, v15, s[20:21]
.LBB91_39:
	s_or_b32 exec_lo, exec_lo, s19
	v_or_b32_e32 v18, 0xf00, v0
	s_delay_alu instid0(VALU_DEP_1) | instskip(NEXT) | instid1(VALU_DEP_1)
	v_cmp_gt_u32_e64 s14, s14, v18
	s_and_saveexec_b32 s19, s14
	s_cbranch_execz .LBB91_41
; %bb.40:
	v_lshlrev_b32_e32 v16, 1, v18
	global_load_u16 v16, v16, s[20:21]
.LBB91_41:
	s_or_b32 exec_lo, exec_lo, s19
	s_waitcnt vmcnt(0)
	v_add_f16_e32 v1, v17, v1
	s_delay_alu instid0(VALU_DEP_1) | instskip(NEXT) | instid1(VALU_DEP_1)
	v_cndmask_b32_e32 v1, v17, v1, vcc_lo
	v_add_f16_e32 v2, v1, v2
	s_delay_alu instid0(VALU_DEP_1) | instskip(SKIP_1) | instid1(VALU_DEP_1)
	v_cndmask_b32_e64 v1, v1, v2, s0
	s_mov_b32 s0, exec_lo
	v_add_f16_e32 v2, v1, v3
	s_delay_alu instid0(VALU_DEP_1) | instskip(NEXT) | instid1(VALU_DEP_1)
	v_cndmask_b32_e64 v1, v1, v2, s1
	v_add_f16_e32 v2, v1, v4
	s_delay_alu instid0(VALU_DEP_1) | instskip(NEXT) | instid1(VALU_DEP_1)
	v_cndmask_b32_e64 v1, v1, v2, s2
	v_add_f16_e32 v2, v1, v5
	s_delay_alu instid0(VALU_DEP_1) | instskip(NEXT) | instid1(VALU_DEP_1)
	v_cndmask_b32_e64 v1, v1, v2, s3
	v_add_f16_e32 v2, v1, v6
	s_delay_alu instid0(VALU_DEP_1) | instskip(NEXT) | instid1(VALU_DEP_1)
	v_cndmask_b32_e64 v1, v1, v2, s4
	v_add_f16_e32 v2, v1, v7
	s_delay_alu instid0(VALU_DEP_1) | instskip(NEXT) | instid1(VALU_DEP_1)
	v_cndmask_b32_e64 v1, v1, v2, s5
	v_add_f16_e32 v2, v1, v8
	s_delay_alu instid0(VALU_DEP_1) | instskip(NEXT) | instid1(VALU_DEP_1)
	v_cndmask_b32_e64 v1, v1, v2, s6
	v_add_f16_e32 v2, v1, v9
	s_delay_alu instid0(VALU_DEP_1) | instskip(NEXT) | instid1(VALU_DEP_1)
	v_cndmask_b32_e64 v1, v1, v2, s7
	v_add_f16_e32 v2, v1, v10
	s_delay_alu instid0(VALU_DEP_1) | instskip(NEXT) | instid1(VALU_DEP_1)
	v_cndmask_b32_e64 v1, v1, v2, s8
	v_add_f16_e32 v2, v1, v11
	s_delay_alu instid0(VALU_DEP_1) | instskip(NEXT) | instid1(VALU_DEP_1)
	v_cndmask_b32_e64 v1, v1, v2, s9
	v_add_f16_e32 v2, v1, v12
	s_delay_alu instid0(VALU_DEP_1) | instskip(NEXT) | instid1(VALU_DEP_1)
	v_cndmask_b32_e64 v1, v1, v2, s10
	v_add_f16_e32 v2, v1, v13
	s_delay_alu instid0(VALU_DEP_1) | instskip(NEXT) | instid1(VALU_DEP_1)
	v_cndmask_b32_e64 v1, v1, v2, s11
	v_add_f16_e32 v2, v1, v14
	s_delay_alu instid0(VALU_DEP_1) | instskip(NEXT) | instid1(VALU_DEP_1)
	v_cndmask_b32_e64 v1, v1, v2, s12
	v_add_f16_e32 v2, v1, v15
	s_delay_alu instid0(VALU_DEP_1) | instskip(NEXT) | instid1(VALU_DEP_1)
	v_cndmask_b32_e64 v1, v1, v2, s13
	v_add_f16_e32 v2, v1, v16
	s_delay_alu instid0(VALU_DEP_1) | instskip(NEXT) | instid1(VALU_DEP_1)
	v_cndmask_b32_e64 v1, v1, v2, s14
	v_and_b32_e32 v2, 0xffff, v1
	s_delay_alu instid0(VALU_DEP_1) | instskip(NEXT) | instid1(VALU_DEP_1)
	v_mov_b32_dpp v2, v2 quad_perm:[1,0,3,2] row_mask:0xf bank_mask:0xf
	v_add_f16_e32 v1, v1, v2
	s_delay_alu instid0(VALU_DEP_1) | instskip(NEXT) | instid1(VALU_DEP_1)
	v_and_b32_e32 v2, 0xffff, v1
	v_mov_b32_dpp v2, v2 quad_perm:[2,3,0,1] row_mask:0xf bank_mask:0xf
	s_delay_alu instid0(VALU_DEP_1) | instskip(NEXT) | instid1(VALU_DEP_1)
	v_add_f16_e32 v1, v1, v2
	v_and_b32_e32 v2, 0xffff, v1
	s_delay_alu instid0(VALU_DEP_1) | instskip(NEXT) | instid1(VALU_DEP_1)
	v_mov_b32_dpp v2, v2 row_ror:4 row_mask:0xf bank_mask:0xf
	v_add_f16_e32 v1, v1, v2
	s_delay_alu instid0(VALU_DEP_1) | instskip(NEXT) | instid1(VALU_DEP_1)
	v_and_b32_e32 v2, 0xffff, v1
	v_mov_b32_dpp v2, v2 row_ror:8 row_mask:0xf bank_mask:0xf
	s_delay_alu instid0(VALU_DEP_1) | instskip(NEXT) | instid1(VALU_DEP_1)
	v_add_f16_e32 v1, v1, v2
	v_and_b32_e32 v2, 0xffff, v1
	ds_swizzle_b32 v2, v2 offset:swizzle(BROADCAST,32,15)
	s_waitcnt lgkmcnt(0)
	v_add_f16_e32 v1, v1, v2
	s_delay_alu instid0(VALU_DEP_1) | instskip(SKIP_2) | instid1(VALU_DEP_1)
	v_dual_mov_b32 v2, 0 :: v_dual_and_b32 v1, 0xffff, v1
	ds_bpermute_b32 v4, v2, v1 offset:124
	v_mbcnt_lo_u32_b32 v1, -1, 0
	v_cmpx_eq_u32_e32 0, v1
	s_cbranch_execz .LBB91_43
; %bb.42:
	v_lshrrev_b32_e32 v2, 4, v0
	s_delay_alu instid0(VALU_DEP_1)
	v_and_b32_e32 v2, 14, v2
	s_waitcnt lgkmcnt(0)
	ds_store_b16 v2, v4
.LBB91_43:
	s_or_b32 exec_lo, exec_lo, s0
	s_delay_alu instid0(SALU_CYCLE_1)
	s_mov_b32 s0, exec_lo
	s_waitcnt lgkmcnt(0)
	s_waitcnt_vscnt null, 0x0
	s_barrier
	buffer_gl0_inv
	v_cmpx_gt_u32_e32 32, v0
	s_cbranch_execz .LBB91_45
; %bb.44:
	v_and_b32_e32 v2, 7, v1
	s_delay_alu instid0(VALU_DEP_1) | instskip(SKIP_4) | instid1(VALU_DEP_2)
	v_lshlrev_b32_e32 v3, 1, v2
	v_cmp_ne_u32_e32 vcc_lo, 7, v2
	ds_load_u16 v3, v3
	v_add_co_ci_u32_e32 v4, vcc_lo, 0, v1, vcc_lo
	v_cmp_gt_u32_e32 vcc_lo, 6, v2
	v_lshlrev_b32_e32 v4, 2, v4
	s_waitcnt lgkmcnt(0)
	v_and_b32_e32 v5, 0xffff, v3
	ds_bpermute_b32 v4, v4, v5
	v_cndmask_b32_e64 v5, 0, 1, vcc_lo
	v_cmp_gt_u32_e32 vcc_lo, 4, v2
	s_delay_alu instid0(VALU_DEP_2) | instskip(SKIP_1) | instid1(VALU_DEP_1)
	v_lshlrev_b32_e32 v5, 1, v5
	v_cndmask_b32_e64 v2, 0, 1, vcc_lo
	v_lshlrev_b32_e32 v2, 2, v2
	s_waitcnt lgkmcnt(0)
	v_add_f16_e32 v3, v3, v4
	v_add_lshl_u32 v4, v5, v1, 2
	s_delay_alu instid0(VALU_DEP_3) | instskip(NEXT) | instid1(VALU_DEP_3)
	v_add_lshl_u32 v1, v2, v1, 2
	v_and_b32_e32 v5, 0xffff, v3
	ds_bpermute_b32 v4, v4, v5
	s_waitcnt lgkmcnt(0)
	v_add_f16_e32 v3, v3, v4
	s_delay_alu instid0(VALU_DEP_1)
	v_and_b32_e32 v4, 0xffff, v3
	ds_bpermute_b32 v1, v1, v4
	s_waitcnt lgkmcnt(0)
	v_add_f16_e32 v4, v3, v1
.LBB91_45:
	s_or_b32 exec_lo, exec_lo, s0
	s_branch .LBB91_69
.LBB91_46:
                                        ; implicit-def: $vgpr4
	s_cbranch_execz .LBB91_69
; %bb.47:
	s_sub_i32 s3, s22, s18
	s_mov_b32 s0, exec_lo
                                        ; implicit-def: $vgpr3
	v_cmpx_gt_u32_e64 s3, v0
	s_cbranch_execz .LBB91_53
; %bb.48:
	v_add_nc_u32_e32 v1, s18, v0
	s_mov_b32 s1, exec_lo
	s_delay_alu instid0(VALU_DEP_1) | instskip(NEXT) | instid1(VALU_DEP_1)
	v_ashrrev_i32_e32 v2, 31, v1
	v_lshlrev_b64 v[2:3], 1, v[1:2]
	v_add_nc_u32_e32 v1, 0x100, v1
	s_delay_alu instid0(VALU_DEP_2) | instskip(NEXT) | instid1(VALU_DEP_3)
	v_add_co_u32 v2, vcc_lo, s16, v2
	v_add_co_ci_u32_e32 v3, vcc_lo, s17, v3, vcc_lo
	global_load_u16 v3, v[2:3], off
	v_cmpx_gt_i32_e64 s22, v1
	s_cbranch_execz .LBB91_52
; %bb.49:
	s_mov_b32 s2, 0
.LBB91_50:                              ; =>This Inner Loop Header: Depth=1
	v_ashrrev_i32_e32 v2, 31, v1
	s_delay_alu instid0(VALU_DEP_1) | instskip(SKIP_1) | instid1(VALU_DEP_2)
	v_lshlrev_b64 v[4:5], 1, v[1:2]
	v_add_nc_u32_e32 v1, 0x100, v1
	v_add_co_u32 v4, vcc_lo, s16, v4
	s_delay_alu instid0(VALU_DEP_3) | instskip(NEXT) | instid1(VALU_DEP_3)
	v_add_co_ci_u32_e32 v5, vcc_lo, s17, v5, vcc_lo
	v_cmp_le_i32_e32 vcc_lo, s22, v1
	global_load_u16 v2, v[4:5], off
	s_or_b32 s2, vcc_lo, s2
	s_waitcnt vmcnt(0)
	v_add_f16_e32 v3, v3, v2
	s_and_not1_b32 exec_lo, exec_lo, s2
	s_cbranch_execnz .LBB91_50
; %bb.51:
	s_or_b32 exec_lo, exec_lo, s2
.LBB91_52:
	s_delay_alu instid0(SALU_CYCLE_1)
	s_or_b32 exec_lo, exec_lo, s1
.LBB91_53:
	s_delay_alu instid0(SALU_CYCLE_1)
	s_or_b32 exec_lo, exec_lo, s0
	v_mbcnt_lo_u32_b32 v1, -1, 0
	s_waitcnt vmcnt(0)
	v_and_b32_e32 v2, 0xffff, v3
	s_cmpk_lt_u32 s3, 0x100
	s_cbranch_scc0 .LBB91_63
; %bb.54:
	v_cmp_ne_u32_e32 vcc_lo, 31, v1
	v_and_b32_e32 v7, 0xe0, v0
	v_add_nc_u32_e32 v10, 2, v1
	v_cmp_gt_u32_e64 s0, 24, v1
	v_cmp_gt_u32_e64 s1, 16, v1
	v_add_co_ci_u32_e32 v4, vcc_lo, 0, v1, vcc_lo
	v_cmp_gt_u32_e32 vcc_lo, 30, v1
	s_delay_alu instid0(VALU_DEP_2)
	v_lshlrev_b32_e32 v4, 2, v4
	v_cndmask_b32_e64 v5, 0, 1, vcc_lo
	v_cmp_gt_u32_e32 vcc_lo, 28, v1
	ds_bpermute_b32 v4, v4, v2
	v_lshlrev_b32_e32 v8, 1, v5
	v_sub_nc_u32_e64 v5, s3, v7 clamp
	v_cndmask_b32_e64 v9, 0, 1, vcc_lo
	s_delay_alu instid0(VALU_DEP_3) | instskip(NEXT) | instid1(VALU_DEP_3)
	v_add_lshl_u32 v8, v8, v1, 2
	v_cmp_lt_u32_e32 vcc_lo, v10, v5
	s_waitcnt lgkmcnt(0)
	v_add_f16_e32 v6, v3, v4
	v_add_nc_u32_e32 v4, 1, v1
	s_delay_alu instid0(VALU_DEP_2) | instskip(NEXT) | instid1(VALU_DEP_2)
	v_and_b32_e32 v7, 0xffff, v6
	v_cmp_lt_u32_e64 s2, v4, v5
	s_delay_alu instid0(VALU_DEP_1) | instskip(SKIP_3) | instid1(VALU_DEP_1)
	v_cndmask_b32_e64 v4, v2, v7, s2
	ds_bpermute_b32 v7, v8, v4
	v_cndmask_b32_e64 v8, v3, v6, s2
	s_waitcnt lgkmcnt(0)
	v_add_f16_e32 v7, v7, v8
	s_delay_alu instid0(VALU_DEP_1) | instskip(SKIP_1) | instid1(VALU_DEP_2)
	v_dual_cndmask_b32 v10, v8, v7 :: v_dual_lshlrev_b32 v9, 2, v9
	v_and_b32_e32 v11, 0xffff, v7
	v_add_lshl_u32 v9, v9, v1, 2
	s_delay_alu instid0(VALU_DEP_2)
	v_cndmask_b32_e32 v4, v4, v11, vcc_lo
	v_cndmask_b32_e64 v11, 0, 1, s0
	ds_bpermute_b32 v9, v9, v4
	s_waitcnt lgkmcnt(0)
	v_add_f16_e32 v8, v9, v10
	v_lshlrev_b32_e32 v9, 3, v11
	v_add_nc_u32_e32 v11, 4, v1
	s_delay_alu instid0(VALU_DEP_3) | instskip(NEXT) | instid1(VALU_DEP_3)
	v_and_b32_e32 v12, 0xffff, v8
	v_add_lshl_u32 v9, v9, v1, 2
	s_delay_alu instid0(VALU_DEP_3) | instskip(SKIP_1) | instid1(VALU_DEP_2)
	v_cmp_lt_u32_e64 s0, v11, v5
	v_cndmask_b32_e64 v11, 0, 1, s1
	v_cndmask_b32_e64 v4, v4, v12, s0
	;; [unrolled: 1-line block ×3, first 2 shown]
	v_add_nc_u32_e32 v12, 8, v1
	s_delay_alu instid0(VALU_DEP_4)
	v_lshlrev_b32_e32 v11, 4, v11
	ds_bpermute_b32 v9, v9, v4
	v_cmp_lt_u32_e64 s1, v12, v5
	v_add_lshl_u32 v11, v11, v1, 2
	s_waitcnt lgkmcnt(0)
	v_add_f16_e32 v9, v9, v10
	s_delay_alu instid0(VALU_DEP_1) | instskip(NEXT) | instid1(VALU_DEP_1)
	v_and_b32_e32 v13, 0xffff, v9
	v_cndmask_b32_e64 v4, v4, v13, s1
	ds_bpermute_b32 v11, v11, v4
	v_mov_b32_e32 v4, v3
	s_and_saveexec_b32 s4, s2
	s_cbranch_execz .LBB91_56
; %bb.55:
	v_dual_cndmask_b32 v4, v6, v7 :: v_dual_add_nc_u32 v7, 16, v1
	v_cndmask_b32_e64 v6, v10, v9, s1
	s_delay_alu instid0(VALU_DEP_2) | instskip(NEXT) | instid1(VALU_DEP_3)
	v_cndmask_b32_e64 v4, v4, v8, s0
	v_cmp_lt_u32_e32 vcc_lo, v7, v5
	s_waitcnt lgkmcnt(0)
	s_delay_alu instid0(VALU_DEP_3) | instskip(NEXT) | instid1(VALU_DEP_3)
	v_add_f16_e32 v6, v11, v6
	v_cndmask_b32_e64 v4, v4, v9, s1
	s_delay_alu instid0(VALU_DEP_1)
	v_cndmask_b32_e32 v4, v4, v6, vcc_lo
.LBB91_56:
	s_or_b32 exec_lo, exec_lo, s4
	s_delay_alu instid0(SALU_CYCLE_1)
	s_mov_b32 s0, exec_lo
	v_cmpx_eq_u32_e32 0, v1
	s_cbranch_execz .LBB91_58
; %bb.57:
	v_lshrrev_b32_e32 v5, 4, v0
	s_delay_alu instid0(VALU_DEP_1)
	v_and_b32_e32 v5, 14, v5
	ds_store_b16 v5, v4
.LBB91_58:
	s_or_b32 exec_lo, exec_lo, s0
	s_delay_alu instid0(SALU_CYCLE_1)
	s_mov_b32 s1, exec_lo
	s_waitcnt lgkmcnt(0)
	s_waitcnt_vscnt null, 0x0
	s_barrier
	buffer_gl0_inv
	v_cmpx_gt_u32_e32 8, v0
	s_cbranch_execz .LBB91_62
; %bb.59:
	v_lshlrev_b32_e32 v4, 1, v1
	v_and_b32_e32 v5, 7, v1
	s_add_i32 s3, s3, 31
	s_delay_alu instid0(SALU_CYCLE_1)
	s_lshr_b32 s2, s3, 5
	ds_load_u16 v4, v4
	v_cmp_ne_u32_e32 vcc_lo, 7, v5
	v_add_nc_u32_e32 v9, 1, v5
	v_add_co_ci_u32_e32 v6, vcc_lo, 0, v1, vcc_lo
	v_cmp_gt_u32_e32 vcc_lo, 6, v5
	s_delay_alu instid0(VALU_DEP_3) | instskip(NEXT) | instid1(VALU_DEP_3)
	v_cmp_gt_u32_e64 s0, s2, v9
	v_lshlrev_b32_e32 v6, 2, v6
	v_cndmask_b32_e64 v8, 0, 1, vcc_lo
	v_cmp_gt_u32_e32 vcc_lo, 4, v5
	s_delay_alu instid0(VALU_DEP_2) | instskip(SKIP_2) | instid1(VALU_DEP_2)
	v_lshlrev_b32_e32 v8, 1, v8
	s_waitcnt lgkmcnt(0)
	v_and_b32_e32 v7, 0xffff, v4
	v_add_lshl_u32 v8, v8, v1, 2
	ds_bpermute_b32 v6, v6, v7
	s_waitcnt lgkmcnt(0)
	v_add_f16_e32 v6, v4, v6
	s_delay_alu instid0(VALU_DEP_1) | instskip(NEXT) | instid1(VALU_DEP_1)
	v_and_b32_e32 v10, 0xffff, v6
	v_cndmask_b32_e64 v9, v7, v10, s0
	v_add_nc_u32_e32 v10, 2, v5
	ds_bpermute_b32 v7, v8, v9
	v_cndmask_b32_e64 v8, v4, v6, s0
	s_waitcnt lgkmcnt(0)
	s_delay_alu instid0(VALU_DEP_1) | instskip(SKIP_2) | instid1(VALU_DEP_3)
	v_add_f16_e32 v7, v7, v8
	v_cndmask_b32_e64 v8, 0, 1, vcc_lo
	v_cmp_gt_u32_e32 vcc_lo, s2, v10
	v_and_b32_e32 v11, 0xffff, v7
	s_delay_alu instid0(VALU_DEP_1) | instskip(NEXT) | instid1(VALU_DEP_1)
	v_dual_cndmask_b32 v9, v9, v11 :: v_dual_lshlrev_b32 v8, 2, v8
	v_add_lshl_u32 v8, v8, v1, 2
	ds_bpermute_b32 v8, v8, v9
	s_and_saveexec_b32 s3, s0
	s_cbranch_execz .LBB91_61
; %bb.60:
	v_dual_cndmask_b32 v4, v6, v7 :: v_dual_add_nc_u32 v5, 4, v5
	s_waitcnt lgkmcnt(0)
	s_delay_alu instid0(VALU_DEP_1) | instskip(NEXT) | instid1(VALU_DEP_2)
	v_add_f16_e32 v6, v8, v4
	v_cmp_gt_u32_e32 vcc_lo, s2, v5
	s_delay_alu instid0(VALU_DEP_2)
	v_cndmask_b32_e32 v4, v4, v6, vcc_lo
.LBB91_61:
	s_or_b32 exec_lo, exec_lo, s3
.LBB91_62:
	s_delay_alu instid0(SALU_CYCLE_1)
	s_or_b32 exec_lo, exec_lo, s1
	s_branch .LBB91_69
.LBB91_63:
                                        ; implicit-def: $vgpr4
	s_cbranch_execz .LBB91_69
; %bb.64:
	s_delay_alu instid0(VALU_DEP_1) | instskip(SKIP_1) | instid1(VALU_DEP_1)
	v_mov_b32_dpp v2, v2 quad_perm:[1,0,3,2] row_mask:0xf bank_mask:0xf
	s_mov_b32 s0, exec_lo
	v_add_f16_e32 v2, v3, v2
	s_delay_alu instid0(VALU_DEP_1) | instskip(NEXT) | instid1(VALU_DEP_1)
	v_and_b32_e32 v3, 0xffff, v2
	v_mov_b32_dpp v3, v3 quad_perm:[2,3,0,1] row_mask:0xf bank_mask:0xf
	s_delay_alu instid0(VALU_DEP_1) | instskip(NEXT) | instid1(VALU_DEP_1)
	v_add_f16_e32 v2, v2, v3
	v_and_b32_e32 v3, 0xffff, v2
	s_delay_alu instid0(VALU_DEP_1) | instskip(NEXT) | instid1(VALU_DEP_1)
	v_mov_b32_dpp v3, v3 row_ror:4 row_mask:0xf bank_mask:0xf
	v_add_f16_e32 v2, v2, v3
	s_delay_alu instid0(VALU_DEP_1) | instskip(NEXT) | instid1(VALU_DEP_1)
	v_and_b32_e32 v3, 0xffff, v2
	v_mov_b32_dpp v3, v3 row_ror:8 row_mask:0xf bank_mask:0xf
	s_delay_alu instid0(VALU_DEP_1) | instskip(NEXT) | instid1(VALU_DEP_1)
	v_add_f16_e32 v2, v2, v3
	v_and_b32_e32 v3, 0xffff, v2
	ds_swizzle_b32 v3, v3 offset:swizzle(BROADCAST,32,15)
	s_waitcnt lgkmcnt(0)
	v_add_f16_e32 v2, v2, v3
	s_delay_alu instid0(VALU_DEP_1)
	v_dual_mov_b32 v3, 0 :: v_dual_and_b32 v2, 0xffff, v2
	ds_bpermute_b32 v4, v3, v2 offset:124
	v_cmpx_eq_u32_e32 0, v1
	s_cbranch_execz .LBB91_66
; %bb.65:
	v_lshrrev_b32_e32 v2, 4, v0
	s_delay_alu instid0(VALU_DEP_1)
	v_and_b32_e32 v2, 14, v2
	s_waitcnt lgkmcnt(0)
	ds_store_b16 v2, v4
.LBB91_66:
	s_or_b32 exec_lo, exec_lo, s0
	s_delay_alu instid0(SALU_CYCLE_1)
	s_mov_b32 s0, exec_lo
	s_waitcnt lgkmcnt(0)
	s_waitcnt_vscnt null, 0x0
	s_barrier
	buffer_gl0_inv
	v_cmpx_gt_u32_e32 32, v0
	s_cbranch_execz .LBB91_68
; %bb.67:
	v_and_b32_e32 v2, 7, v1
	s_delay_alu instid0(VALU_DEP_1) | instskip(SKIP_4) | instid1(VALU_DEP_2)
	v_lshlrev_b32_e32 v3, 1, v2
	v_cmp_ne_u32_e32 vcc_lo, 7, v2
	ds_load_u16 v3, v3
	v_add_co_ci_u32_e32 v4, vcc_lo, 0, v1, vcc_lo
	v_cmp_gt_u32_e32 vcc_lo, 6, v2
	v_lshlrev_b32_e32 v4, 2, v4
	s_waitcnt lgkmcnt(0)
	v_and_b32_e32 v5, 0xffff, v3
	ds_bpermute_b32 v4, v4, v5
	v_cndmask_b32_e64 v5, 0, 1, vcc_lo
	v_cmp_gt_u32_e32 vcc_lo, 4, v2
	s_delay_alu instid0(VALU_DEP_2) | instskip(SKIP_1) | instid1(VALU_DEP_1)
	v_lshlrev_b32_e32 v5, 1, v5
	v_cndmask_b32_e64 v2, 0, 1, vcc_lo
	v_lshlrev_b32_e32 v2, 2, v2
	s_waitcnt lgkmcnt(0)
	v_add_f16_e32 v3, v3, v4
	v_add_lshl_u32 v4, v5, v1, 2
	s_delay_alu instid0(VALU_DEP_3) | instskip(NEXT) | instid1(VALU_DEP_3)
	v_add_lshl_u32 v1, v2, v1, 2
	v_and_b32_e32 v5, 0xffff, v3
	ds_bpermute_b32 v4, v4, v5
	s_waitcnt lgkmcnt(0)
	v_add_f16_e32 v3, v3, v4
	s_delay_alu instid0(VALU_DEP_1)
	v_and_b32_e32 v4, 0xffff, v3
	ds_bpermute_b32 v1, v1, v4
	s_waitcnt lgkmcnt(0)
	v_add_f16_e32 v4, v3, v1
.LBB91_68:
	s_or_b32 exec_lo, exec_lo, s0
.LBB91_69:
	s_delay_alu instid0(SALU_CYCLE_1)
	s_mov_b32 s0, exec_lo
	v_cmpx_eq_u32_e32 0, v0
	s_cbranch_execz .LBB91_71
; %bb.70:
	s_lshl_b64 s[0:1], s[24:25], 1
	v_mov_b32_e32 v0, 0
	v_add_f16_e32 v1, s15, v4
	s_add_u32 s0, s26, s0
	s_addc_u32 s1, s27, s1
	global_store_b16 v0, v1, s[0:1]
.LBB91_71:
	s_nop 0
	s_sendmsg sendmsg(MSG_DEALLOC_VGPRS)
	s_endpgm
	.section	.rodata,"a",@progbits
	.p2align	6, 0x0
	.amdhsa_kernel _ZN7rocprim17ROCPRIM_400000_NS6detail17trampoline_kernelINS0_14default_configENS1_32segmented_reduce_config_selectorIN3c104HalfEEEZNS1_21segmented_reduce_implIS3_PKS6_PS6_PKiS6_N6hipcub16HIPCUB_304000_NS6detail27convert_result_type_wrapperISA_SB_N2at6native12_GLOBAL__N_19CustomSumEEEEE10hipError_tPvRmT0_T1_jT2_SS_T4_T3_P12ihipStream_tbEUlT_E_NS1_11comp_targetILNS1_3genE9ELNS1_11target_archE1100ELNS1_3gpuE3ELNS1_3repE0EEENS1_30default_config_static_selectorELNS0_4arch9wavefront6targetE0EEEvSR_
		.amdhsa_group_segment_fixed_size 16
		.amdhsa_private_segment_fixed_size 0
		.amdhsa_kernarg_size 48
		.amdhsa_user_sgpr_count 15
		.amdhsa_user_sgpr_dispatch_ptr 0
		.amdhsa_user_sgpr_queue_ptr 0
		.amdhsa_user_sgpr_kernarg_segment_ptr 1
		.amdhsa_user_sgpr_dispatch_id 0
		.amdhsa_user_sgpr_private_segment_size 0
		.amdhsa_wavefront_size32 1
		.amdhsa_uses_dynamic_stack 0
		.amdhsa_enable_private_segment 0
		.amdhsa_system_sgpr_workgroup_id_x 1
		.amdhsa_system_sgpr_workgroup_id_y 0
		.amdhsa_system_sgpr_workgroup_id_z 0
		.amdhsa_system_sgpr_workgroup_info 0
		.amdhsa_system_vgpr_workitem_id 0
		.amdhsa_next_free_vgpr 23
		.amdhsa_next_free_sgpr 28
		.amdhsa_reserve_vcc 1
		.amdhsa_float_round_mode_32 0
		.amdhsa_float_round_mode_16_64 0
		.amdhsa_float_denorm_mode_32 3
		.amdhsa_float_denorm_mode_16_64 3
		.amdhsa_dx10_clamp 1
		.amdhsa_ieee_mode 1
		.amdhsa_fp16_overflow 0
		.amdhsa_workgroup_processor_mode 1
		.amdhsa_memory_ordered 1
		.amdhsa_forward_progress 0
		.amdhsa_shared_vgpr_count 0
		.amdhsa_exception_fp_ieee_invalid_op 0
		.amdhsa_exception_fp_denorm_src 0
		.amdhsa_exception_fp_ieee_div_zero 0
		.amdhsa_exception_fp_ieee_overflow 0
		.amdhsa_exception_fp_ieee_underflow 0
		.amdhsa_exception_fp_ieee_inexact 0
		.amdhsa_exception_int_div_zero 0
	.end_amdhsa_kernel
	.section	.text._ZN7rocprim17ROCPRIM_400000_NS6detail17trampoline_kernelINS0_14default_configENS1_32segmented_reduce_config_selectorIN3c104HalfEEEZNS1_21segmented_reduce_implIS3_PKS6_PS6_PKiS6_N6hipcub16HIPCUB_304000_NS6detail27convert_result_type_wrapperISA_SB_N2at6native12_GLOBAL__N_19CustomSumEEEEE10hipError_tPvRmT0_T1_jT2_SS_T4_T3_P12ihipStream_tbEUlT_E_NS1_11comp_targetILNS1_3genE9ELNS1_11target_archE1100ELNS1_3gpuE3ELNS1_3repE0EEENS1_30default_config_static_selectorELNS0_4arch9wavefront6targetE0EEEvSR_,"axG",@progbits,_ZN7rocprim17ROCPRIM_400000_NS6detail17trampoline_kernelINS0_14default_configENS1_32segmented_reduce_config_selectorIN3c104HalfEEEZNS1_21segmented_reduce_implIS3_PKS6_PS6_PKiS6_N6hipcub16HIPCUB_304000_NS6detail27convert_result_type_wrapperISA_SB_N2at6native12_GLOBAL__N_19CustomSumEEEEE10hipError_tPvRmT0_T1_jT2_SS_T4_T3_P12ihipStream_tbEUlT_E_NS1_11comp_targetILNS1_3genE9ELNS1_11target_archE1100ELNS1_3gpuE3ELNS1_3repE0EEENS1_30default_config_static_selectorELNS0_4arch9wavefront6targetE0EEEvSR_,comdat
.Lfunc_end91:
	.size	_ZN7rocprim17ROCPRIM_400000_NS6detail17trampoline_kernelINS0_14default_configENS1_32segmented_reduce_config_selectorIN3c104HalfEEEZNS1_21segmented_reduce_implIS3_PKS6_PS6_PKiS6_N6hipcub16HIPCUB_304000_NS6detail27convert_result_type_wrapperISA_SB_N2at6native12_GLOBAL__N_19CustomSumEEEEE10hipError_tPvRmT0_T1_jT2_SS_T4_T3_P12ihipStream_tbEUlT_E_NS1_11comp_targetILNS1_3genE9ELNS1_11target_archE1100ELNS1_3gpuE3ELNS1_3repE0EEENS1_30default_config_static_selectorELNS0_4arch9wavefront6targetE0EEEvSR_, .Lfunc_end91-_ZN7rocprim17ROCPRIM_400000_NS6detail17trampoline_kernelINS0_14default_configENS1_32segmented_reduce_config_selectorIN3c104HalfEEEZNS1_21segmented_reduce_implIS3_PKS6_PS6_PKiS6_N6hipcub16HIPCUB_304000_NS6detail27convert_result_type_wrapperISA_SB_N2at6native12_GLOBAL__N_19CustomSumEEEEE10hipError_tPvRmT0_T1_jT2_SS_T4_T3_P12ihipStream_tbEUlT_E_NS1_11comp_targetILNS1_3genE9ELNS1_11target_archE1100ELNS1_3gpuE3ELNS1_3repE0EEENS1_30default_config_static_selectorELNS0_4arch9wavefront6targetE0EEEvSR_
                                        ; -- End function
	.section	.AMDGPU.csdata,"",@progbits
; Kernel info:
; codeLenInByte = 3752
; NumSgprs: 30
; NumVgprs: 23
; ScratchSize: 0
; MemoryBound: 0
; FloatMode: 240
; IeeeMode: 1
; LDSByteSize: 16 bytes/workgroup (compile time only)
; SGPRBlocks: 3
; VGPRBlocks: 2
; NumSGPRsForWavesPerEU: 30
; NumVGPRsForWavesPerEU: 23
; Occupancy: 16
; WaveLimiterHint : 1
; COMPUTE_PGM_RSRC2:SCRATCH_EN: 0
; COMPUTE_PGM_RSRC2:USER_SGPR: 15
; COMPUTE_PGM_RSRC2:TRAP_HANDLER: 0
; COMPUTE_PGM_RSRC2:TGID_X_EN: 1
; COMPUTE_PGM_RSRC2:TGID_Y_EN: 0
; COMPUTE_PGM_RSRC2:TGID_Z_EN: 0
; COMPUTE_PGM_RSRC2:TIDIG_COMP_CNT: 0
	.section	.text._ZN7rocprim17ROCPRIM_400000_NS6detail17trampoline_kernelINS0_14default_configENS1_32segmented_reduce_config_selectorIN3c104HalfEEEZNS1_21segmented_reduce_implIS3_PKS6_PS6_PKiS6_N6hipcub16HIPCUB_304000_NS6detail27convert_result_type_wrapperISA_SB_N2at6native12_GLOBAL__N_19CustomSumEEEEE10hipError_tPvRmT0_T1_jT2_SS_T4_T3_P12ihipStream_tbEUlT_E_NS1_11comp_targetILNS1_3genE8ELNS1_11target_archE1030ELNS1_3gpuE2ELNS1_3repE0EEENS1_30default_config_static_selectorELNS0_4arch9wavefront6targetE0EEEvSR_,"axG",@progbits,_ZN7rocprim17ROCPRIM_400000_NS6detail17trampoline_kernelINS0_14default_configENS1_32segmented_reduce_config_selectorIN3c104HalfEEEZNS1_21segmented_reduce_implIS3_PKS6_PS6_PKiS6_N6hipcub16HIPCUB_304000_NS6detail27convert_result_type_wrapperISA_SB_N2at6native12_GLOBAL__N_19CustomSumEEEEE10hipError_tPvRmT0_T1_jT2_SS_T4_T3_P12ihipStream_tbEUlT_E_NS1_11comp_targetILNS1_3genE8ELNS1_11target_archE1030ELNS1_3gpuE2ELNS1_3repE0EEENS1_30default_config_static_selectorELNS0_4arch9wavefront6targetE0EEEvSR_,comdat
	.globl	_ZN7rocprim17ROCPRIM_400000_NS6detail17trampoline_kernelINS0_14default_configENS1_32segmented_reduce_config_selectorIN3c104HalfEEEZNS1_21segmented_reduce_implIS3_PKS6_PS6_PKiS6_N6hipcub16HIPCUB_304000_NS6detail27convert_result_type_wrapperISA_SB_N2at6native12_GLOBAL__N_19CustomSumEEEEE10hipError_tPvRmT0_T1_jT2_SS_T4_T3_P12ihipStream_tbEUlT_E_NS1_11comp_targetILNS1_3genE8ELNS1_11target_archE1030ELNS1_3gpuE2ELNS1_3repE0EEENS1_30default_config_static_selectorELNS0_4arch9wavefront6targetE0EEEvSR_ ; -- Begin function _ZN7rocprim17ROCPRIM_400000_NS6detail17trampoline_kernelINS0_14default_configENS1_32segmented_reduce_config_selectorIN3c104HalfEEEZNS1_21segmented_reduce_implIS3_PKS6_PS6_PKiS6_N6hipcub16HIPCUB_304000_NS6detail27convert_result_type_wrapperISA_SB_N2at6native12_GLOBAL__N_19CustomSumEEEEE10hipError_tPvRmT0_T1_jT2_SS_T4_T3_P12ihipStream_tbEUlT_E_NS1_11comp_targetILNS1_3genE8ELNS1_11target_archE1030ELNS1_3gpuE2ELNS1_3repE0EEENS1_30default_config_static_selectorELNS0_4arch9wavefront6targetE0EEEvSR_
	.p2align	8
	.type	_ZN7rocprim17ROCPRIM_400000_NS6detail17trampoline_kernelINS0_14default_configENS1_32segmented_reduce_config_selectorIN3c104HalfEEEZNS1_21segmented_reduce_implIS3_PKS6_PS6_PKiS6_N6hipcub16HIPCUB_304000_NS6detail27convert_result_type_wrapperISA_SB_N2at6native12_GLOBAL__N_19CustomSumEEEEE10hipError_tPvRmT0_T1_jT2_SS_T4_T3_P12ihipStream_tbEUlT_E_NS1_11comp_targetILNS1_3genE8ELNS1_11target_archE1030ELNS1_3gpuE2ELNS1_3repE0EEENS1_30default_config_static_selectorELNS0_4arch9wavefront6targetE0EEEvSR_,@function
_ZN7rocprim17ROCPRIM_400000_NS6detail17trampoline_kernelINS0_14default_configENS1_32segmented_reduce_config_selectorIN3c104HalfEEEZNS1_21segmented_reduce_implIS3_PKS6_PS6_PKiS6_N6hipcub16HIPCUB_304000_NS6detail27convert_result_type_wrapperISA_SB_N2at6native12_GLOBAL__N_19CustomSumEEEEE10hipError_tPvRmT0_T1_jT2_SS_T4_T3_P12ihipStream_tbEUlT_E_NS1_11comp_targetILNS1_3genE8ELNS1_11target_archE1030ELNS1_3gpuE2ELNS1_3repE0EEENS1_30default_config_static_selectorELNS0_4arch9wavefront6targetE0EEEvSR_: ; @_ZN7rocprim17ROCPRIM_400000_NS6detail17trampoline_kernelINS0_14default_configENS1_32segmented_reduce_config_selectorIN3c104HalfEEEZNS1_21segmented_reduce_implIS3_PKS6_PS6_PKiS6_N6hipcub16HIPCUB_304000_NS6detail27convert_result_type_wrapperISA_SB_N2at6native12_GLOBAL__N_19CustomSumEEEEE10hipError_tPvRmT0_T1_jT2_SS_T4_T3_P12ihipStream_tbEUlT_E_NS1_11comp_targetILNS1_3genE8ELNS1_11target_archE1030ELNS1_3gpuE2ELNS1_3repE0EEENS1_30default_config_static_selectorELNS0_4arch9wavefront6targetE0EEEvSR_
; %bb.0:
	.section	.rodata,"a",@progbits
	.p2align	6, 0x0
	.amdhsa_kernel _ZN7rocprim17ROCPRIM_400000_NS6detail17trampoline_kernelINS0_14default_configENS1_32segmented_reduce_config_selectorIN3c104HalfEEEZNS1_21segmented_reduce_implIS3_PKS6_PS6_PKiS6_N6hipcub16HIPCUB_304000_NS6detail27convert_result_type_wrapperISA_SB_N2at6native12_GLOBAL__N_19CustomSumEEEEE10hipError_tPvRmT0_T1_jT2_SS_T4_T3_P12ihipStream_tbEUlT_E_NS1_11comp_targetILNS1_3genE8ELNS1_11target_archE1030ELNS1_3gpuE2ELNS1_3repE0EEENS1_30default_config_static_selectorELNS0_4arch9wavefront6targetE0EEEvSR_
		.amdhsa_group_segment_fixed_size 0
		.amdhsa_private_segment_fixed_size 0
		.amdhsa_kernarg_size 48
		.amdhsa_user_sgpr_count 15
		.amdhsa_user_sgpr_dispatch_ptr 0
		.amdhsa_user_sgpr_queue_ptr 0
		.amdhsa_user_sgpr_kernarg_segment_ptr 1
		.amdhsa_user_sgpr_dispatch_id 0
		.amdhsa_user_sgpr_private_segment_size 0
		.amdhsa_wavefront_size32 1
		.amdhsa_uses_dynamic_stack 0
		.amdhsa_enable_private_segment 0
		.amdhsa_system_sgpr_workgroup_id_x 1
		.amdhsa_system_sgpr_workgroup_id_y 0
		.amdhsa_system_sgpr_workgroup_id_z 0
		.amdhsa_system_sgpr_workgroup_info 0
		.amdhsa_system_vgpr_workitem_id 0
		.amdhsa_next_free_vgpr 1
		.amdhsa_next_free_sgpr 1
		.amdhsa_reserve_vcc 0
		.amdhsa_float_round_mode_32 0
		.amdhsa_float_round_mode_16_64 0
		.amdhsa_float_denorm_mode_32 3
		.amdhsa_float_denorm_mode_16_64 3
		.amdhsa_dx10_clamp 1
		.amdhsa_ieee_mode 1
		.amdhsa_fp16_overflow 0
		.amdhsa_workgroup_processor_mode 1
		.amdhsa_memory_ordered 1
		.amdhsa_forward_progress 0
		.amdhsa_shared_vgpr_count 0
		.amdhsa_exception_fp_ieee_invalid_op 0
		.amdhsa_exception_fp_denorm_src 0
		.amdhsa_exception_fp_ieee_div_zero 0
		.amdhsa_exception_fp_ieee_overflow 0
		.amdhsa_exception_fp_ieee_underflow 0
		.amdhsa_exception_fp_ieee_inexact 0
		.amdhsa_exception_int_div_zero 0
	.end_amdhsa_kernel
	.section	.text._ZN7rocprim17ROCPRIM_400000_NS6detail17trampoline_kernelINS0_14default_configENS1_32segmented_reduce_config_selectorIN3c104HalfEEEZNS1_21segmented_reduce_implIS3_PKS6_PS6_PKiS6_N6hipcub16HIPCUB_304000_NS6detail27convert_result_type_wrapperISA_SB_N2at6native12_GLOBAL__N_19CustomSumEEEEE10hipError_tPvRmT0_T1_jT2_SS_T4_T3_P12ihipStream_tbEUlT_E_NS1_11comp_targetILNS1_3genE8ELNS1_11target_archE1030ELNS1_3gpuE2ELNS1_3repE0EEENS1_30default_config_static_selectorELNS0_4arch9wavefront6targetE0EEEvSR_,"axG",@progbits,_ZN7rocprim17ROCPRIM_400000_NS6detail17trampoline_kernelINS0_14default_configENS1_32segmented_reduce_config_selectorIN3c104HalfEEEZNS1_21segmented_reduce_implIS3_PKS6_PS6_PKiS6_N6hipcub16HIPCUB_304000_NS6detail27convert_result_type_wrapperISA_SB_N2at6native12_GLOBAL__N_19CustomSumEEEEE10hipError_tPvRmT0_T1_jT2_SS_T4_T3_P12ihipStream_tbEUlT_E_NS1_11comp_targetILNS1_3genE8ELNS1_11target_archE1030ELNS1_3gpuE2ELNS1_3repE0EEENS1_30default_config_static_selectorELNS0_4arch9wavefront6targetE0EEEvSR_,comdat
.Lfunc_end92:
	.size	_ZN7rocprim17ROCPRIM_400000_NS6detail17trampoline_kernelINS0_14default_configENS1_32segmented_reduce_config_selectorIN3c104HalfEEEZNS1_21segmented_reduce_implIS3_PKS6_PS6_PKiS6_N6hipcub16HIPCUB_304000_NS6detail27convert_result_type_wrapperISA_SB_N2at6native12_GLOBAL__N_19CustomSumEEEEE10hipError_tPvRmT0_T1_jT2_SS_T4_T3_P12ihipStream_tbEUlT_E_NS1_11comp_targetILNS1_3genE8ELNS1_11target_archE1030ELNS1_3gpuE2ELNS1_3repE0EEENS1_30default_config_static_selectorELNS0_4arch9wavefront6targetE0EEEvSR_, .Lfunc_end92-_ZN7rocprim17ROCPRIM_400000_NS6detail17trampoline_kernelINS0_14default_configENS1_32segmented_reduce_config_selectorIN3c104HalfEEEZNS1_21segmented_reduce_implIS3_PKS6_PS6_PKiS6_N6hipcub16HIPCUB_304000_NS6detail27convert_result_type_wrapperISA_SB_N2at6native12_GLOBAL__N_19CustomSumEEEEE10hipError_tPvRmT0_T1_jT2_SS_T4_T3_P12ihipStream_tbEUlT_E_NS1_11comp_targetILNS1_3genE8ELNS1_11target_archE1030ELNS1_3gpuE2ELNS1_3repE0EEENS1_30default_config_static_selectorELNS0_4arch9wavefront6targetE0EEEvSR_
                                        ; -- End function
	.section	.AMDGPU.csdata,"",@progbits
; Kernel info:
; codeLenInByte = 0
; NumSgprs: 0
; NumVgprs: 0
; ScratchSize: 0
; MemoryBound: 0
; FloatMode: 240
; IeeeMode: 1
; LDSByteSize: 0 bytes/workgroup (compile time only)
; SGPRBlocks: 0
; VGPRBlocks: 0
; NumSGPRsForWavesPerEU: 1
; NumVGPRsForWavesPerEU: 1
; Occupancy: 16
; WaveLimiterHint : 0
; COMPUTE_PGM_RSRC2:SCRATCH_EN: 0
; COMPUTE_PGM_RSRC2:USER_SGPR: 15
; COMPUTE_PGM_RSRC2:TRAP_HANDLER: 0
; COMPUTE_PGM_RSRC2:TGID_X_EN: 1
; COMPUTE_PGM_RSRC2:TGID_Y_EN: 0
; COMPUTE_PGM_RSRC2:TGID_Z_EN: 0
; COMPUTE_PGM_RSRC2:TIDIG_COMP_CNT: 0
	.section	.text._ZN2at6native12_GLOBAL__N_119post_sum_div_kernelIN3c104HalfEiEEvPT_PKT0_lbS5_,"axG",@progbits,_ZN2at6native12_GLOBAL__N_119post_sum_div_kernelIN3c104HalfEiEEvPT_PKT0_lbS5_,comdat
	.globl	_ZN2at6native12_GLOBAL__N_119post_sum_div_kernelIN3c104HalfEiEEvPT_PKT0_lbS5_ ; -- Begin function _ZN2at6native12_GLOBAL__N_119post_sum_div_kernelIN3c104HalfEiEEvPT_PKT0_lbS5_
	.p2align	8
	.type	_ZN2at6native12_GLOBAL__N_119post_sum_div_kernelIN3c104HalfEiEEvPT_PKT0_lbS5_,@function
_ZN2at6native12_GLOBAL__N_119post_sum_div_kernelIN3c104HalfEiEEvPT_PKT0_lbS5_: ; @_ZN2at6native12_GLOBAL__N_119post_sum_div_kernelIN3c104HalfEiEEvPT_PKT0_lbS5_
; %bb.0:
	s_clause 0x1
	s_load_b32 s6, s[0:1], 0x2c
	s_load_b64 s[2:3], s[0:1], 0x10
	v_mov_b32_e32 v1, 0
	s_add_u32 s4, s0, 32
	s_addc_u32 s5, s1, 0
	s_waitcnt lgkmcnt(0)
	s_and_b32 s8, s6, 0xffff
	s_mov_b32 s6, exec_lo
	v_mad_u64_u32 v[2:3], null, s8, s15, v[0:1]
	s_delay_alu instid0(VALU_DEP_1)
	v_cmpx_gt_i64_e64 s[2:3], v[2:3]
	s_cbranch_execz .LBB93_15
; %bb.1:
	s_load_b32 s9, s[0:1], 0x18
	s_load_b32 s10, s[4:5], 0x0
	s_load_b128 s[4:7], s[0:1], 0x0
	v_dual_mov_b32 v0, v1 :: v_dual_mov_b32 v1, v2
	v_mov_b32_e32 v6, 0x7e00
	s_mov_b32 s1, 0
                                        ; implicit-def: $sgpr11
                                        ; implicit-def: $sgpr14
                                        ; implicit-def: $sgpr13
	s_waitcnt lgkmcnt(0)
	s_bitcmp1_b32 s9, 0
	s_mul_i32 s8, s10, s8
	s_cselect_b32 s0, -1, 0
	s_lshr_b32 s9, s9, 16
	s_xor_b32 s10, s0, -1
	s_mov_b32 s12, s8
	s_branch .LBB93_4
.LBB93_2:                               ;   in Loop: Header=BB93_4 Depth=1
	s_or_b32 exec_lo, exec_lo, s0
	v_add_co_u32 v2, vcc_lo, v2, s8
	v_add_co_ci_u32_e32 v3, vcc_lo, 0, v3, vcc_lo
	v_add_co_u32 v0, s0, v0, 0
	s_delay_alu instid0(VALU_DEP_1) | instskip(NEXT) | instid1(VALU_DEP_3)
	v_add_co_ci_u32_e64 v1, s0, s12, v1, s0
	v_cmp_le_i64_e32 vcc_lo, s[2:3], v[2:3]
	s_and_not1_b32 s0, s14, exec_lo
	s_and_not1_b32 s13, s13, exec_lo
	s_and_b32 s14, vcc_lo, exec_lo
	s_delay_alu instid0(SALU_CYCLE_1)
	s_or_b32 s14, s0, s14
.LBB93_3:                               ;   in Loop: Header=BB93_4 Depth=1
	s_or_b32 exec_lo, exec_lo, s15
	s_delay_alu instid0(SALU_CYCLE_1) | instskip(NEXT) | instid1(SALU_CYCLE_1)
	s_and_b32 s0, exec_lo, s14
	s_or_b32 s1, s0, s1
	s_and_not1_b32 s0, s11, exec_lo
	s_and_b32 s11, s13, exec_lo
	s_delay_alu instid0(SALU_CYCLE_1)
	s_or_b32 s11, s0, s11
	s_and_not1_b32 exec_lo, exec_lo, s1
	s_cbranch_execz .LBB93_14
.LBB93_4:                               ; =>This Inner Loop Header: Depth=1
	v_ashrrev_i64 v[4:5], 30, v[0:1]
	s_or_b32 s13, s13, exec_lo
	s_or_b32 s14, s14, exec_lo
	s_mov_b32 s15, exec_lo
	s_delay_alu instid0(VALU_DEP_1) | instskip(NEXT) | instid1(VALU_DEP_2)
	v_add_co_u32 v4, vcc_lo, s6, v4
	v_add_co_ci_u32_e32 v5, vcc_lo, s7, v5, vcc_lo
	global_load_b32 v7, v[4:5], off
	s_waitcnt vmcnt(0)
	v_cmpx_lt_i32_e32 -1, v7
	s_cbranch_execz .LBB93_3
; %bb.5:                                ;   in Loop: Header=BB93_4 Depth=1
	v_ashrrev_i32_e32 v5, 31, v1
	v_mov_b32_e32 v4, v1
	s_delay_alu instid0(VALU_DEP_1) | instskip(NEXT) | instid1(VALU_DEP_1)
	v_lshlrev_b64 v[4:5], 1, v[4:5]
	v_add_co_u32 v4, s0, s4, v4
	s_delay_alu instid0(VALU_DEP_1)
	v_add_co_ci_u32_e64 v5, s0, s5, v5, s0
	s_mov_b32 s0, exec_lo
	v_cmpx_ne_u32_e32 0, v7
	s_xor_b32 s0, exec_lo, s0
	s_cbranch_execz .LBB93_9
; %bb.6:                                ;   in Loop: Header=BB93_4 Depth=1
	global_load_u16 v8, v[4:5], off
	s_mov_b32 s16, exec_lo
	s_waitcnt vmcnt(0)
	v_cmpx_o_f16_e32 v8, v8
	s_cbranch_execz .LBB93_8
; %bb.7:                                ;   in Loop: Header=BB93_4 Depth=1
	v_cvt_f32_u32_e32 v7, v7
	v_cvt_f32_f16_e32 v10, v8
	s_delay_alu instid0(VALU_DEP_2) | instskip(NEXT) | instid1(VALU_DEP_1)
	v_cvt_f16_f32_e32 v7, v7
	v_cvt_f32_f16_e32 v9, v7
	s_delay_alu instid0(VALU_DEP_1) | instskip(SKIP_2) | instid1(VALU_DEP_1)
	v_rcp_f32_e32 v9, v9
	s_waitcnt_depctr 0xfff
	v_mul_f32_e32 v10, v10, v9
	v_fma_mix_f32 v11, -v7, v10, v8 op_sel_hi:[1,0,1]
	s_delay_alu instid0(VALU_DEP_1) | instskip(NEXT) | instid1(VALU_DEP_1)
	v_fmac_f32_e32 v10, v11, v9
	v_fma_mix_f32 v11, -v7, v10, v8 op_sel_hi:[1,0,1]
	s_delay_alu instid0(VALU_DEP_1) | instskip(NEXT) | instid1(VALU_DEP_1)
	v_mul_f32_e32 v9, v11, v9
	v_and_b32_e32 v9, 0xff800000, v9
	s_delay_alu instid0(VALU_DEP_1) | instskip(NEXT) | instid1(VALU_DEP_1)
	v_add_f32_e32 v9, v9, v10
	v_cvt_f16_f32_e32 v9, v9
	s_delay_alu instid0(VALU_DEP_1)
	v_div_fixup_f16 v7, v9, v7, v8
	global_store_b16 v[4:5], v7, off
.LBB93_8:                               ;   in Loop: Header=BB93_4 Depth=1
	s_or_b32 exec_lo, exec_lo, s16
                                        ; implicit-def: $vgpr4_vgpr5
.LBB93_9:                               ;   in Loop: Header=BB93_4 Depth=1
	s_and_not1_saveexec_b32 s0, s0
	s_cbranch_execz .LBB93_2
; %bb.10:                               ;   in Loop: Header=BB93_4 Depth=1
	s_and_b32 vcc_lo, exec_lo, s10
	s_mov_b32 s16, -1
	s_cbranch_vccz .LBB93_12
; %bb.11:                               ;   in Loop: Header=BB93_4 Depth=1
	s_mov_b32 s16, 0
	global_store_b16 v[4:5], v6, off
.LBB93_12:                              ;   in Loop: Header=BB93_4 Depth=1
	s_and_not1_b32 vcc_lo, exec_lo, s16
	s_cbranch_vccnz .LBB93_2
; %bb.13:                               ;   in Loop: Header=BB93_4 Depth=1
	v_mov_b32_e32 v7, s9
	global_store_b16 v[4:5], v7, off
	s_branch .LBB93_2
.LBB93_14:
	s_or_b32 exec_lo, exec_lo, s1
	s_and_saveexec_b32 s0, s11
	s_delay_alu instid0(SALU_CYCLE_1)
	s_xor_b32 s0, exec_lo, s0
	s_cbranch_execnz .LBB93_16
.LBB93_15:
	s_nop 0
	s_sendmsg sendmsg(MSG_DEALLOC_VGPRS)
	s_endpgm
.LBB93_16:
	s_cbranch_execnz .LBB93_18
; %bb.17:
	; divergent unreachable
	s_nop 0
	s_sendmsg sendmsg(MSG_DEALLOC_VGPRS)
	s_endpgm
.LBB93_18:
	s_trap 2
	s_sendmsg_rtn_b32 s0, sendmsg(MSG_RTN_GET_DOORBELL)
	s_mov_b32 ttmp2, m0
	s_waitcnt lgkmcnt(0)
	s_and_b32 s0, s0, 0x3ff
	s_delay_alu instid0(SALU_CYCLE_1) | instskip(NEXT) | instid1(SALU_CYCLE_1)
	s_bitset1_b32 s0, 10
	s_mov_b32 m0, s0
	s_sendmsg sendmsg(MSG_INTERRUPT)
	s_mov_b32 m0, ttmp2
.LBB93_19:                              ; =>This Inner Loop Header: Depth=1
	s_sethalt 5
	s_branch .LBB93_19
	.section	.rodata,"a",@progbits
	.p2align	6, 0x0
	.amdhsa_kernel _ZN2at6native12_GLOBAL__N_119post_sum_div_kernelIN3c104HalfEiEEvPT_PKT0_lbS5_
		.amdhsa_group_segment_fixed_size 0
		.amdhsa_private_segment_fixed_size 0
		.amdhsa_kernarg_size 288
		.amdhsa_user_sgpr_count 15
		.amdhsa_user_sgpr_dispatch_ptr 0
		.amdhsa_user_sgpr_queue_ptr 0
		.amdhsa_user_sgpr_kernarg_segment_ptr 1
		.amdhsa_user_sgpr_dispatch_id 0
		.amdhsa_user_sgpr_private_segment_size 0
		.amdhsa_wavefront_size32 1
		.amdhsa_uses_dynamic_stack 0
		.amdhsa_enable_private_segment 0
		.amdhsa_system_sgpr_workgroup_id_x 1
		.amdhsa_system_sgpr_workgroup_id_y 0
		.amdhsa_system_sgpr_workgroup_id_z 0
		.amdhsa_system_sgpr_workgroup_info 0
		.amdhsa_system_vgpr_workitem_id 0
		.amdhsa_next_free_vgpr 12
		.amdhsa_next_free_sgpr 17
		.amdhsa_reserve_vcc 1
		.amdhsa_float_round_mode_32 0
		.amdhsa_float_round_mode_16_64 0
		.amdhsa_float_denorm_mode_32 3
		.amdhsa_float_denorm_mode_16_64 3
		.amdhsa_dx10_clamp 1
		.amdhsa_ieee_mode 1
		.amdhsa_fp16_overflow 0
		.amdhsa_workgroup_processor_mode 1
		.amdhsa_memory_ordered 1
		.amdhsa_forward_progress 0
		.amdhsa_shared_vgpr_count 0
		.amdhsa_exception_fp_ieee_invalid_op 0
		.amdhsa_exception_fp_denorm_src 0
		.amdhsa_exception_fp_ieee_div_zero 0
		.amdhsa_exception_fp_ieee_overflow 0
		.amdhsa_exception_fp_ieee_underflow 0
		.amdhsa_exception_fp_ieee_inexact 0
		.amdhsa_exception_int_div_zero 0
	.end_amdhsa_kernel
	.section	.text._ZN2at6native12_GLOBAL__N_119post_sum_div_kernelIN3c104HalfEiEEvPT_PKT0_lbS5_,"axG",@progbits,_ZN2at6native12_GLOBAL__N_119post_sum_div_kernelIN3c104HalfEiEEvPT_PKT0_lbS5_,comdat
.Lfunc_end93:
	.size	_ZN2at6native12_GLOBAL__N_119post_sum_div_kernelIN3c104HalfEiEEvPT_PKT0_lbS5_, .Lfunc_end93-_ZN2at6native12_GLOBAL__N_119post_sum_div_kernelIN3c104HalfEiEEvPT_PKT0_lbS5_
                                        ; -- End function
	.section	.AMDGPU.csdata,"",@progbits
; Kernel info:
; codeLenInByte = 652
; NumSgprs: 19
; NumVgprs: 12
; ScratchSize: 0
; MemoryBound: 0
; FloatMode: 240
; IeeeMode: 1
; LDSByteSize: 0 bytes/workgroup (compile time only)
; SGPRBlocks: 2
; VGPRBlocks: 1
; NumSGPRsForWavesPerEU: 19
; NumVGPRsForWavesPerEU: 12
; Occupancy: 16
; WaveLimiterHint : 0
; COMPUTE_PGM_RSRC2:SCRATCH_EN: 0
; COMPUTE_PGM_RSRC2:USER_SGPR: 15
; COMPUTE_PGM_RSRC2:TRAP_HANDLER: 0
; COMPUTE_PGM_RSRC2:TGID_X_EN: 1
; COMPUTE_PGM_RSRC2:TGID_Y_EN: 0
; COMPUTE_PGM_RSRC2:TGID_Z_EN: 0
; COMPUTE_PGM_RSRC2:TIDIG_COMP_CNT: 0
	.section	.text._ZN7rocprim17ROCPRIM_400000_NS6detail17trampoline_kernelINS0_14default_configENS1_32segmented_reduce_config_selectorIN3c104HalfEEEZNS1_21segmented_reduce_implIS3_PKS6_PS6_PKiS6_N6hipcub16HIPCUB_304000_NS6detail27convert_result_type_wrapperISA_SB_N2at6native12_GLOBAL__N_19CustomMinEEEEE10hipError_tPvRmT0_T1_jT2_SS_T4_T3_P12ihipStream_tbEUlT_E_NS1_11comp_targetILNS1_3genE0ELNS1_11target_archE4294967295ELNS1_3gpuE0ELNS1_3repE0EEENS1_30default_config_static_selectorELNS0_4arch9wavefront6targetE0EEEvSR_,"axG",@progbits,_ZN7rocprim17ROCPRIM_400000_NS6detail17trampoline_kernelINS0_14default_configENS1_32segmented_reduce_config_selectorIN3c104HalfEEEZNS1_21segmented_reduce_implIS3_PKS6_PS6_PKiS6_N6hipcub16HIPCUB_304000_NS6detail27convert_result_type_wrapperISA_SB_N2at6native12_GLOBAL__N_19CustomMinEEEEE10hipError_tPvRmT0_T1_jT2_SS_T4_T3_P12ihipStream_tbEUlT_E_NS1_11comp_targetILNS1_3genE0ELNS1_11target_archE4294967295ELNS1_3gpuE0ELNS1_3repE0EEENS1_30default_config_static_selectorELNS0_4arch9wavefront6targetE0EEEvSR_,comdat
	.globl	_ZN7rocprim17ROCPRIM_400000_NS6detail17trampoline_kernelINS0_14default_configENS1_32segmented_reduce_config_selectorIN3c104HalfEEEZNS1_21segmented_reduce_implIS3_PKS6_PS6_PKiS6_N6hipcub16HIPCUB_304000_NS6detail27convert_result_type_wrapperISA_SB_N2at6native12_GLOBAL__N_19CustomMinEEEEE10hipError_tPvRmT0_T1_jT2_SS_T4_T3_P12ihipStream_tbEUlT_E_NS1_11comp_targetILNS1_3genE0ELNS1_11target_archE4294967295ELNS1_3gpuE0ELNS1_3repE0EEENS1_30default_config_static_selectorELNS0_4arch9wavefront6targetE0EEEvSR_ ; -- Begin function _ZN7rocprim17ROCPRIM_400000_NS6detail17trampoline_kernelINS0_14default_configENS1_32segmented_reduce_config_selectorIN3c104HalfEEEZNS1_21segmented_reduce_implIS3_PKS6_PS6_PKiS6_N6hipcub16HIPCUB_304000_NS6detail27convert_result_type_wrapperISA_SB_N2at6native12_GLOBAL__N_19CustomMinEEEEE10hipError_tPvRmT0_T1_jT2_SS_T4_T3_P12ihipStream_tbEUlT_E_NS1_11comp_targetILNS1_3genE0ELNS1_11target_archE4294967295ELNS1_3gpuE0ELNS1_3repE0EEENS1_30default_config_static_selectorELNS0_4arch9wavefront6targetE0EEEvSR_
	.p2align	8
	.type	_ZN7rocprim17ROCPRIM_400000_NS6detail17trampoline_kernelINS0_14default_configENS1_32segmented_reduce_config_selectorIN3c104HalfEEEZNS1_21segmented_reduce_implIS3_PKS6_PS6_PKiS6_N6hipcub16HIPCUB_304000_NS6detail27convert_result_type_wrapperISA_SB_N2at6native12_GLOBAL__N_19CustomMinEEEEE10hipError_tPvRmT0_T1_jT2_SS_T4_T3_P12ihipStream_tbEUlT_E_NS1_11comp_targetILNS1_3genE0ELNS1_11target_archE4294967295ELNS1_3gpuE0ELNS1_3repE0EEENS1_30default_config_static_selectorELNS0_4arch9wavefront6targetE0EEEvSR_,@function
_ZN7rocprim17ROCPRIM_400000_NS6detail17trampoline_kernelINS0_14default_configENS1_32segmented_reduce_config_selectorIN3c104HalfEEEZNS1_21segmented_reduce_implIS3_PKS6_PS6_PKiS6_N6hipcub16HIPCUB_304000_NS6detail27convert_result_type_wrapperISA_SB_N2at6native12_GLOBAL__N_19CustomMinEEEEE10hipError_tPvRmT0_T1_jT2_SS_T4_T3_P12ihipStream_tbEUlT_E_NS1_11comp_targetILNS1_3genE0ELNS1_11target_archE4294967295ELNS1_3gpuE0ELNS1_3repE0EEENS1_30default_config_static_selectorELNS0_4arch9wavefront6targetE0EEEvSR_: ; @_ZN7rocprim17ROCPRIM_400000_NS6detail17trampoline_kernelINS0_14default_configENS1_32segmented_reduce_config_selectorIN3c104HalfEEEZNS1_21segmented_reduce_implIS3_PKS6_PS6_PKiS6_N6hipcub16HIPCUB_304000_NS6detail27convert_result_type_wrapperISA_SB_N2at6native12_GLOBAL__N_19CustomMinEEEEE10hipError_tPvRmT0_T1_jT2_SS_T4_T3_P12ihipStream_tbEUlT_E_NS1_11comp_targetILNS1_3genE0ELNS1_11target_archE4294967295ELNS1_3gpuE0ELNS1_3repE0EEENS1_30default_config_static_selectorELNS0_4arch9wavefront6targetE0EEEvSR_
; %bb.0:
	.section	.rodata,"a",@progbits
	.p2align	6, 0x0
	.amdhsa_kernel _ZN7rocprim17ROCPRIM_400000_NS6detail17trampoline_kernelINS0_14default_configENS1_32segmented_reduce_config_selectorIN3c104HalfEEEZNS1_21segmented_reduce_implIS3_PKS6_PS6_PKiS6_N6hipcub16HIPCUB_304000_NS6detail27convert_result_type_wrapperISA_SB_N2at6native12_GLOBAL__N_19CustomMinEEEEE10hipError_tPvRmT0_T1_jT2_SS_T4_T3_P12ihipStream_tbEUlT_E_NS1_11comp_targetILNS1_3genE0ELNS1_11target_archE4294967295ELNS1_3gpuE0ELNS1_3repE0EEENS1_30default_config_static_selectorELNS0_4arch9wavefront6targetE0EEEvSR_
		.amdhsa_group_segment_fixed_size 0
		.amdhsa_private_segment_fixed_size 0
		.amdhsa_kernarg_size 48
		.amdhsa_user_sgpr_count 15
		.amdhsa_user_sgpr_dispatch_ptr 0
		.amdhsa_user_sgpr_queue_ptr 0
		.amdhsa_user_sgpr_kernarg_segment_ptr 1
		.amdhsa_user_sgpr_dispatch_id 0
		.amdhsa_user_sgpr_private_segment_size 0
		.amdhsa_wavefront_size32 1
		.amdhsa_uses_dynamic_stack 0
		.amdhsa_enable_private_segment 0
		.amdhsa_system_sgpr_workgroup_id_x 1
		.amdhsa_system_sgpr_workgroup_id_y 0
		.amdhsa_system_sgpr_workgroup_id_z 0
		.amdhsa_system_sgpr_workgroup_info 0
		.amdhsa_system_vgpr_workitem_id 0
		.amdhsa_next_free_vgpr 1
		.amdhsa_next_free_sgpr 1
		.amdhsa_reserve_vcc 0
		.amdhsa_float_round_mode_32 0
		.amdhsa_float_round_mode_16_64 0
		.amdhsa_float_denorm_mode_32 3
		.amdhsa_float_denorm_mode_16_64 3
		.amdhsa_dx10_clamp 1
		.amdhsa_ieee_mode 1
		.amdhsa_fp16_overflow 0
		.amdhsa_workgroup_processor_mode 1
		.amdhsa_memory_ordered 1
		.amdhsa_forward_progress 0
		.amdhsa_shared_vgpr_count 0
		.amdhsa_exception_fp_ieee_invalid_op 0
		.amdhsa_exception_fp_denorm_src 0
		.amdhsa_exception_fp_ieee_div_zero 0
		.amdhsa_exception_fp_ieee_overflow 0
		.amdhsa_exception_fp_ieee_underflow 0
		.amdhsa_exception_fp_ieee_inexact 0
		.amdhsa_exception_int_div_zero 0
	.end_amdhsa_kernel
	.section	.text._ZN7rocprim17ROCPRIM_400000_NS6detail17trampoline_kernelINS0_14default_configENS1_32segmented_reduce_config_selectorIN3c104HalfEEEZNS1_21segmented_reduce_implIS3_PKS6_PS6_PKiS6_N6hipcub16HIPCUB_304000_NS6detail27convert_result_type_wrapperISA_SB_N2at6native12_GLOBAL__N_19CustomMinEEEEE10hipError_tPvRmT0_T1_jT2_SS_T4_T3_P12ihipStream_tbEUlT_E_NS1_11comp_targetILNS1_3genE0ELNS1_11target_archE4294967295ELNS1_3gpuE0ELNS1_3repE0EEENS1_30default_config_static_selectorELNS0_4arch9wavefront6targetE0EEEvSR_,"axG",@progbits,_ZN7rocprim17ROCPRIM_400000_NS6detail17trampoline_kernelINS0_14default_configENS1_32segmented_reduce_config_selectorIN3c104HalfEEEZNS1_21segmented_reduce_implIS3_PKS6_PS6_PKiS6_N6hipcub16HIPCUB_304000_NS6detail27convert_result_type_wrapperISA_SB_N2at6native12_GLOBAL__N_19CustomMinEEEEE10hipError_tPvRmT0_T1_jT2_SS_T4_T3_P12ihipStream_tbEUlT_E_NS1_11comp_targetILNS1_3genE0ELNS1_11target_archE4294967295ELNS1_3gpuE0ELNS1_3repE0EEENS1_30default_config_static_selectorELNS0_4arch9wavefront6targetE0EEEvSR_,comdat
.Lfunc_end94:
	.size	_ZN7rocprim17ROCPRIM_400000_NS6detail17trampoline_kernelINS0_14default_configENS1_32segmented_reduce_config_selectorIN3c104HalfEEEZNS1_21segmented_reduce_implIS3_PKS6_PS6_PKiS6_N6hipcub16HIPCUB_304000_NS6detail27convert_result_type_wrapperISA_SB_N2at6native12_GLOBAL__N_19CustomMinEEEEE10hipError_tPvRmT0_T1_jT2_SS_T4_T3_P12ihipStream_tbEUlT_E_NS1_11comp_targetILNS1_3genE0ELNS1_11target_archE4294967295ELNS1_3gpuE0ELNS1_3repE0EEENS1_30default_config_static_selectorELNS0_4arch9wavefront6targetE0EEEvSR_, .Lfunc_end94-_ZN7rocprim17ROCPRIM_400000_NS6detail17trampoline_kernelINS0_14default_configENS1_32segmented_reduce_config_selectorIN3c104HalfEEEZNS1_21segmented_reduce_implIS3_PKS6_PS6_PKiS6_N6hipcub16HIPCUB_304000_NS6detail27convert_result_type_wrapperISA_SB_N2at6native12_GLOBAL__N_19CustomMinEEEEE10hipError_tPvRmT0_T1_jT2_SS_T4_T3_P12ihipStream_tbEUlT_E_NS1_11comp_targetILNS1_3genE0ELNS1_11target_archE4294967295ELNS1_3gpuE0ELNS1_3repE0EEENS1_30default_config_static_selectorELNS0_4arch9wavefront6targetE0EEEvSR_
                                        ; -- End function
	.section	.AMDGPU.csdata,"",@progbits
; Kernel info:
; codeLenInByte = 0
; NumSgprs: 0
; NumVgprs: 0
; ScratchSize: 0
; MemoryBound: 0
; FloatMode: 240
; IeeeMode: 1
; LDSByteSize: 0 bytes/workgroup (compile time only)
; SGPRBlocks: 0
; VGPRBlocks: 0
; NumSGPRsForWavesPerEU: 1
; NumVGPRsForWavesPerEU: 1
; Occupancy: 16
; WaveLimiterHint : 0
; COMPUTE_PGM_RSRC2:SCRATCH_EN: 0
; COMPUTE_PGM_RSRC2:USER_SGPR: 15
; COMPUTE_PGM_RSRC2:TRAP_HANDLER: 0
; COMPUTE_PGM_RSRC2:TGID_X_EN: 1
; COMPUTE_PGM_RSRC2:TGID_Y_EN: 0
; COMPUTE_PGM_RSRC2:TGID_Z_EN: 0
; COMPUTE_PGM_RSRC2:TIDIG_COMP_CNT: 0
	.section	.text._ZN7rocprim17ROCPRIM_400000_NS6detail17trampoline_kernelINS0_14default_configENS1_32segmented_reduce_config_selectorIN3c104HalfEEEZNS1_21segmented_reduce_implIS3_PKS6_PS6_PKiS6_N6hipcub16HIPCUB_304000_NS6detail27convert_result_type_wrapperISA_SB_N2at6native12_GLOBAL__N_19CustomMinEEEEE10hipError_tPvRmT0_T1_jT2_SS_T4_T3_P12ihipStream_tbEUlT_E_NS1_11comp_targetILNS1_3genE5ELNS1_11target_archE942ELNS1_3gpuE9ELNS1_3repE0EEENS1_30default_config_static_selectorELNS0_4arch9wavefront6targetE0EEEvSR_,"axG",@progbits,_ZN7rocprim17ROCPRIM_400000_NS6detail17trampoline_kernelINS0_14default_configENS1_32segmented_reduce_config_selectorIN3c104HalfEEEZNS1_21segmented_reduce_implIS3_PKS6_PS6_PKiS6_N6hipcub16HIPCUB_304000_NS6detail27convert_result_type_wrapperISA_SB_N2at6native12_GLOBAL__N_19CustomMinEEEEE10hipError_tPvRmT0_T1_jT2_SS_T4_T3_P12ihipStream_tbEUlT_E_NS1_11comp_targetILNS1_3genE5ELNS1_11target_archE942ELNS1_3gpuE9ELNS1_3repE0EEENS1_30default_config_static_selectorELNS0_4arch9wavefront6targetE0EEEvSR_,comdat
	.globl	_ZN7rocprim17ROCPRIM_400000_NS6detail17trampoline_kernelINS0_14default_configENS1_32segmented_reduce_config_selectorIN3c104HalfEEEZNS1_21segmented_reduce_implIS3_PKS6_PS6_PKiS6_N6hipcub16HIPCUB_304000_NS6detail27convert_result_type_wrapperISA_SB_N2at6native12_GLOBAL__N_19CustomMinEEEEE10hipError_tPvRmT0_T1_jT2_SS_T4_T3_P12ihipStream_tbEUlT_E_NS1_11comp_targetILNS1_3genE5ELNS1_11target_archE942ELNS1_3gpuE9ELNS1_3repE0EEENS1_30default_config_static_selectorELNS0_4arch9wavefront6targetE0EEEvSR_ ; -- Begin function _ZN7rocprim17ROCPRIM_400000_NS6detail17trampoline_kernelINS0_14default_configENS1_32segmented_reduce_config_selectorIN3c104HalfEEEZNS1_21segmented_reduce_implIS3_PKS6_PS6_PKiS6_N6hipcub16HIPCUB_304000_NS6detail27convert_result_type_wrapperISA_SB_N2at6native12_GLOBAL__N_19CustomMinEEEEE10hipError_tPvRmT0_T1_jT2_SS_T4_T3_P12ihipStream_tbEUlT_E_NS1_11comp_targetILNS1_3genE5ELNS1_11target_archE942ELNS1_3gpuE9ELNS1_3repE0EEENS1_30default_config_static_selectorELNS0_4arch9wavefront6targetE0EEEvSR_
	.p2align	8
	.type	_ZN7rocprim17ROCPRIM_400000_NS6detail17trampoline_kernelINS0_14default_configENS1_32segmented_reduce_config_selectorIN3c104HalfEEEZNS1_21segmented_reduce_implIS3_PKS6_PS6_PKiS6_N6hipcub16HIPCUB_304000_NS6detail27convert_result_type_wrapperISA_SB_N2at6native12_GLOBAL__N_19CustomMinEEEEE10hipError_tPvRmT0_T1_jT2_SS_T4_T3_P12ihipStream_tbEUlT_E_NS1_11comp_targetILNS1_3genE5ELNS1_11target_archE942ELNS1_3gpuE9ELNS1_3repE0EEENS1_30default_config_static_selectorELNS0_4arch9wavefront6targetE0EEEvSR_,@function
_ZN7rocprim17ROCPRIM_400000_NS6detail17trampoline_kernelINS0_14default_configENS1_32segmented_reduce_config_selectorIN3c104HalfEEEZNS1_21segmented_reduce_implIS3_PKS6_PS6_PKiS6_N6hipcub16HIPCUB_304000_NS6detail27convert_result_type_wrapperISA_SB_N2at6native12_GLOBAL__N_19CustomMinEEEEE10hipError_tPvRmT0_T1_jT2_SS_T4_T3_P12ihipStream_tbEUlT_E_NS1_11comp_targetILNS1_3genE5ELNS1_11target_archE942ELNS1_3gpuE9ELNS1_3repE0EEENS1_30default_config_static_selectorELNS0_4arch9wavefront6targetE0EEEvSR_: ; @_ZN7rocprim17ROCPRIM_400000_NS6detail17trampoline_kernelINS0_14default_configENS1_32segmented_reduce_config_selectorIN3c104HalfEEEZNS1_21segmented_reduce_implIS3_PKS6_PS6_PKiS6_N6hipcub16HIPCUB_304000_NS6detail27convert_result_type_wrapperISA_SB_N2at6native12_GLOBAL__N_19CustomMinEEEEE10hipError_tPvRmT0_T1_jT2_SS_T4_T3_P12ihipStream_tbEUlT_E_NS1_11comp_targetILNS1_3genE5ELNS1_11target_archE942ELNS1_3gpuE9ELNS1_3repE0EEENS1_30default_config_static_selectorELNS0_4arch9wavefront6targetE0EEEvSR_
; %bb.0:
	.section	.rodata,"a",@progbits
	.p2align	6, 0x0
	.amdhsa_kernel _ZN7rocprim17ROCPRIM_400000_NS6detail17trampoline_kernelINS0_14default_configENS1_32segmented_reduce_config_selectorIN3c104HalfEEEZNS1_21segmented_reduce_implIS3_PKS6_PS6_PKiS6_N6hipcub16HIPCUB_304000_NS6detail27convert_result_type_wrapperISA_SB_N2at6native12_GLOBAL__N_19CustomMinEEEEE10hipError_tPvRmT0_T1_jT2_SS_T4_T3_P12ihipStream_tbEUlT_E_NS1_11comp_targetILNS1_3genE5ELNS1_11target_archE942ELNS1_3gpuE9ELNS1_3repE0EEENS1_30default_config_static_selectorELNS0_4arch9wavefront6targetE0EEEvSR_
		.amdhsa_group_segment_fixed_size 0
		.amdhsa_private_segment_fixed_size 0
		.amdhsa_kernarg_size 48
		.amdhsa_user_sgpr_count 15
		.amdhsa_user_sgpr_dispatch_ptr 0
		.amdhsa_user_sgpr_queue_ptr 0
		.amdhsa_user_sgpr_kernarg_segment_ptr 1
		.amdhsa_user_sgpr_dispatch_id 0
		.amdhsa_user_sgpr_private_segment_size 0
		.amdhsa_wavefront_size32 1
		.amdhsa_uses_dynamic_stack 0
		.amdhsa_enable_private_segment 0
		.amdhsa_system_sgpr_workgroup_id_x 1
		.amdhsa_system_sgpr_workgroup_id_y 0
		.amdhsa_system_sgpr_workgroup_id_z 0
		.amdhsa_system_sgpr_workgroup_info 0
		.amdhsa_system_vgpr_workitem_id 0
		.amdhsa_next_free_vgpr 1
		.amdhsa_next_free_sgpr 1
		.amdhsa_reserve_vcc 0
		.amdhsa_float_round_mode_32 0
		.amdhsa_float_round_mode_16_64 0
		.amdhsa_float_denorm_mode_32 3
		.amdhsa_float_denorm_mode_16_64 3
		.amdhsa_dx10_clamp 1
		.amdhsa_ieee_mode 1
		.amdhsa_fp16_overflow 0
		.amdhsa_workgroup_processor_mode 1
		.amdhsa_memory_ordered 1
		.amdhsa_forward_progress 0
		.amdhsa_shared_vgpr_count 0
		.amdhsa_exception_fp_ieee_invalid_op 0
		.amdhsa_exception_fp_denorm_src 0
		.amdhsa_exception_fp_ieee_div_zero 0
		.amdhsa_exception_fp_ieee_overflow 0
		.amdhsa_exception_fp_ieee_underflow 0
		.amdhsa_exception_fp_ieee_inexact 0
		.amdhsa_exception_int_div_zero 0
	.end_amdhsa_kernel
	.section	.text._ZN7rocprim17ROCPRIM_400000_NS6detail17trampoline_kernelINS0_14default_configENS1_32segmented_reduce_config_selectorIN3c104HalfEEEZNS1_21segmented_reduce_implIS3_PKS6_PS6_PKiS6_N6hipcub16HIPCUB_304000_NS6detail27convert_result_type_wrapperISA_SB_N2at6native12_GLOBAL__N_19CustomMinEEEEE10hipError_tPvRmT0_T1_jT2_SS_T4_T3_P12ihipStream_tbEUlT_E_NS1_11comp_targetILNS1_3genE5ELNS1_11target_archE942ELNS1_3gpuE9ELNS1_3repE0EEENS1_30default_config_static_selectorELNS0_4arch9wavefront6targetE0EEEvSR_,"axG",@progbits,_ZN7rocprim17ROCPRIM_400000_NS6detail17trampoline_kernelINS0_14default_configENS1_32segmented_reduce_config_selectorIN3c104HalfEEEZNS1_21segmented_reduce_implIS3_PKS6_PS6_PKiS6_N6hipcub16HIPCUB_304000_NS6detail27convert_result_type_wrapperISA_SB_N2at6native12_GLOBAL__N_19CustomMinEEEEE10hipError_tPvRmT0_T1_jT2_SS_T4_T3_P12ihipStream_tbEUlT_E_NS1_11comp_targetILNS1_3genE5ELNS1_11target_archE942ELNS1_3gpuE9ELNS1_3repE0EEENS1_30default_config_static_selectorELNS0_4arch9wavefront6targetE0EEEvSR_,comdat
.Lfunc_end95:
	.size	_ZN7rocprim17ROCPRIM_400000_NS6detail17trampoline_kernelINS0_14default_configENS1_32segmented_reduce_config_selectorIN3c104HalfEEEZNS1_21segmented_reduce_implIS3_PKS6_PS6_PKiS6_N6hipcub16HIPCUB_304000_NS6detail27convert_result_type_wrapperISA_SB_N2at6native12_GLOBAL__N_19CustomMinEEEEE10hipError_tPvRmT0_T1_jT2_SS_T4_T3_P12ihipStream_tbEUlT_E_NS1_11comp_targetILNS1_3genE5ELNS1_11target_archE942ELNS1_3gpuE9ELNS1_3repE0EEENS1_30default_config_static_selectorELNS0_4arch9wavefront6targetE0EEEvSR_, .Lfunc_end95-_ZN7rocprim17ROCPRIM_400000_NS6detail17trampoline_kernelINS0_14default_configENS1_32segmented_reduce_config_selectorIN3c104HalfEEEZNS1_21segmented_reduce_implIS3_PKS6_PS6_PKiS6_N6hipcub16HIPCUB_304000_NS6detail27convert_result_type_wrapperISA_SB_N2at6native12_GLOBAL__N_19CustomMinEEEEE10hipError_tPvRmT0_T1_jT2_SS_T4_T3_P12ihipStream_tbEUlT_E_NS1_11comp_targetILNS1_3genE5ELNS1_11target_archE942ELNS1_3gpuE9ELNS1_3repE0EEENS1_30default_config_static_selectorELNS0_4arch9wavefront6targetE0EEEvSR_
                                        ; -- End function
	.section	.AMDGPU.csdata,"",@progbits
; Kernel info:
; codeLenInByte = 0
; NumSgprs: 0
; NumVgprs: 0
; ScratchSize: 0
; MemoryBound: 0
; FloatMode: 240
; IeeeMode: 1
; LDSByteSize: 0 bytes/workgroup (compile time only)
; SGPRBlocks: 0
; VGPRBlocks: 0
; NumSGPRsForWavesPerEU: 1
; NumVGPRsForWavesPerEU: 1
; Occupancy: 16
; WaveLimiterHint : 0
; COMPUTE_PGM_RSRC2:SCRATCH_EN: 0
; COMPUTE_PGM_RSRC2:USER_SGPR: 15
; COMPUTE_PGM_RSRC2:TRAP_HANDLER: 0
; COMPUTE_PGM_RSRC2:TGID_X_EN: 1
; COMPUTE_PGM_RSRC2:TGID_Y_EN: 0
; COMPUTE_PGM_RSRC2:TGID_Z_EN: 0
; COMPUTE_PGM_RSRC2:TIDIG_COMP_CNT: 0
	.section	.text._ZN7rocprim17ROCPRIM_400000_NS6detail17trampoline_kernelINS0_14default_configENS1_32segmented_reduce_config_selectorIN3c104HalfEEEZNS1_21segmented_reduce_implIS3_PKS6_PS6_PKiS6_N6hipcub16HIPCUB_304000_NS6detail27convert_result_type_wrapperISA_SB_N2at6native12_GLOBAL__N_19CustomMinEEEEE10hipError_tPvRmT0_T1_jT2_SS_T4_T3_P12ihipStream_tbEUlT_E_NS1_11comp_targetILNS1_3genE10ELNS1_11target_archE1201ELNS1_3gpuE5ELNS1_3repE0EEENS1_30default_config_static_selectorELNS0_4arch9wavefront6targetE0EEEvSR_,"axG",@progbits,_ZN7rocprim17ROCPRIM_400000_NS6detail17trampoline_kernelINS0_14default_configENS1_32segmented_reduce_config_selectorIN3c104HalfEEEZNS1_21segmented_reduce_implIS3_PKS6_PS6_PKiS6_N6hipcub16HIPCUB_304000_NS6detail27convert_result_type_wrapperISA_SB_N2at6native12_GLOBAL__N_19CustomMinEEEEE10hipError_tPvRmT0_T1_jT2_SS_T4_T3_P12ihipStream_tbEUlT_E_NS1_11comp_targetILNS1_3genE10ELNS1_11target_archE1201ELNS1_3gpuE5ELNS1_3repE0EEENS1_30default_config_static_selectorELNS0_4arch9wavefront6targetE0EEEvSR_,comdat
	.globl	_ZN7rocprim17ROCPRIM_400000_NS6detail17trampoline_kernelINS0_14default_configENS1_32segmented_reduce_config_selectorIN3c104HalfEEEZNS1_21segmented_reduce_implIS3_PKS6_PS6_PKiS6_N6hipcub16HIPCUB_304000_NS6detail27convert_result_type_wrapperISA_SB_N2at6native12_GLOBAL__N_19CustomMinEEEEE10hipError_tPvRmT0_T1_jT2_SS_T4_T3_P12ihipStream_tbEUlT_E_NS1_11comp_targetILNS1_3genE10ELNS1_11target_archE1201ELNS1_3gpuE5ELNS1_3repE0EEENS1_30default_config_static_selectorELNS0_4arch9wavefront6targetE0EEEvSR_ ; -- Begin function _ZN7rocprim17ROCPRIM_400000_NS6detail17trampoline_kernelINS0_14default_configENS1_32segmented_reduce_config_selectorIN3c104HalfEEEZNS1_21segmented_reduce_implIS3_PKS6_PS6_PKiS6_N6hipcub16HIPCUB_304000_NS6detail27convert_result_type_wrapperISA_SB_N2at6native12_GLOBAL__N_19CustomMinEEEEE10hipError_tPvRmT0_T1_jT2_SS_T4_T3_P12ihipStream_tbEUlT_E_NS1_11comp_targetILNS1_3genE10ELNS1_11target_archE1201ELNS1_3gpuE5ELNS1_3repE0EEENS1_30default_config_static_selectorELNS0_4arch9wavefront6targetE0EEEvSR_
	.p2align	8
	.type	_ZN7rocprim17ROCPRIM_400000_NS6detail17trampoline_kernelINS0_14default_configENS1_32segmented_reduce_config_selectorIN3c104HalfEEEZNS1_21segmented_reduce_implIS3_PKS6_PS6_PKiS6_N6hipcub16HIPCUB_304000_NS6detail27convert_result_type_wrapperISA_SB_N2at6native12_GLOBAL__N_19CustomMinEEEEE10hipError_tPvRmT0_T1_jT2_SS_T4_T3_P12ihipStream_tbEUlT_E_NS1_11comp_targetILNS1_3genE10ELNS1_11target_archE1201ELNS1_3gpuE5ELNS1_3repE0EEENS1_30default_config_static_selectorELNS0_4arch9wavefront6targetE0EEEvSR_,@function
_ZN7rocprim17ROCPRIM_400000_NS6detail17trampoline_kernelINS0_14default_configENS1_32segmented_reduce_config_selectorIN3c104HalfEEEZNS1_21segmented_reduce_implIS3_PKS6_PS6_PKiS6_N6hipcub16HIPCUB_304000_NS6detail27convert_result_type_wrapperISA_SB_N2at6native12_GLOBAL__N_19CustomMinEEEEE10hipError_tPvRmT0_T1_jT2_SS_T4_T3_P12ihipStream_tbEUlT_E_NS1_11comp_targetILNS1_3genE10ELNS1_11target_archE1201ELNS1_3gpuE5ELNS1_3repE0EEENS1_30default_config_static_selectorELNS0_4arch9wavefront6targetE0EEEvSR_: ; @_ZN7rocprim17ROCPRIM_400000_NS6detail17trampoline_kernelINS0_14default_configENS1_32segmented_reduce_config_selectorIN3c104HalfEEEZNS1_21segmented_reduce_implIS3_PKS6_PS6_PKiS6_N6hipcub16HIPCUB_304000_NS6detail27convert_result_type_wrapperISA_SB_N2at6native12_GLOBAL__N_19CustomMinEEEEE10hipError_tPvRmT0_T1_jT2_SS_T4_T3_P12ihipStream_tbEUlT_E_NS1_11comp_targetILNS1_3genE10ELNS1_11target_archE1201ELNS1_3gpuE5ELNS1_3repE0EEENS1_30default_config_static_selectorELNS0_4arch9wavefront6targetE0EEEvSR_
; %bb.0:
	.section	.rodata,"a",@progbits
	.p2align	6, 0x0
	.amdhsa_kernel _ZN7rocprim17ROCPRIM_400000_NS6detail17trampoline_kernelINS0_14default_configENS1_32segmented_reduce_config_selectorIN3c104HalfEEEZNS1_21segmented_reduce_implIS3_PKS6_PS6_PKiS6_N6hipcub16HIPCUB_304000_NS6detail27convert_result_type_wrapperISA_SB_N2at6native12_GLOBAL__N_19CustomMinEEEEE10hipError_tPvRmT0_T1_jT2_SS_T4_T3_P12ihipStream_tbEUlT_E_NS1_11comp_targetILNS1_3genE10ELNS1_11target_archE1201ELNS1_3gpuE5ELNS1_3repE0EEENS1_30default_config_static_selectorELNS0_4arch9wavefront6targetE0EEEvSR_
		.amdhsa_group_segment_fixed_size 0
		.amdhsa_private_segment_fixed_size 0
		.amdhsa_kernarg_size 48
		.amdhsa_user_sgpr_count 15
		.amdhsa_user_sgpr_dispatch_ptr 0
		.amdhsa_user_sgpr_queue_ptr 0
		.amdhsa_user_sgpr_kernarg_segment_ptr 1
		.amdhsa_user_sgpr_dispatch_id 0
		.amdhsa_user_sgpr_private_segment_size 0
		.amdhsa_wavefront_size32 1
		.amdhsa_uses_dynamic_stack 0
		.amdhsa_enable_private_segment 0
		.amdhsa_system_sgpr_workgroup_id_x 1
		.amdhsa_system_sgpr_workgroup_id_y 0
		.amdhsa_system_sgpr_workgroup_id_z 0
		.amdhsa_system_sgpr_workgroup_info 0
		.amdhsa_system_vgpr_workitem_id 0
		.amdhsa_next_free_vgpr 1
		.amdhsa_next_free_sgpr 1
		.amdhsa_reserve_vcc 0
		.amdhsa_float_round_mode_32 0
		.amdhsa_float_round_mode_16_64 0
		.amdhsa_float_denorm_mode_32 3
		.amdhsa_float_denorm_mode_16_64 3
		.amdhsa_dx10_clamp 1
		.amdhsa_ieee_mode 1
		.amdhsa_fp16_overflow 0
		.amdhsa_workgroup_processor_mode 1
		.amdhsa_memory_ordered 1
		.amdhsa_forward_progress 0
		.amdhsa_shared_vgpr_count 0
		.amdhsa_exception_fp_ieee_invalid_op 0
		.amdhsa_exception_fp_denorm_src 0
		.amdhsa_exception_fp_ieee_div_zero 0
		.amdhsa_exception_fp_ieee_overflow 0
		.amdhsa_exception_fp_ieee_underflow 0
		.amdhsa_exception_fp_ieee_inexact 0
		.amdhsa_exception_int_div_zero 0
	.end_amdhsa_kernel
	.section	.text._ZN7rocprim17ROCPRIM_400000_NS6detail17trampoline_kernelINS0_14default_configENS1_32segmented_reduce_config_selectorIN3c104HalfEEEZNS1_21segmented_reduce_implIS3_PKS6_PS6_PKiS6_N6hipcub16HIPCUB_304000_NS6detail27convert_result_type_wrapperISA_SB_N2at6native12_GLOBAL__N_19CustomMinEEEEE10hipError_tPvRmT0_T1_jT2_SS_T4_T3_P12ihipStream_tbEUlT_E_NS1_11comp_targetILNS1_3genE10ELNS1_11target_archE1201ELNS1_3gpuE5ELNS1_3repE0EEENS1_30default_config_static_selectorELNS0_4arch9wavefront6targetE0EEEvSR_,"axG",@progbits,_ZN7rocprim17ROCPRIM_400000_NS6detail17trampoline_kernelINS0_14default_configENS1_32segmented_reduce_config_selectorIN3c104HalfEEEZNS1_21segmented_reduce_implIS3_PKS6_PS6_PKiS6_N6hipcub16HIPCUB_304000_NS6detail27convert_result_type_wrapperISA_SB_N2at6native12_GLOBAL__N_19CustomMinEEEEE10hipError_tPvRmT0_T1_jT2_SS_T4_T3_P12ihipStream_tbEUlT_E_NS1_11comp_targetILNS1_3genE10ELNS1_11target_archE1201ELNS1_3gpuE5ELNS1_3repE0EEENS1_30default_config_static_selectorELNS0_4arch9wavefront6targetE0EEEvSR_,comdat
.Lfunc_end96:
	.size	_ZN7rocprim17ROCPRIM_400000_NS6detail17trampoline_kernelINS0_14default_configENS1_32segmented_reduce_config_selectorIN3c104HalfEEEZNS1_21segmented_reduce_implIS3_PKS6_PS6_PKiS6_N6hipcub16HIPCUB_304000_NS6detail27convert_result_type_wrapperISA_SB_N2at6native12_GLOBAL__N_19CustomMinEEEEE10hipError_tPvRmT0_T1_jT2_SS_T4_T3_P12ihipStream_tbEUlT_E_NS1_11comp_targetILNS1_3genE10ELNS1_11target_archE1201ELNS1_3gpuE5ELNS1_3repE0EEENS1_30default_config_static_selectorELNS0_4arch9wavefront6targetE0EEEvSR_, .Lfunc_end96-_ZN7rocprim17ROCPRIM_400000_NS6detail17trampoline_kernelINS0_14default_configENS1_32segmented_reduce_config_selectorIN3c104HalfEEEZNS1_21segmented_reduce_implIS3_PKS6_PS6_PKiS6_N6hipcub16HIPCUB_304000_NS6detail27convert_result_type_wrapperISA_SB_N2at6native12_GLOBAL__N_19CustomMinEEEEE10hipError_tPvRmT0_T1_jT2_SS_T4_T3_P12ihipStream_tbEUlT_E_NS1_11comp_targetILNS1_3genE10ELNS1_11target_archE1201ELNS1_3gpuE5ELNS1_3repE0EEENS1_30default_config_static_selectorELNS0_4arch9wavefront6targetE0EEEvSR_
                                        ; -- End function
	.section	.AMDGPU.csdata,"",@progbits
; Kernel info:
; codeLenInByte = 0
; NumSgprs: 0
; NumVgprs: 0
; ScratchSize: 0
; MemoryBound: 0
; FloatMode: 240
; IeeeMode: 1
; LDSByteSize: 0 bytes/workgroup (compile time only)
; SGPRBlocks: 0
; VGPRBlocks: 0
; NumSGPRsForWavesPerEU: 1
; NumVGPRsForWavesPerEU: 1
; Occupancy: 16
; WaveLimiterHint : 0
; COMPUTE_PGM_RSRC2:SCRATCH_EN: 0
; COMPUTE_PGM_RSRC2:USER_SGPR: 15
; COMPUTE_PGM_RSRC2:TRAP_HANDLER: 0
; COMPUTE_PGM_RSRC2:TGID_X_EN: 1
; COMPUTE_PGM_RSRC2:TGID_Y_EN: 0
; COMPUTE_PGM_RSRC2:TGID_Z_EN: 0
; COMPUTE_PGM_RSRC2:TIDIG_COMP_CNT: 0
	.section	.text._ZN7rocprim17ROCPRIM_400000_NS6detail17trampoline_kernelINS0_14default_configENS1_32segmented_reduce_config_selectorIN3c104HalfEEEZNS1_21segmented_reduce_implIS3_PKS6_PS6_PKiS6_N6hipcub16HIPCUB_304000_NS6detail27convert_result_type_wrapperISA_SB_N2at6native12_GLOBAL__N_19CustomMinEEEEE10hipError_tPvRmT0_T1_jT2_SS_T4_T3_P12ihipStream_tbEUlT_E_NS1_11comp_targetILNS1_3genE4ELNS1_11target_archE910ELNS1_3gpuE8ELNS1_3repE0EEENS1_30default_config_static_selectorELNS0_4arch9wavefront6targetE0EEEvSR_,"axG",@progbits,_ZN7rocprim17ROCPRIM_400000_NS6detail17trampoline_kernelINS0_14default_configENS1_32segmented_reduce_config_selectorIN3c104HalfEEEZNS1_21segmented_reduce_implIS3_PKS6_PS6_PKiS6_N6hipcub16HIPCUB_304000_NS6detail27convert_result_type_wrapperISA_SB_N2at6native12_GLOBAL__N_19CustomMinEEEEE10hipError_tPvRmT0_T1_jT2_SS_T4_T3_P12ihipStream_tbEUlT_E_NS1_11comp_targetILNS1_3genE4ELNS1_11target_archE910ELNS1_3gpuE8ELNS1_3repE0EEENS1_30default_config_static_selectorELNS0_4arch9wavefront6targetE0EEEvSR_,comdat
	.globl	_ZN7rocprim17ROCPRIM_400000_NS6detail17trampoline_kernelINS0_14default_configENS1_32segmented_reduce_config_selectorIN3c104HalfEEEZNS1_21segmented_reduce_implIS3_PKS6_PS6_PKiS6_N6hipcub16HIPCUB_304000_NS6detail27convert_result_type_wrapperISA_SB_N2at6native12_GLOBAL__N_19CustomMinEEEEE10hipError_tPvRmT0_T1_jT2_SS_T4_T3_P12ihipStream_tbEUlT_E_NS1_11comp_targetILNS1_3genE4ELNS1_11target_archE910ELNS1_3gpuE8ELNS1_3repE0EEENS1_30default_config_static_selectorELNS0_4arch9wavefront6targetE0EEEvSR_ ; -- Begin function _ZN7rocprim17ROCPRIM_400000_NS6detail17trampoline_kernelINS0_14default_configENS1_32segmented_reduce_config_selectorIN3c104HalfEEEZNS1_21segmented_reduce_implIS3_PKS6_PS6_PKiS6_N6hipcub16HIPCUB_304000_NS6detail27convert_result_type_wrapperISA_SB_N2at6native12_GLOBAL__N_19CustomMinEEEEE10hipError_tPvRmT0_T1_jT2_SS_T4_T3_P12ihipStream_tbEUlT_E_NS1_11comp_targetILNS1_3genE4ELNS1_11target_archE910ELNS1_3gpuE8ELNS1_3repE0EEENS1_30default_config_static_selectorELNS0_4arch9wavefront6targetE0EEEvSR_
	.p2align	8
	.type	_ZN7rocprim17ROCPRIM_400000_NS6detail17trampoline_kernelINS0_14default_configENS1_32segmented_reduce_config_selectorIN3c104HalfEEEZNS1_21segmented_reduce_implIS3_PKS6_PS6_PKiS6_N6hipcub16HIPCUB_304000_NS6detail27convert_result_type_wrapperISA_SB_N2at6native12_GLOBAL__N_19CustomMinEEEEE10hipError_tPvRmT0_T1_jT2_SS_T4_T3_P12ihipStream_tbEUlT_E_NS1_11comp_targetILNS1_3genE4ELNS1_11target_archE910ELNS1_3gpuE8ELNS1_3repE0EEENS1_30default_config_static_selectorELNS0_4arch9wavefront6targetE0EEEvSR_,@function
_ZN7rocprim17ROCPRIM_400000_NS6detail17trampoline_kernelINS0_14default_configENS1_32segmented_reduce_config_selectorIN3c104HalfEEEZNS1_21segmented_reduce_implIS3_PKS6_PS6_PKiS6_N6hipcub16HIPCUB_304000_NS6detail27convert_result_type_wrapperISA_SB_N2at6native12_GLOBAL__N_19CustomMinEEEEE10hipError_tPvRmT0_T1_jT2_SS_T4_T3_P12ihipStream_tbEUlT_E_NS1_11comp_targetILNS1_3genE4ELNS1_11target_archE910ELNS1_3gpuE8ELNS1_3repE0EEENS1_30default_config_static_selectorELNS0_4arch9wavefront6targetE0EEEvSR_: ; @_ZN7rocprim17ROCPRIM_400000_NS6detail17trampoline_kernelINS0_14default_configENS1_32segmented_reduce_config_selectorIN3c104HalfEEEZNS1_21segmented_reduce_implIS3_PKS6_PS6_PKiS6_N6hipcub16HIPCUB_304000_NS6detail27convert_result_type_wrapperISA_SB_N2at6native12_GLOBAL__N_19CustomMinEEEEE10hipError_tPvRmT0_T1_jT2_SS_T4_T3_P12ihipStream_tbEUlT_E_NS1_11comp_targetILNS1_3genE4ELNS1_11target_archE910ELNS1_3gpuE8ELNS1_3repE0EEENS1_30default_config_static_selectorELNS0_4arch9wavefront6targetE0EEEvSR_
; %bb.0:
	.section	.rodata,"a",@progbits
	.p2align	6, 0x0
	.amdhsa_kernel _ZN7rocprim17ROCPRIM_400000_NS6detail17trampoline_kernelINS0_14default_configENS1_32segmented_reduce_config_selectorIN3c104HalfEEEZNS1_21segmented_reduce_implIS3_PKS6_PS6_PKiS6_N6hipcub16HIPCUB_304000_NS6detail27convert_result_type_wrapperISA_SB_N2at6native12_GLOBAL__N_19CustomMinEEEEE10hipError_tPvRmT0_T1_jT2_SS_T4_T3_P12ihipStream_tbEUlT_E_NS1_11comp_targetILNS1_3genE4ELNS1_11target_archE910ELNS1_3gpuE8ELNS1_3repE0EEENS1_30default_config_static_selectorELNS0_4arch9wavefront6targetE0EEEvSR_
		.amdhsa_group_segment_fixed_size 0
		.amdhsa_private_segment_fixed_size 0
		.amdhsa_kernarg_size 48
		.amdhsa_user_sgpr_count 15
		.amdhsa_user_sgpr_dispatch_ptr 0
		.amdhsa_user_sgpr_queue_ptr 0
		.amdhsa_user_sgpr_kernarg_segment_ptr 1
		.amdhsa_user_sgpr_dispatch_id 0
		.amdhsa_user_sgpr_private_segment_size 0
		.amdhsa_wavefront_size32 1
		.amdhsa_uses_dynamic_stack 0
		.amdhsa_enable_private_segment 0
		.amdhsa_system_sgpr_workgroup_id_x 1
		.amdhsa_system_sgpr_workgroup_id_y 0
		.amdhsa_system_sgpr_workgroup_id_z 0
		.amdhsa_system_sgpr_workgroup_info 0
		.amdhsa_system_vgpr_workitem_id 0
		.amdhsa_next_free_vgpr 1
		.amdhsa_next_free_sgpr 1
		.amdhsa_reserve_vcc 0
		.amdhsa_float_round_mode_32 0
		.amdhsa_float_round_mode_16_64 0
		.amdhsa_float_denorm_mode_32 3
		.amdhsa_float_denorm_mode_16_64 3
		.amdhsa_dx10_clamp 1
		.amdhsa_ieee_mode 1
		.amdhsa_fp16_overflow 0
		.amdhsa_workgroup_processor_mode 1
		.amdhsa_memory_ordered 1
		.amdhsa_forward_progress 0
		.amdhsa_shared_vgpr_count 0
		.amdhsa_exception_fp_ieee_invalid_op 0
		.amdhsa_exception_fp_denorm_src 0
		.amdhsa_exception_fp_ieee_div_zero 0
		.amdhsa_exception_fp_ieee_overflow 0
		.amdhsa_exception_fp_ieee_underflow 0
		.amdhsa_exception_fp_ieee_inexact 0
		.amdhsa_exception_int_div_zero 0
	.end_amdhsa_kernel
	.section	.text._ZN7rocprim17ROCPRIM_400000_NS6detail17trampoline_kernelINS0_14default_configENS1_32segmented_reduce_config_selectorIN3c104HalfEEEZNS1_21segmented_reduce_implIS3_PKS6_PS6_PKiS6_N6hipcub16HIPCUB_304000_NS6detail27convert_result_type_wrapperISA_SB_N2at6native12_GLOBAL__N_19CustomMinEEEEE10hipError_tPvRmT0_T1_jT2_SS_T4_T3_P12ihipStream_tbEUlT_E_NS1_11comp_targetILNS1_3genE4ELNS1_11target_archE910ELNS1_3gpuE8ELNS1_3repE0EEENS1_30default_config_static_selectorELNS0_4arch9wavefront6targetE0EEEvSR_,"axG",@progbits,_ZN7rocprim17ROCPRIM_400000_NS6detail17trampoline_kernelINS0_14default_configENS1_32segmented_reduce_config_selectorIN3c104HalfEEEZNS1_21segmented_reduce_implIS3_PKS6_PS6_PKiS6_N6hipcub16HIPCUB_304000_NS6detail27convert_result_type_wrapperISA_SB_N2at6native12_GLOBAL__N_19CustomMinEEEEE10hipError_tPvRmT0_T1_jT2_SS_T4_T3_P12ihipStream_tbEUlT_E_NS1_11comp_targetILNS1_3genE4ELNS1_11target_archE910ELNS1_3gpuE8ELNS1_3repE0EEENS1_30default_config_static_selectorELNS0_4arch9wavefront6targetE0EEEvSR_,comdat
.Lfunc_end97:
	.size	_ZN7rocprim17ROCPRIM_400000_NS6detail17trampoline_kernelINS0_14default_configENS1_32segmented_reduce_config_selectorIN3c104HalfEEEZNS1_21segmented_reduce_implIS3_PKS6_PS6_PKiS6_N6hipcub16HIPCUB_304000_NS6detail27convert_result_type_wrapperISA_SB_N2at6native12_GLOBAL__N_19CustomMinEEEEE10hipError_tPvRmT0_T1_jT2_SS_T4_T3_P12ihipStream_tbEUlT_E_NS1_11comp_targetILNS1_3genE4ELNS1_11target_archE910ELNS1_3gpuE8ELNS1_3repE0EEENS1_30default_config_static_selectorELNS0_4arch9wavefront6targetE0EEEvSR_, .Lfunc_end97-_ZN7rocprim17ROCPRIM_400000_NS6detail17trampoline_kernelINS0_14default_configENS1_32segmented_reduce_config_selectorIN3c104HalfEEEZNS1_21segmented_reduce_implIS3_PKS6_PS6_PKiS6_N6hipcub16HIPCUB_304000_NS6detail27convert_result_type_wrapperISA_SB_N2at6native12_GLOBAL__N_19CustomMinEEEEE10hipError_tPvRmT0_T1_jT2_SS_T4_T3_P12ihipStream_tbEUlT_E_NS1_11comp_targetILNS1_3genE4ELNS1_11target_archE910ELNS1_3gpuE8ELNS1_3repE0EEENS1_30default_config_static_selectorELNS0_4arch9wavefront6targetE0EEEvSR_
                                        ; -- End function
	.section	.AMDGPU.csdata,"",@progbits
; Kernel info:
; codeLenInByte = 0
; NumSgprs: 0
; NumVgprs: 0
; ScratchSize: 0
; MemoryBound: 0
; FloatMode: 240
; IeeeMode: 1
; LDSByteSize: 0 bytes/workgroup (compile time only)
; SGPRBlocks: 0
; VGPRBlocks: 0
; NumSGPRsForWavesPerEU: 1
; NumVGPRsForWavesPerEU: 1
; Occupancy: 16
; WaveLimiterHint : 0
; COMPUTE_PGM_RSRC2:SCRATCH_EN: 0
; COMPUTE_PGM_RSRC2:USER_SGPR: 15
; COMPUTE_PGM_RSRC2:TRAP_HANDLER: 0
; COMPUTE_PGM_RSRC2:TGID_X_EN: 1
; COMPUTE_PGM_RSRC2:TGID_Y_EN: 0
; COMPUTE_PGM_RSRC2:TGID_Z_EN: 0
; COMPUTE_PGM_RSRC2:TIDIG_COMP_CNT: 0
	.section	.text._ZN7rocprim17ROCPRIM_400000_NS6detail17trampoline_kernelINS0_14default_configENS1_32segmented_reduce_config_selectorIN3c104HalfEEEZNS1_21segmented_reduce_implIS3_PKS6_PS6_PKiS6_N6hipcub16HIPCUB_304000_NS6detail27convert_result_type_wrapperISA_SB_N2at6native12_GLOBAL__N_19CustomMinEEEEE10hipError_tPvRmT0_T1_jT2_SS_T4_T3_P12ihipStream_tbEUlT_E_NS1_11comp_targetILNS1_3genE3ELNS1_11target_archE908ELNS1_3gpuE7ELNS1_3repE0EEENS1_30default_config_static_selectorELNS0_4arch9wavefront6targetE0EEEvSR_,"axG",@progbits,_ZN7rocprim17ROCPRIM_400000_NS6detail17trampoline_kernelINS0_14default_configENS1_32segmented_reduce_config_selectorIN3c104HalfEEEZNS1_21segmented_reduce_implIS3_PKS6_PS6_PKiS6_N6hipcub16HIPCUB_304000_NS6detail27convert_result_type_wrapperISA_SB_N2at6native12_GLOBAL__N_19CustomMinEEEEE10hipError_tPvRmT0_T1_jT2_SS_T4_T3_P12ihipStream_tbEUlT_E_NS1_11comp_targetILNS1_3genE3ELNS1_11target_archE908ELNS1_3gpuE7ELNS1_3repE0EEENS1_30default_config_static_selectorELNS0_4arch9wavefront6targetE0EEEvSR_,comdat
	.globl	_ZN7rocprim17ROCPRIM_400000_NS6detail17trampoline_kernelINS0_14default_configENS1_32segmented_reduce_config_selectorIN3c104HalfEEEZNS1_21segmented_reduce_implIS3_PKS6_PS6_PKiS6_N6hipcub16HIPCUB_304000_NS6detail27convert_result_type_wrapperISA_SB_N2at6native12_GLOBAL__N_19CustomMinEEEEE10hipError_tPvRmT0_T1_jT2_SS_T4_T3_P12ihipStream_tbEUlT_E_NS1_11comp_targetILNS1_3genE3ELNS1_11target_archE908ELNS1_3gpuE7ELNS1_3repE0EEENS1_30default_config_static_selectorELNS0_4arch9wavefront6targetE0EEEvSR_ ; -- Begin function _ZN7rocprim17ROCPRIM_400000_NS6detail17trampoline_kernelINS0_14default_configENS1_32segmented_reduce_config_selectorIN3c104HalfEEEZNS1_21segmented_reduce_implIS3_PKS6_PS6_PKiS6_N6hipcub16HIPCUB_304000_NS6detail27convert_result_type_wrapperISA_SB_N2at6native12_GLOBAL__N_19CustomMinEEEEE10hipError_tPvRmT0_T1_jT2_SS_T4_T3_P12ihipStream_tbEUlT_E_NS1_11comp_targetILNS1_3genE3ELNS1_11target_archE908ELNS1_3gpuE7ELNS1_3repE0EEENS1_30default_config_static_selectorELNS0_4arch9wavefront6targetE0EEEvSR_
	.p2align	8
	.type	_ZN7rocprim17ROCPRIM_400000_NS6detail17trampoline_kernelINS0_14default_configENS1_32segmented_reduce_config_selectorIN3c104HalfEEEZNS1_21segmented_reduce_implIS3_PKS6_PS6_PKiS6_N6hipcub16HIPCUB_304000_NS6detail27convert_result_type_wrapperISA_SB_N2at6native12_GLOBAL__N_19CustomMinEEEEE10hipError_tPvRmT0_T1_jT2_SS_T4_T3_P12ihipStream_tbEUlT_E_NS1_11comp_targetILNS1_3genE3ELNS1_11target_archE908ELNS1_3gpuE7ELNS1_3repE0EEENS1_30default_config_static_selectorELNS0_4arch9wavefront6targetE0EEEvSR_,@function
_ZN7rocprim17ROCPRIM_400000_NS6detail17trampoline_kernelINS0_14default_configENS1_32segmented_reduce_config_selectorIN3c104HalfEEEZNS1_21segmented_reduce_implIS3_PKS6_PS6_PKiS6_N6hipcub16HIPCUB_304000_NS6detail27convert_result_type_wrapperISA_SB_N2at6native12_GLOBAL__N_19CustomMinEEEEE10hipError_tPvRmT0_T1_jT2_SS_T4_T3_P12ihipStream_tbEUlT_E_NS1_11comp_targetILNS1_3genE3ELNS1_11target_archE908ELNS1_3gpuE7ELNS1_3repE0EEENS1_30default_config_static_selectorELNS0_4arch9wavefront6targetE0EEEvSR_: ; @_ZN7rocprim17ROCPRIM_400000_NS6detail17trampoline_kernelINS0_14default_configENS1_32segmented_reduce_config_selectorIN3c104HalfEEEZNS1_21segmented_reduce_implIS3_PKS6_PS6_PKiS6_N6hipcub16HIPCUB_304000_NS6detail27convert_result_type_wrapperISA_SB_N2at6native12_GLOBAL__N_19CustomMinEEEEE10hipError_tPvRmT0_T1_jT2_SS_T4_T3_P12ihipStream_tbEUlT_E_NS1_11comp_targetILNS1_3genE3ELNS1_11target_archE908ELNS1_3gpuE7ELNS1_3repE0EEENS1_30default_config_static_selectorELNS0_4arch9wavefront6targetE0EEEvSR_
; %bb.0:
	.section	.rodata,"a",@progbits
	.p2align	6, 0x0
	.amdhsa_kernel _ZN7rocprim17ROCPRIM_400000_NS6detail17trampoline_kernelINS0_14default_configENS1_32segmented_reduce_config_selectorIN3c104HalfEEEZNS1_21segmented_reduce_implIS3_PKS6_PS6_PKiS6_N6hipcub16HIPCUB_304000_NS6detail27convert_result_type_wrapperISA_SB_N2at6native12_GLOBAL__N_19CustomMinEEEEE10hipError_tPvRmT0_T1_jT2_SS_T4_T3_P12ihipStream_tbEUlT_E_NS1_11comp_targetILNS1_3genE3ELNS1_11target_archE908ELNS1_3gpuE7ELNS1_3repE0EEENS1_30default_config_static_selectorELNS0_4arch9wavefront6targetE0EEEvSR_
		.amdhsa_group_segment_fixed_size 0
		.amdhsa_private_segment_fixed_size 0
		.amdhsa_kernarg_size 48
		.amdhsa_user_sgpr_count 15
		.amdhsa_user_sgpr_dispatch_ptr 0
		.amdhsa_user_sgpr_queue_ptr 0
		.amdhsa_user_sgpr_kernarg_segment_ptr 1
		.amdhsa_user_sgpr_dispatch_id 0
		.amdhsa_user_sgpr_private_segment_size 0
		.amdhsa_wavefront_size32 1
		.amdhsa_uses_dynamic_stack 0
		.amdhsa_enable_private_segment 0
		.amdhsa_system_sgpr_workgroup_id_x 1
		.amdhsa_system_sgpr_workgroup_id_y 0
		.amdhsa_system_sgpr_workgroup_id_z 0
		.amdhsa_system_sgpr_workgroup_info 0
		.amdhsa_system_vgpr_workitem_id 0
		.amdhsa_next_free_vgpr 1
		.amdhsa_next_free_sgpr 1
		.amdhsa_reserve_vcc 0
		.amdhsa_float_round_mode_32 0
		.amdhsa_float_round_mode_16_64 0
		.amdhsa_float_denorm_mode_32 3
		.amdhsa_float_denorm_mode_16_64 3
		.amdhsa_dx10_clamp 1
		.amdhsa_ieee_mode 1
		.amdhsa_fp16_overflow 0
		.amdhsa_workgroup_processor_mode 1
		.amdhsa_memory_ordered 1
		.amdhsa_forward_progress 0
		.amdhsa_shared_vgpr_count 0
		.amdhsa_exception_fp_ieee_invalid_op 0
		.amdhsa_exception_fp_denorm_src 0
		.amdhsa_exception_fp_ieee_div_zero 0
		.amdhsa_exception_fp_ieee_overflow 0
		.amdhsa_exception_fp_ieee_underflow 0
		.amdhsa_exception_fp_ieee_inexact 0
		.amdhsa_exception_int_div_zero 0
	.end_amdhsa_kernel
	.section	.text._ZN7rocprim17ROCPRIM_400000_NS6detail17trampoline_kernelINS0_14default_configENS1_32segmented_reduce_config_selectorIN3c104HalfEEEZNS1_21segmented_reduce_implIS3_PKS6_PS6_PKiS6_N6hipcub16HIPCUB_304000_NS6detail27convert_result_type_wrapperISA_SB_N2at6native12_GLOBAL__N_19CustomMinEEEEE10hipError_tPvRmT0_T1_jT2_SS_T4_T3_P12ihipStream_tbEUlT_E_NS1_11comp_targetILNS1_3genE3ELNS1_11target_archE908ELNS1_3gpuE7ELNS1_3repE0EEENS1_30default_config_static_selectorELNS0_4arch9wavefront6targetE0EEEvSR_,"axG",@progbits,_ZN7rocprim17ROCPRIM_400000_NS6detail17trampoline_kernelINS0_14default_configENS1_32segmented_reduce_config_selectorIN3c104HalfEEEZNS1_21segmented_reduce_implIS3_PKS6_PS6_PKiS6_N6hipcub16HIPCUB_304000_NS6detail27convert_result_type_wrapperISA_SB_N2at6native12_GLOBAL__N_19CustomMinEEEEE10hipError_tPvRmT0_T1_jT2_SS_T4_T3_P12ihipStream_tbEUlT_E_NS1_11comp_targetILNS1_3genE3ELNS1_11target_archE908ELNS1_3gpuE7ELNS1_3repE0EEENS1_30default_config_static_selectorELNS0_4arch9wavefront6targetE0EEEvSR_,comdat
.Lfunc_end98:
	.size	_ZN7rocprim17ROCPRIM_400000_NS6detail17trampoline_kernelINS0_14default_configENS1_32segmented_reduce_config_selectorIN3c104HalfEEEZNS1_21segmented_reduce_implIS3_PKS6_PS6_PKiS6_N6hipcub16HIPCUB_304000_NS6detail27convert_result_type_wrapperISA_SB_N2at6native12_GLOBAL__N_19CustomMinEEEEE10hipError_tPvRmT0_T1_jT2_SS_T4_T3_P12ihipStream_tbEUlT_E_NS1_11comp_targetILNS1_3genE3ELNS1_11target_archE908ELNS1_3gpuE7ELNS1_3repE0EEENS1_30default_config_static_selectorELNS0_4arch9wavefront6targetE0EEEvSR_, .Lfunc_end98-_ZN7rocprim17ROCPRIM_400000_NS6detail17trampoline_kernelINS0_14default_configENS1_32segmented_reduce_config_selectorIN3c104HalfEEEZNS1_21segmented_reduce_implIS3_PKS6_PS6_PKiS6_N6hipcub16HIPCUB_304000_NS6detail27convert_result_type_wrapperISA_SB_N2at6native12_GLOBAL__N_19CustomMinEEEEE10hipError_tPvRmT0_T1_jT2_SS_T4_T3_P12ihipStream_tbEUlT_E_NS1_11comp_targetILNS1_3genE3ELNS1_11target_archE908ELNS1_3gpuE7ELNS1_3repE0EEENS1_30default_config_static_selectorELNS0_4arch9wavefront6targetE0EEEvSR_
                                        ; -- End function
	.section	.AMDGPU.csdata,"",@progbits
; Kernel info:
; codeLenInByte = 0
; NumSgprs: 0
; NumVgprs: 0
; ScratchSize: 0
; MemoryBound: 0
; FloatMode: 240
; IeeeMode: 1
; LDSByteSize: 0 bytes/workgroup (compile time only)
; SGPRBlocks: 0
; VGPRBlocks: 0
; NumSGPRsForWavesPerEU: 1
; NumVGPRsForWavesPerEU: 1
; Occupancy: 16
; WaveLimiterHint : 0
; COMPUTE_PGM_RSRC2:SCRATCH_EN: 0
; COMPUTE_PGM_RSRC2:USER_SGPR: 15
; COMPUTE_PGM_RSRC2:TRAP_HANDLER: 0
; COMPUTE_PGM_RSRC2:TGID_X_EN: 1
; COMPUTE_PGM_RSRC2:TGID_Y_EN: 0
; COMPUTE_PGM_RSRC2:TGID_Z_EN: 0
; COMPUTE_PGM_RSRC2:TIDIG_COMP_CNT: 0
	.section	.text._ZN7rocprim17ROCPRIM_400000_NS6detail17trampoline_kernelINS0_14default_configENS1_32segmented_reduce_config_selectorIN3c104HalfEEEZNS1_21segmented_reduce_implIS3_PKS6_PS6_PKiS6_N6hipcub16HIPCUB_304000_NS6detail27convert_result_type_wrapperISA_SB_N2at6native12_GLOBAL__N_19CustomMinEEEEE10hipError_tPvRmT0_T1_jT2_SS_T4_T3_P12ihipStream_tbEUlT_E_NS1_11comp_targetILNS1_3genE2ELNS1_11target_archE906ELNS1_3gpuE6ELNS1_3repE0EEENS1_30default_config_static_selectorELNS0_4arch9wavefront6targetE0EEEvSR_,"axG",@progbits,_ZN7rocprim17ROCPRIM_400000_NS6detail17trampoline_kernelINS0_14default_configENS1_32segmented_reduce_config_selectorIN3c104HalfEEEZNS1_21segmented_reduce_implIS3_PKS6_PS6_PKiS6_N6hipcub16HIPCUB_304000_NS6detail27convert_result_type_wrapperISA_SB_N2at6native12_GLOBAL__N_19CustomMinEEEEE10hipError_tPvRmT0_T1_jT2_SS_T4_T3_P12ihipStream_tbEUlT_E_NS1_11comp_targetILNS1_3genE2ELNS1_11target_archE906ELNS1_3gpuE6ELNS1_3repE0EEENS1_30default_config_static_selectorELNS0_4arch9wavefront6targetE0EEEvSR_,comdat
	.globl	_ZN7rocprim17ROCPRIM_400000_NS6detail17trampoline_kernelINS0_14default_configENS1_32segmented_reduce_config_selectorIN3c104HalfEEEZNS1_21segmented_reduce_implIS3_PKS6_PS6_PKiS6_N6hipcub16HIPCUB_304000_NS6detail27convert_result_type_wrapperISA_SB_N2at6native12_GLOBAL__N_19CustomMinEEEEE10hipError_tPvRmT0_T1_jT2_SS_T4_T3_P12ihipStream_tbEUlT_E_NS1_11comp_targetILNS1_3genE2ELNS1_11target_archE906ELNS1_3gpuE6ELNS1_3repE0EEENS1_30default_config_static_selectorELNS0_4arch9wavefront6targetE0EEEvSR_ ; -- Begin function _ZN7rocprim17ROCPRIM_400000_NS6detail17trampoline_kernelINS0_14default_configENS1_32segmented_reduce_config_selectorIN3c104HalfEEEZNS1_21segmented_reduce_implIS3_PKS6_PS6_PKiS6_N6hipcub16HIPCUB_304000_NS6detail27convert_result_type_wrapperISA_SB_N2at6native12_GLOBAL__N_19CustomMinEEEEE10hipError_tPvRmT0_T1_jT2_SS_T4_T3_P12ihipStream_tbEUlT_E_NS1_11comp_targetILNS1_3genE2ELNS1_11target_archE906ELNS1_3gpuE6ELNS1_3repE0EEENS1_30default_config_static_selectorELNS0_4arch9wavefront6targetE0EEEvSR_
	.p2align	8
	.type	_ZN7rocprim17ROCPRIM_400000_NS6detail17trampoline_kernelINS0_14default_configENS1_32segmented_reduce_config_selectorIN3c104HalfEEEZNS1_21segmented_reduce_implIS3_PKS6_PS6_PKiS6_N6hipcub16HIPCUB_304000_NS6detail27convert_result_type_wrapperISA_SB_N2at6native12_GLOBAL__N_19CustomMinEEEEE10hipError_tPvRmT0_T1_jT2_SS_T4_T3_P12ihipStream_tbEUlT_E_NS1_11comp_targetILNS1_3genE2ELNS1_11target_archE906ELNS1_3gpuE6ELNS1_3repE0EEENS1_30default_config_static_selectorELNS0_4arch9wavefront6targetE0EEEvSR_,@function
_ZN7rocprim17ROCPRIM_400000_NS6detail17trampoline_kernelINS0_14default_configENS1_32segmented_reduce_config_selectorIN3c104HalfEEEZNS1_21segmented_reduce_implIS3_PKS6_PS6_PKiS6_N6hipcub16HIPCUB_304000_NS6detail27convert_result_type_wrapperISA_SB_N2at6native12_GLOBAL__N_19CustomMinEEEEE10hipError_tPvRmT0_T1_jT2_SS_T4_T3_P12ihipStream_tbEUlT_E_NS1_11comp_targetILNS1_3genE2ELNS1_11target_archE906ELNS1_3gpuE6ELNS1_3repE0EEENS1_30default_config_static_selectorELNS0_4arch9wavefront6targetE0EEEvSR_: ; @_ZN7rocprim17ROCPRIM_400000_NS6detail17trampoline_kernelINS0_14default_configENS1_32segmented_reduce_config_selectorIN3c104HalfEEEZNS1_21segmented_reduce_implIS3_PKS6_PS6_PKiS6_N6hipcub16HIPCUB_304000_NS6detail27convert_result_type_wrapperISA_SB_N2at6native12_GLOBAL__N_19CustomMinEEEEE10hipError_tPvRmT0_T1_jT2_SS_T4_T3_P12ihipStream_tbEUlT_E_NS1_11comp_targetILNS1_3genE2ELNS1_11target_archE906ELNS1_3gpuE6ELNS1_3repE0EEENS1_30default_config_static_selectorELNS0_4arch9wavefront6targetE0EEEvSR_
; %bb.0:
	.section	.rodata,"a",@progbits
	.p2align	6, 0x0
	.amdhsa_kernel _ZN7rocprim17ROCPRIM_400000_NS6detail17trampoline_kernelINS0_14default_configENS1_32segmented_reduce_config_selectorIN3c104HalfEEEZNS1_21segmented_reduce_implIS3_PKS6_PS6_PKiS6_N6hipcub16HIPCUB_304000_NS6detail27convert_result_type_wrapperISA_SB_N2at6native12_GLOBAL__N_19CustomMinEEEEE10hipError_tPvRmT0_T1_jT2_SS_T4_T3_P12ihipStream_tbEUlT_E_NS1_11comp_targetILNS1_3genE2ELNS1_11target_archE906ELNS1_3gpuE6ELNS1_3repE0EEENS1_30default_config_static_selectorELNS0_4arch9wavefront6targetE0EEEvSR_
		.amdhsa_group_segment_fixed_size 0
		.amdhsa_private_segment_fixed_size 0
		.amdhsa_kernarg_size 48
		.amdhsa_user_sgpr_count 15
		.amdhsa_user_sgpr_dispatch_ptr 0
		.amdhsa_user_sgpr_queue_ptr 0
		.amdhsa_user_sgpr_kernarg_segment_ptr 1
		.amdhsa_user_sgpr_dispatch_id 0
		.amdhsa_user_sgpr_private_segment_size 0
		.amdhsa_wavefront_size32 1
		.amdhsa_uses_dynamic_stack 0
		.amdhsa_enable_private_segment 0
		.amdhsa_system_sgpr_workgroup_id_x 1
		.amdhsa_system_sgpr_workgroup_id_y 0
		.amdhsa_system_sgpr_workgroup_id_z 0
		.amdhsa_system_sgpr_workgroup_info 0
		.amdhsa_system_vgpr_workitem_id 0
		.amdhsa_next_free_vgpr 1
		.amdhsa_next_free_sgpr 1
		.amdhsa_reserve_vcc 0
		.amdhsa_float_round_mode_32 0
		.amdhsa_float_round_mode_16_64 0
		.amdhsa_float_denorm_mode_32 3
		.amdhsa_float_denorm_mode_16_64 3
		.amdhsa_dx10_clamp 1
		.amdhsa_ieee_mode 1
		.amdhsa_fp16_overflow 0
		.amdhsa_workgroup_processor_mode 1
		.amdhsa_memory_ordered 1
		.amdhsa_forward_progress 0
		.amdhsa_shared_vgpr_count 0
		.amdhsa_exception_fp_ieee_invalid_op 0
		.amdhsa_exception_fp_denorm_src 0
		.amdhsa_exception_fp_ieee_div_zero 0
		.amdhsa_exception_fp_ieee_overflow 0
		.amdhsa_exception_fp_ieee_underflow 0
		.amdhsa_exception_fp_ieee_inexact 0
		.amdhsa_exception_int_div_zero 0
	.end_amdhsa_kernel
	.section	.text._ZN7rocprim17ROCPRIM_400000_NS6detail17trampoline_kernelINS0_14default_configENS1_32segmented_reduce_config_selectorIN3c104HalfEEEZNS1_21segmented_reduce_implIS3_PKS6_PS6_PKiS6_N6hipcub16HIPCUB_304000_NS6detail27convert_result_type_wrapperISA_SB_N2at6native12_GLOBAL__N_19CustomMinEEEEE10hipError_tPvRmT0_T1_jT2_SS_T4_T3_P12ihipStream_tbEUlT_E_NS1_11comp_targetILNS1_3genE2ELNS1_11target_archE906ELNS1_3gpuE6ELNS1_3repE0EEENS1_30default_config_static_selectorELNS0_4arch9wavefront6targetE0EEEvSR_,"axG",@progbits,_ZN7rocprim17ROCPRIM_400000_NS6detail17trampoline_kernelINS0_14default_configENS1_32segmented_reduce_config_selectorIN3c104HalfEEEZNS1_21segmented_reduce_implIS3_PKS6_PS6_PKiS6_N6hipcub16HIPCUB_304000_NS6detail27convert_result_type_wrapperISA_SB_N2at6native12_GLOBAL__N_19CustomMinEEEEE10hipError_tPvRmT0_T1_jT2_SS_T4_T3_P12ihipStream_tbEUlT_E_NS1_11comp_targetILNS1_3genE2ELNS1_11target_archE906ELNS1_3gpuE6ELNS1_3repE0EEENS1_30default_config_static_selectorELNS0_4arch9wavefront6targetE0EEEvSR_,comdat
.Lfunc_end99:
	.size	_ZN7rocprim17ROCPRIM_400000_NS6detail17trampoline_kernelINS0_14default_configENS1_32segmented_reduce_config_selectorIN3c104HalfEEEZNS1_21segmented_reduce_implIS3_PKS6_PS6_PKiS6_N6hipcub16HIPCUB_304000_NS6detail27convert_result_type_wrapperISA_SB_N2at6native12_GLOBAL__N_19CustomMinEEEEE10hipError_tPvRmT0_T1_jT2_SS_T4_T3_P12ihipStream_tbEUlT_E_NS1_11comp_targetILNS1_3genE2ELNS1_11target_archE906ELNS1_3gpuE6ELNS1_3repE0EEENS1_30default_config_static_selectorELNS0_4arch9wavefront6targetE0EEEvSR_, .Lfunc_end99-_ZN7rocprim17ROCPRIM_400000_NS6detail17trampoline_kernelINS0_14default_configENS1_32segmented_reduce_config_selectorIN3c104HalfEEEZNS1_21segmented_reduce_implIS3_PKS6_PS6_PKiS6_N6hipcub16HIPCUB_304000_NS6detail27convert_result_type_wrapperISA_SB_N2at6native12_GLOBAL__N_19CustomMinEEEEE10hipError_tPvRmT0_T1_jT2_SS_T4_T3_P12ihipStream_tbEUlT_E_NS1_11comp_targetILNS1_3genE2ELNS1_11target_archE906ELNS1_3gpuE6ELNS1_3repE0EEENS1_30default_config_static_selectorELNS0_4arch9wavefront6targetE0EEEvSR_
                                        ; -- End function
	.section	.AMDGPU.csdata,"",@progbits
; Kernel info:
; codeLenInByte = 0
; NumSgprs: 0
; NumVgprs: 0
; ScratchSize: 0
; MemoryBound: 0
; FloatMode: 240
; IeeeMode: 1
; LDSByteSize: 0 bytes/workgroup (compile time only)
; SGPRBlocks: 0
; VGPRBlocks: 0
; NumSGPRsForWavesPerEU: 1
; NumVGPRsForWavesPerEU: 1
; Occupancy: 16
; WaveLimiterHint : 0
; COMPUTE_PGM_RSRC2:SCRATCH_EN: 0
; COMPUTE_PGM_RSRC2:USER_SGPR: 15
; COMPUTE_PGM_RSRC2:TRAP_HANDLER: 0
; COMPUTE_PGM_RSRC2:TGID_X_EN: 1
; COMPUTE_PGM_RSRC2:TGID_Y_EN: 0
; COMPUTE_PGM_RSRC2:TGID_Z_EN: 0
; COMPUTE_PGM_RSRC2:TIDIG_COMP_CNT: 0
	.section	.text._ZN7rocprim17ROCPRIM_400000_NS6detail17trampoline_kernelINS0_14default_configENS1_32segmented_reduce_config_selectorIN3c104HalfEEEZNS1_21segmented_reduce_implIS3_PKS6_PS6_PKiS6_N6hipcub16HIPCUB_304000_NS6detail27convert_result_type_wrapperISA_SB_N2at6native12_GLOBAL__N_19CustomMinEEEEE10hipError_tPvRmT0_T1_jT2_SS_T4_T3_P12ihipStream_tbEUlT_E_NS1_11comp_targetILNS1_3genE9ELNS1_11target_archE1100ELNS1_3gpuE3ELNS1_3repE0EEENS1_30default_config_static_selectorELNS0_4arch9wavefront6targetE0EEEvSR_,"axG",@progbits,_ZN7rocprim17ROCPRIM_400000_NS6detail17trampoline_kernelINS0_14default_configENS1_32segmented_reduce_config_selectorIN3c104HalfEEEZNS1_21segmented_reduce_implIS3_PKS6_PS6_PKiS6_N6hipcub16HIPCUB_304000_NS6detail27convert_result_type_wrapperISA_SB_N2at6native12_GLOBAL__N_19CustomMinEEEEE10hipError_tPvRmT0_T1_jT2_SS_T4_T3_P12ihipStream_tbEUlT_E_NS1_11comp_targetILNS1_3genE9ELNS1_11target_archE1100ELNS1_3gpuE3ELNS1_3repE0EEENS1_30default_config_static_selectorELNS0_4arch9wavefront6targetE0EEEvSR_,comdat
	.globl	_ZN7rocprim17ROCPRIM_400000_NS6detail17trampoline_kernelINS0_14default_configENS1_32segmented_reduce_config_selectorIN3c104HalfEEEZNS1_21segmented_reduce_implIS3_PKS6_PS6_PKiS6_N6hipcub16HIPCUB_304000_NS6detail27convert_result_type_wrapperISA_SB_N2at6native12_GLOBAL__N_19CustomMinEEEEE10hipError_tPvRmT0_T1_jT2_SS_T4_T3_P12ihipStream_tbEUlT_E_NS1_11comp_targetILNS1_3genE9ELNS1_11target_archE1100ELNS1_3gpuE3ELNS1_3repE0EEENS1_30default_config_static_selectorELNS0_4arch9wavefront6targetE0EEEvSR_ ; -- Begin function _ZN7rocprim17ROCPRIM_400000_NS6detail17trampoline_kernelINS0_14default_configENS1_32segmented_reduce_config_selectorIN3c104HalfEEEZNS1_21segmented_reduce_implIS3_PKS6_PS6_PKiS6_N6hipcub16HIPCUB_304000_NS6detail27convert_result_type_wrapperISA_SB_N2at6native12_GLOBAL__N_19CustomMinEEEEE10hipError_tPvRmT0_T1_jT2_SS_T4_T3_P12ihipStream_tbEUlT_E_NS1_11comp_targetILNS1_3genE9ELNS1_11target_archE1100ELNS1_3gpuE3ELNS1_3repE0EEENS1_30default_config_static_selectorELNS0_4arch9wavefront6targetE0EEEvSR_
	.p2align	8
	.type	_ZN7rocprim17ROCPRIM_400000_NS6detail17trampoline_kernelINS0_14default_configENS1_32segmented_reduce_config_selectorIN3c104HalfEEEZNS1_21segmented_reduce_implIS3_PKS6_PS6_PKiS6_N6hipcub16HIPCUB_304000_NS6detail27convert_result_type_wrapperISA_SB_N2at6native12_GLOBAL__N_19CustomMinEEEEE10hipError_tPvRmT0_T1_jT2_SS_T4_T3_P12ihipStream_tbEUlT_E_NS1_11comp_targetILNS1_3genE9ELNS1_11target_archE1100ELNS1_3gpuE3ELNS1_3repE0EEENS1_30default_config_static_selectorELNS0_4arch9wavefront6targetE0EEEvSR_,@function
_ZN7rocprim17ROCPRIM_400000_NS6detail17trampoline_kernelINS0_14default_configENS1_32segmented_reduce_config_selectorIN3c104HalfEEEZNS1_21segmented_reduce_implIS3_PKS6_PS6_PKiS6_N6hipcub16HIPCUB_304000_NS6detail27convert_result_type_wrapperISA_SB_N2at6native12_GLOBAL__N_19CustomMinEEEEE10hipError_tPvRmT0_T1_jT2_SS_T4_T3_P12ihipStream_tbEUlT_E_NS1_11comp_targetILNS1_3genE9ELNS1_11target_archE1100ELNS1_3gpuE3ELNS1_3repE0EEENS1_30default_config_static_selectorELNS0_4arch9wavefront6targetE0EEEvSR_: ; @_ZN7rocprim17ROCPRIM_400000_NS6detail17trampoline_kernelINS0_14default_configENS1_32segmented_reduce_config_selectorIN3c104HalfEEEZNS1_21segmented_reduce_implIS3_PKS6_PS6_PKiS6_N6hipcub16HIPCUB_304000_NS6detail27convert_result_type_wrapperISA_SB_N2at6native12_GLOBAL__N_19CustomMinEEEEE10hipError_tPvRmT0_T1_jT2_SS_T4_T3_P12ihipStream_tbEUlT_E_NS1_11comp_targetILNS1_3genE9ELNS1_11target_archE1100ELNS1_3gpuE3ELNS1_3repE0EEENS1_30default_config_static_selectorELNS0_4arch9wavefront6targetE0EEEvSR_
; %bb.0:
	s_clause 0x2
	s_load_b256 s[16:23], s[0:1], 0x0
	s_load_b32 s4, s[0:1], 0x28
	s_load_b64 s[0:1], s[0:1], 0x20
	s_mov_b32 s24, s15
	s_mov_b32 s25, 0
	v_cmp_eq_u32_e32 vcc_lo, 0, v0
	s_waitcnt lgkmcnt(0)
	s_lshl_b64 s[2:3], s[20:21], 2
	s_lshr_b32 s15, s4, 16
	s_add_u32 s4, s22, s2
	s_addc_u32 s5, s23, s3
	s_add_u32 s6, s0, s2
	s_addc_u32 s7, s1, s3
	s_lshl_b64 s[0:1], s[24:25], 2
	s_delay_alu instid0(SALU_CYCLE_1)
	s_add_u32 s2, s4, s0
	s_addc_u32 s3, s5, s1
	s_add_u32 s0, s6, s0
	s_addc_u32 s1, s7, s1
	s_load_b32 s22, s[2:3], 0x0
	s_load_b32 s29, s[0:1], 0x0
	s_waitcnt lgkmcnt(0)
	s_cmp_gt_i32 s29, s22
	s_cbranch_scc1 .LBB100_3
; %bb.1:
	s_and_b32 s28, vcc_lo, exec_lo
	s_cbranch_execz .LBB100_4
; %bb.2:
	v_mov_b32_e32 v1, s15
	s_and_saveexec_b32 s0, s28
	s_cbranch_execnz .LBB100_407
	s_branch .LBB100_408
.LBB100_3:
	s_mov_b32 s28, s25
.LBB100_4:
	s_add_i32 s0, s22, 0x1000
	s_delay_alu instid0(SALU_CYCLE_1)
	s_cmp_le_i32 s0, s29
	s_cbranch_scc0 .LBB100_132
; %bb.5:
	s_ashr_i32 s23, s22, 31
	v_lshlrev_b32_e32 v18, 1, v0
	s_lshl_b64 s[2:3], s[22:23], 1
	s_delay_alu instid0(SALU_CYCLE_1) | instskip(SKIP_1) | instid1(VALU_DEP_1)
	s_add_u32 s2, s16, s2
	s_addc_u32 s3, s17, s3
	v_add_co_u32 v1, s1, s2, v18
	s_delay_alu instid0(VALU_DEP_1) | instskip(SKIP_1) | instid1(VALU_DEP_2)
	v_add_co_ci_u32_e64 v2, null, s3, 0, s1
	s_mov_b32 s1, exec_lo
	v_add_co_u32 v19, vcc_lo, 0x1000, v1
	s_delay_alu instid0(VALU_DEP_2)
	v_add_co_ci_u32_e32 v20, vcc_lo, 0, v2, vcc_lo
	s_clause 0xf
	global_load_u16 v17, v18, s[2:3]
	global_load_u16 v16, v18, s[2:3] offset:512
	global_load_u16 v15, v18, s[2:3] offset:1024
	;; [unrolled: 1-line block ×7, first 2 shown]
	global_load_u16 v8, v[19:20], off
	global_load_u16 v7, v[19:20], off offset:512
	global_load_u16 v6, v[19:20], off offset:1024
	;; [unrolled: 1-line block ×7, first 2 shown]
	s_waitcnt vmcnt(15)
	v_mov_b32_e32 v9, v17
	v_cmpx_o_f16_e32 v17, v17
	s_cbranch_execz .LBB100_9
; %bb.6:
	s_waitcnt vmcnt(14)
	v_mov_b32_e32 v9, v16
	s_mov_b32 s2, exec_lo
	v_cmpx_o_f16_e32 v16, v16
; %bb.7:
	v_cmp_lt_f16_e32 vcc_lo, v16, v17
	v_cndmask_b32_e32 v9, v17, v16, vcc_lo
; %bb.8:
	s_or_b32 exec_lo, exec_lo, s2
.LBB100_9:
	s_delay_alu instid0(SALU_CYCLE_1) | instskip(NEXT) | instid1(SALU_CYCLE_1)
	s_or_b32 exec_lo, exec_lo, s1
	s_mov_b32 s1, exec_lo
	s_delay_alu instid0(VALU_DEP_1)
	v_cmpx_o_f16_e32 v9, v9
	s_cbranch_execz .LBB100_13
; %bb.10:
	s_waitcnt vmcnt(13)
	v_mov_b32_e32 v19, v15
	s_mov_b32 s2, exec_lo
	v_cmpx_o_f16_e32 v15, v15
; %bb.11:
	v_cmp_gt_f16_e32 vcc_lo, v9, v15
	v_cndmask_b32_e32 v19, v9, v15, vcc_lo
; %bb.12:
	s_or_b32 exec_lo, exec_lo, s2
	s_delay_alu instid0(VALU_DEP_1)
	v_mov_b32_e32 v9, v19
.LBB100_13:
	s_or_b32 exec_lo, exec_lo, s1
	s_delay_alu instid0(SALU_CYCLE_1) | instskip(NEXT) | instid1(VALU_DEP_1)
	s_mov_b32 s1, exec_lo
	v_cmpx_o_f16_e32 v9, v9
	s_cbranch_execz .LBB100_17
; %bb.14:
	s_waitcnt vmcnt(12)
	v_mov_b32_e32 v19, v14
	s_mov_b32 s2, exec_lo
	v_cmpx_o_f16_e32 v14, v14
; %bb.15:
	v_cmp_gt_f16_e32 vcc_lo, v9, v14
	v_cndmask_b32_e32 v19, v9, v14, vcc_lo
; %bb.16:
	s_or_b32 exec_lo, exec_lo, s2
	s_delay_alu instid0(VALU_DEP_1)
	v_mov_b32_e32 v9, v19
.LBB100_17:
	s_or_b32 exec_lo, exec_lo, s1
	s_delay_alu instid0(SALU_CYCLE_1) | instskip(NEXT) | instid1(VALU_DEP_1)
	s_mov_b32 s1, exec_lo
	;; [unrolled: 18-line block ×13, first 2 shown]
	v_cmpx_o_f16_e32 v9, v9
	s_cbranch_execz .LBB100_65
; %bb.62:
	s_waitcnt vmcnt(0)
	v_mov_b32_e32 v19, v1
	s_mov_b32 s2, exec_lo
	v_cmpx_o_f16_e32 v1, v1
; %bb.63:
	v_cmp_gt_f16_e32 vcc_lo, v9, v1
	v_cndmask_b32_e32 v19, v9, v1, vcc_lo
; %bb.64:
	s_or_b32 exec_lo, exec_lo, s2
	s_delay_alu instid0(VALU_DEP_1)
	v_mov_b32_e32 v9, v19
.LBB100_65:
	s_or_b32 exec_lo, exec_lo, s1
	s_add_i32 s1, s22, 0x2000
	s_delay_alu instid0(SALU_CYCLE_1)
	s_cmp_ge_i32 s1, s29
	s_cbranch_scc1 .LBB100_133
; %bb.66:
	v_add_co_u32 v19, s1, s16, v18
	s_delay_alu instid0(VALU_DEP_1)
	v_add_co_ci_u32_e64 v20, null, s17, 0, s1
	s_branch .LBB100_69
.LBB100_67:                             ;   in Loop: Header=BB100_69 Depth=1
	s_or_b32 exec_lo, exec_lo, s2
	s_delay_alu instid0(VALU_DEP_1)
	v_mov_b32_e32 v9, v22
.LBB100_68:                             ;   in Loop: Header=BB100_69 Depth=1
	s_or_b32 exec_lo, exec_lo, s1
	s_add_i32 s1, s0, 0x2000
	s_addk_i32 s0, 0x1000
	s_cmp_lt_i32 s1, s29
	s_cbranch_scc0 .LBB100_133
.LBB100_69:                             ; =>This Inner Loop Header: Depth=1
	s_ashr_i32 s1, s0, 31
	s_delay_alu instid0(SALU_CYCLE_1) | instskip(SKIP_4) | instid1(VALU_DEP_2)
	s_lshl_b64 s[2:3], s[0:1], 1
	s_mov_b32 s1, exec_lo
	s_waitcnt vmcnt(0)
	v_add_co_u32 v1, vcc_lo, v19, s2
	v_add_co_ci_u32_e32 v2, vcc_lo, s3, v20, vcc_lo
	v_add_co_u32 v21, vcc_lo, 0x1000, v1
	s_delay_alu instid0(VALU_DEP_2)
	v_add_co_ci_u32_e32 v22, vcc_lo, 0, v2, vcc_lo
	s_clause 0xf
	global_load_u16 v17, v[1:2], off
	global_load_u16 v16, v[1:2], off offset:512
	global_load_u16 v15, v[1:2], off offset:1024
	;; [unrolled: 1-line block ×7, first 2 shown]
	global_load_u16 v8, v[21:22], off
	global_load_u16 v7, v[21:22], off offset:512
	global_load_u16 v6, v[21:22], off offset:1024
	;; [unrolled: 1-line block ×7, first 2 shown]
	v_mov_b32_e32 v21, v9
	v_cmpx_o_f16_e32 v9, v9
	s_cbranch_execz .LBB100_73
; %bb.70:                               ;   in Loop: Header=BB100_69 Depth=1
	s_waitcnt vmcnt(15)
	v_mov_b32_e32 v21, v17
	s_mov_b32 s2, exec_lo
	v_cmpx_o_f16_e32 v17, v17
; %bb.71:                               ;   in Loop: Header=BB100_69 Depth=1
	v_cmp_lt_f16_e32 vcc_lo, v17, v9
	v_cndmask_b32_e32 v21, v9, v17, vcc_lo
; %bb.72:                               ;   in Loop: Header=BB100_69 Depth=1
	s_or_b32 exec_lo, exec_lo, s2
	s_delay_alu instid0(VALU_DEP_1)
	v_mov_b32_e32 v9, v21
.LBB100_73:                             ;   in Loop: Header=BB100_69 Depth=1
	s_or_b32 exec_lo, exec_lo, s1
	s_delay_alu instid0(SALU_CYCLE_1)
	s_mov_b32 s1, exec_lo
	v_cmpx_o_f16_e32 v21, v21
	s_cbranch_execz .LBB100_77
; %bb.74:                               ;   in Loop: Header=BB100_69 Depth=1
	s_waitcnt vmcnt(14)
	v_mov_b32_e32 v22, v16
	s_mov_b32 s2, exec_lo
	v_cmpx_o_f16_e32 v16, v16
; %bb.75:                               ;   in Loop: Header=BB100_69 Depth=1
	v_cmp_gt_f16_e32 vcc_lo, v21, v16
	v_cndmask_b32_e32 v22, v9, v16, vcc_lo
; %bb.76:                               ;   in Loop: Header=BB100_69 Depth=1
	s_or_b32 exec_lo, exec_lo, s2
	s_delay_alu instid0(VALU_DEP_1)
	v_mov_b32_e32 v21, v22
	v_mov_b32_e32 v9, v22
.LBB100_77:                             ;   in Loop: Header=BB100_69 Depth=1
	s_or_b32 exec_lo, exec_lo, s1
	s_delay_alu instid0(SALU_CYCLE_1) | instskip(NEXT) | instid1(VALU_DEP_2)
	s_mov_b32 s1, exec_lo
	v_cmpx_o_f16_e32 v21, v21
	s_cbranch_execz .LBB100_81
; %bb.78:                               ;   in Loop: Header=BB100_69 Depth=1
	s_waitcnt vmcnt(13)
	v_mov_b32_e32 v22, v15
	s_mov_b32 s2, exec_lo
	v_cmpx_o_f16_e32 v15, v15
; %bb.79:                               ;   in Loop: Header=BB100_69 Depth=1
	v_cmp_gt_f16_e32 vcc_lo, v21, v15
	v_cndmask_b32_e32 v22, v9, v15, vcc_lo
; %bb.80:                               ;   in Loop: Header=BB100_69 Depth=1
	s_or_b32 exec_lo, exec_lo, s2
	s_delay_alu instid0(VALU_DEP_1)
	v_mov_b32_e32 v21, v22
	v_mov_b32_e32 v9, v22
.LBB100_81:                             ;   in Loop: Header=BB100_69 Depth=1
	s_or_b32 exec_lo, exec_lo, s1
	s_delay_alu instid0(SALU_CYCLE_1) | instskip(NEXT) | instid1(VALU_DEP_2)
	s_mov_b32 s1, exec_lo
	v_cmpx_o_f16_e32 v21, v21
	s_cbranch_execz .LBB100_85
; %bb.82:                               ;   in Loop: Header=BB100_69 Depth=1
	s_waitcnt vmcnt(12)
	v_mov_b32_e32 v22, v14
	s_mov_b32 s2, exec_lo
	v_cmpx_o_f16_e32 v14, v14
; %bb.83:                               ;   in Loop: Header=BB100_69 Depth=1
	v_cmp_gt_f16_e32 vcc_lo, v21, v14
	v_cndmask_b32_e32 v22, v9, v14, vcc_lo
; %bb.84:                               ;   in Loop: Header=BB100_69 Depth=1
	s_or_b32 exec_lo, exec_lo, s2
	s_delay_alu instid0(VALU_DEP_1)
	v_mov_b32_e32 v21, v22
	v_mov_b32_e32 v9, v22
.LBB100_85:                             ;   in Loop: Header=BB100_69 Depth=1
	s_or_b32 exec_lo, exec_lo, s1
	s_delay_alu instid0(SALU_CYCLE_1) | instskip(NEXT) | instid1(VALU_DEP_2)
	s_mov_b32 s1, exec_lo
	v_cmpx_o_f16_e32 v21, v21
	s_cbranch_execz .LBB100_89
; %bb.86:                               ;   in Loop: Header=BB100_69 Depth=1
	s_waitcnt vmcnt(11)
	v_mov_b32_e32 v22, v13
	s_mov_b32 s2, exec_lo
	v_cmpx_o_f16_e32 v13, v13
; %bb.87:                               ;   in Loop: Header=BB100_69 Depth=1
	v_cmp_gt_f16_e32 vcc_lo, v21, v13
	v_cndmask_b32_e32 v22, v9, v13, vcc_lo
; %bb.88:                               ;   in Loop: Header=BB100_69 Depth=1
	s_or_b32 exec_lo, exec_lo, s2
	s_delay_alu instid0(VALU_DEP_1)
	v_mov_b32_e32 v21, v22
	v_mov_b32_e32 v9, v22
.LBB100_89:                             ;   in Loop: Header=BB100_69 Depth=1
	s_or_b32 exec_lo, exec_lo, s1
	s_delay_alu instid0(SALU_CYCLE_1) | instskip(NEXT) | instid1(VALU_DEP_2)
	s_mov_b32 s1, exec_lo
	v_cmpx_o_f16_e32 v21, v21
	s_cbranch_execz .LBB100_93
; %bb.90:                               ;   in Loop: Header=BB100_69 Depth=1
	s_waitcnt vmcnt(10)
	v_mov_b32_e32 v22, v12
	s_mov_b32 s2, exec_lo
	v_cmpx_o_f16_e32 v12, v12
; %bb.91:                               ;   in Loop: Header=BB100_69 Depth=1
	v_cmp_gt_f16_e32 vcc_lo, v21, v12
	v_cndmask_b32_e32 v22, v9, v12, vcc_lo
; %bb.92:                               ;   in Loop: Header=BB100_69 Depth=1
	s_or_b32 exec_lo, exec_lo, s2
	s_delay_alu instid0(VALU_DEP_1)
	v_mov_b32_e32 v21, v22
	v_mov_b32_e32 v9, v22
.LBB100_93:                             ;   in Loop: Header=BB100_69 Depth=1
	s_or_b32 exec_lo, exec_lo, s1
	s_delay_alu instid0(SALU_CYCLE_1) | instskip(NEXT) | instid1(VALU_DEP_2)
	s_mov_b32 s1, exec_lo
	v_cmpx_o_f16_e32 v21, v21
	s_cbranch_execz .LBB100_97
; %bb.94:                               ;   in Loop: Header=BB100_69 Depth=1
	s_waitcnt vmcnt(9)
	v_mov_b32_e32 v22, v11
	s_mov_b32 s2, exec_lo
	v_cmpx_o_f16_e32 v11, v11
; %bb.95:                               ;   in Loop: Header=BB100_69 Depth=1
	v_cmp_gt_f16_e32 vcc_lo, v21, v11
	v_cndmask_b32_e32 v22, v9, v11, vcc_lo
; %bb.96:                               ;   in Loop: Header=BB100_69 Depth=1
	s_or_b32 exec_lo, exec_lo, s2
	s_delay_alu instid0(VALU_DEP_1)
	v_mov_b32_e32 v21, v22
	v_mov_b32_e32 v9, v22
.LBB100_97:                             ;   in Loop: Header=BB100_69 Depth=1
	s_or_b32 exec_lo, exec_lo, s1
	s_delay_alu instid0(SALU_CYCLE_1) | instskip(NEXT) | instid1(VALU_DEP_2)
	s_mov_b32 s1, exec_lo
	v_cmpx_o_f16_e32 v21, v21
	s_cbranch_execz .LBB100_101
; %bb.98:                               ;   in Loop: Header=BB100_69 Depth=1
	s_waitcnt vmcnt(8)
	v_mov_b32_e32 v22, v10
	s_mov_b32 s2, exec_lo
	v_cmpx_o_f16_e32 v10, v10
; %bb.99:                               ;   in Loop: Header=BB100_69 Depth=1
	v_cmp_gt_f16_e32 vcc_lo, v21, v10
	v_cndmask_b32_e32 v22, v9, v10, vcc_lo
; %bb.100:                              ;   in Loop: Header=BB100_69 Depth=1
	s_or_b32 exec_lo, exec_lo, s2
	s_delay_alu instid0(VALU_DEP_1)
	v_mov_b32_e32 v21, v22
	v_mov_b32_e32 v9, v22
.LBB100_101:                            ;   in Loop: Header=BB100_69 Depth=1
	s_or_b32 exec_lo, exec_lo, s1
	s_delay_alu instid0(SALU_CYCLE_1) | instskip(NEXT) | instid1(VALU_DEP_2)
	s_mov_b32 s1, exec_lo
	v_cmpx_o_f16_e32 v21, v21
	s_cbranch_execz .LBB100_105
; %bb.102:                              ;   in Loop: Header=BB100_69 Depth=1
	s_waitcnt vmcnt(7)
	v_mov_b32_e32 v22, v8
	s_mov_b32 s2, exec_lo
	v_cmpx_o_f16_e32 v8, v8
; %bb.103:                              ;   in Loop: Header=BB100_69 Depth=1
	v_cmp_gt_f16_e32 vcc_lo, v21, v8
	v_cndmask_b32_e32 v22, v9, v8, vcc_lo
; %bb.104:                              ;   in Loop: Header=BB100_69 Depth=1
	s_or_b32 exec_lo, exec_lo, s2
	s_delay_alu instid0(VALU_DEP_1)
	v_mov_b32_e32 v21, v22
	v_mov_b32_e32 v9, v22
.LBB100_105:                            ;   in Loop: Header=BB100_69 Depth=1
	s_or_b32 exec_lo, exec_lo, s1
	s_delay_alu instid0(SALU_CYCLE_1) | instskip(NEXT) | instid1(VALU_DEP_2)
	s_mov_b32 s1, exec_lo
	v_cmpx_o_f16_e32 v21, v21
	s_cbranch_execz .LBB100_109
; %bb.106:                              ;   in Loop: Header=BB100_69 Depth=1
	s_waitcnt vmcnt(6)
	v_mov_b32_e32 v22, v7
	s_mov_b32 s2, exec_lo
	v_cmpx_o_f16_e32 v7, v7
; %bb.107:                              ;   in Loop: Header=BB100_69 Depth=1
	v_cmp_gt_f16_e32 vcc_lo, v21, v7
	v_cndmask_b32_e32 v22, v9, v7, vcc_lo
; %bb.108:                              ;   in Loop: Header=BB100_69 Depth=1
	s_or_b32 exec_lo, exec_lo, s2
	s_delay_alu instid0(VALU_DEP_1)
	v_mov_b32_e32 v21, v22
	v_mov_b32_e32 v9, v22
.LBB100_109:                            ;   in Loop: Header=BB100_69 Depth=1
	;; [unrolled: 19-line block ×7, first 2 shown]
	s_or_b32 exec_lo, exec_lo, s1
	s_delay_alu instid0(SALU_CYCLE_1) | instskip(NEXT) | instid1(VALU_DEP_2)
	s_mov_b32 s1, exec_lo
	v_cmpx_o_f16_e32 v21, v21
	s_cbranch_execz .LBB100_68
; %bb.130:                              ;   in Loop: Header=BB100_69 Depth=1
	s_waitcnt vmcnt(0)
	v_mov_b32_e32 v22, v1
	s_mov_b32 s2, exec_lo
	v_cmpx_o_f16_e32 v1, v1
	s_cbranch_execz .LBB100_67
; %bb.131:                              ;   in Loop: Header=BB100_69 Depth=1
	v_cmp_gt_f16_e32 vcc_lo, v21, v1
	v_cndmask_b32_e32 v22, v9, v1, vcc_lo
	s_branch .LBB100_67
.LBB100_132:
                                        ; implicit-def: $vgpr2
	s_cbranch_execnz .LBB100_298
	s_branch .LBB100_400
.LBB100_133:
	s_ashr_i32 s1, s0, 31
	s_sub_i32 s23, s29, s0
	s_lshl_b64 s[0:1], s[0:1], 1
	v_cmp_gt_u32_e64 s14, s23, v0
	s_add_u32 s26, s16, s0
	s_addc_u32 s27, s17, s1
	s_delay_alu instid0(VALU_DEP_1)
	s_and_saveexec_b32 s0, s14
	s_cbranch_execz .LBB100_135
; %bb.134:
	global_load_u16 v17, v18, s[26:27]
.LBB100_135:
	s_or_b32 exec_lo, exec_lo, s0
	v_or_b32_e32 v19, 0x100, v0
	s_delay_alu instid0(VALU_DEP_1) | instskip(NEXT) | instid1(VALU_DEP_1)
	v_cmp_gt_u32_e64 s13, s23, v19
	s_and_saveexec_b32 s0, s13
	s_cbranch_execz .LBB100_137
; %bb.136:
	global_load_u16 v16, v18, s[26:27] offset:512
.LBB100_137:
	s_or_b32 exec_lo, exec_lo, s0
	v_or_b32_e32 v19, 0x200, v0
	s_delay_alu instid0(VALU_DEP_1) | instskip(NEXT) | instid1(VALU_DEP_1)
	v_cmp_gt_u32_e64 s12, s23, v19
	s_and_saveexec_b32 s0, s12
	s_cbranch_execz .LBB100_139
; %bb.138:
	global_load_u16 v15, v18, s[26:27] offset:1024
.LBB100_139:
	;; [unrolled: 9-line block ×7, first 2 shown]
	s_or_b32 exec_lo, exec_lo, s0
	v_or_b32_e32 v18, 0x800, v0
	s_delay_alu instid0(VALU_DEP_1) | instskip(NEXT) | instid1(VALU_DEP_1)
	v_cmp_gt_u32_e64 s6, s23, v18
	s_and_saveexec_b32 s0, s6
	s_cbranch_execz .LBB100_151
; %bb.150:
	s_waitcnt vmcnt(7)
	v_lshlrev_b32_e32 v8, 1, v18
	global_load_u16 v8, v8, s[26:27]
.LBB100_151:
	s_or_b32 exec_lo, exec_lo, s0
	v_or_b32_e32 v18, 0x900, v0
	s_delay_alu instid0(VALU_DEP_1) | instskip(NEXT) | instid1(VALU_DEP_1)
	v_cmp_gt_u32_e64 s5, s23, v18
	s_and_saveexec_b32 s0, s5
	s_cbranch_execz .LBB100_153
; %bb.152:
	s_waitcnt vmcnt(6)
	v_lshlrev_b32_e32 v7, 1, v18
	global_load_u16 v7, v7, s[26:27]
.LBB100_153:
	;; [unrolled: 11-line block ×7, first 2 shown]
	s_or_b32 exec_lo, exec_lo, s30
	v_or_b32_e32 v18, 0xf00, v0
	s_delay_alu instid0(VALU_DEP_1)
	v_cmp_gt_u32_e32 vcc_lo, s23, v18
	s_and_saveexec_b32 s23, vcc_lo
	s_cbranch_execnz .LBB100_180
; %bb.164:
	s_or_b32 exec_lo, exec_lo, s23
	s_and_saveexec_b32 s23, s14
	s_cbranch_execnz .LBB100_181
.LBB100_165:
	s_or_b32 exec_lo, exec_lo, s23
	s_and_saveexec_b32 s14, s13
	s_cbranch_execnz .LBB100_186
.LBB100_166:
	s_or_b32 exec_lo, exec_lo, s14
	s_and_saveexec_b32 s13, s12
	s_cbranch_execnz .LBB100_191
.LBB100_167:
	s_or_b32 exec_lo, exec_lo, s13
	s_and_saveexec_b32 s12, s11
	s_cbranch_execnz .LBB100_196
.LBB100_168:
	s_or_b32 exec_lo, exec_lo, s12
	s_and_saveexec_b32 s11, s10
	s_cbranch_execnz .LBB100_201
.LBB100_169:
	s_or_b32 exec_lo, exec_lo, s11
	s_and_saveexec_b32 s10, s9
	s_cbranch_execnz .LBB100_206
.LBB100_170:
	s_or_b32 exec_lo, exec_lo, s10
	s_and_saveexec_b32 s9, s8
	s_cbranch_execnz .LBB100_211
.LBB100_171:
	s_or_b32 exec_lo, exec_lo, s9
	s_and_saveexec_b32 s8, s7
	s_cbranch_execnz .LBB100_216
.LBB100_172:
	s_or_b32 exec_lo, exec_lo, s8
	s_and_saveexec_b32 s7, s6
	s_cbranch_execnz .LBB100_221
.LBB100_173:
	s_or_b32 exec_lo, exec_lo, s7
	s_and_saveexec_b32 s6, s5
	s_cbranch_execnz .LBB100_226
.LBB100_174:
	s_or_b32 exec_lo, exec_lo, s6
	s_and_saveexec_b32 s5, s4
	s_cbranch_execnz .LBB100_231
.LBB100_175:
	s_or_b32 exec_lo, exec_lo, s5
	s_and_saveexec_b32 s4, s3
	s_cbranch_execnz .LBB100_236
.LBB100_176:
	s_or_b32 exec_lo, exec_lo, s4
	s_and_saveexec_b32 s3, s2
	s_cbranch_execnz .LBB100_241
.LBB100_177:
	s_or_b32 exec_lo, exec_lo, s3
	s_and_saveexec_b32 s2, s1
	s_cbranch_execnz .LBB100_246
.LBB100_178:
	s_or_b32 exec_lo, exec_lo, s2
	s_and_saveexec_b32 s1, s0
	s_cbranch_execnz .LBB100_251
.LBB100_179:
	s_or_b32 exec_lo, exec_lo, s1
	s_and_saveexec_b32 s0, vcc_lo
	s_cbranch_execnz .LBB100_256
	s_branch .LBB100_261
.LBB100_180:
	s_waitcnt vmcnt(0)
	v_lshlrev_b32_e32 v1, 1, v18
	global_load_u16 v1, v1, s[26:27]
	s_or_b32 exec_lo, exec_lo, s23
	s_and_saveexec_b32 s23, s14
	s_cbranch_execz .LBB100_165
.LBB100_181:
	s_mov_b32 s26, exec_lo
	v_cmpx_o_f16_e32 v9, v9
	s_cbranch_execz .LBB100_185
; %bb.182:
	s_mov_b32 s27, exec_lo
	s_waitcnt vmcnt(0)
	v_cmpx_o_f16_e32 v17, v17
; %bb.183:
	v_cmp_lt_f16_e64 s14, v17, v9
	s_delay_alu instid0(VALU_DEP_1)
	v_cndmask_b32_e64 v17, v9, v17, s14
; %bb.184:
	s_or_b32 exec_lo, exec_lo, s27
	s_delay_alu instid0(VALU_DEP_1)
	v_mov_b32_e32 v9, v17
.LBB100_185:
	s_or_b32 exec_lo, exec_lo, s26
	s_delay_alu instid0(SALU_CYCLE_1)
	s_or_b32 exec_lo, exec_lo, s23
	s_and_saveexec_b32 s14, s13
	s_cbranch_execz .LBB100_166
.LBB100_186:
	s_mov_b32 s23, exec_lo
	v_cmpx_o_f16_e32 v9, v9
	s_cbranch_execz .LBB100_190
; %bb.187:
	s_mov_b32 s26, exec_lo
	s_waitcnt vmcnt(0)
	v_cmpx_o_f16_e32 v16, v16
; %bb.188:
	v_cmp_lt_f16_e64 s13, v16, v9
	s_delay_alu instid0(VALU_DEP_1)
	v_cndmask_b32_e64 v16, v9, v16, s13
; %bb.189:
	s_or_b32 exec_lo, exec_lo, s26
	s_delay_alu instid0(VALU_DEP_1)
	v_mov_b32_e32 v9, v16
.LBB100_190:
	s_or_b32 exec_lo, exec_lo, s23
	s_delay_alu instid0(SALU_CYCLE_1)
	s_or_b32 exec_lo, exec_lo, s14
	s_and_saveexec_b32 s13, s12
	s_cbranch_execz .LBB100_167
.LBB100_191:
	s_mov_b32 s14, exec_lo
	v_cmpx_o_f16_e32 v9, v9
	s_cbranch_execz .LBB100_195
; %bb.192:
	s_mov_b32 s23, exec_lo
	s_waitcnt vmcnt(0)
	v_cmpx_o_f16_e32 v15, v15
; %bb.193:
	v_cmp_lt_f16_e64 s12, v15, v9
	s_delay_alu instid0(VALU_DEP_1)
	v_cndmask_b32_e64 v15, v9, v15, s12
; %bb.194:
	s_or_b32 exec_lo, exec_lo, s23
	s_delay_alu instid0(VALU_DEP_1)
	v_mov_b32_e32 v9, v15
.LBB100_195:
	s_or_b32 exec_lo, exec_lo, s14
	s_delay_alu instid0(SALU_CYCLE_1)
	s_or_b32 exec_lo, exec_lo, s13
	s_and_saveexec_b32 s12, s11
	s_cbranch_execz .LBB100_168
.LBB100_196:
	s_mov_b32 s13, exec_lo
	v_cmpx_o_f16_e32 v9, v9
	s_cbranch_execz .LBB100_200
; %bb.197:
	s_mov_b32 s14, exec_lo
	s_waitcnt vmcnt(0)
	v_cmpx_o_f16_e32 v14, v14
; %bb.198:
	v_cmp_lt_f16_e64 s11, v14, v9
	s_delay_alu instid0(VALU_DEP_1)
	v_cndmask_b32_e64 v14, v9, v14, s11
; %bb.199:
	s_or_b32 exec_lo, exec_lo, s14
	s_delay_alu instid0(VALU_DEP_1)
	v_mov_b32_e32 v9, v14
.LBB100_200:
	s_or_b32 exec_lo, exec_lo, s13
	s_delay_alu instid0(SALU_CYCLE_1)
	s_or_b32 exec_lo, exec_lo, s12
	s_and_saveexec_b32 s11, s10
	s_cbranch_execz .LBB100_169
.LBB100_201:
	s_mov_b32 s12, exec_lo
	v_cmpx_o_f16_e32 v9, v9
	s_cbranch_execz .LBB100_205
; %bb.202:
	s_mov_b32 s13, exec_lo
	s_waitcnt vmcnt(0)
	v_cmpx_o_f16_e32 v13, v13
; %bb.203:
	v_cmp_lt_f16_e64 s10, v13, v9
	s_delay_alu instid0(VALU_DEP_1)
	v_cndmask_b32_e64 v13, v9, v13, s10
; %bb.204:
	s_or_b32 exec_lo, exec_lo, s13
	s_delay_alu instid0(VALU_DEP_1)
	v_mov_b32_e32 v9, v13
.LBB100_205:
	s_or_b32 exec_lo, exec_lo, s12
	s_delay_alu instid0(SALU_CYCLE_1)
	s_or_b32 exec_lo, exec_lo, s11
	s_and_saveexec_b32 s10, s9
	s_cbranch_execz .LBB100_170
.LBB100_206:
	s_mov_b32 s11, exec_lo
	v_cmpx_o_f16_e32 v9, v9
	s_cbranch_execz .LBB100_210
; %bb.207:
	s_mov_b32 s12, exec_lo
	s_waitcnt vmcnt(0)
	v_cmpx_o_f16_e32 v12, v12
; %bb.208:
	v_cmp_lt_f16_e64 s9, v12, v9
	s_delay_alu instid0(VALU_DEP_1)
	v_cndmask_b32_e64 v12, v9, v12, s9
; %bb.209:
	s_or_b32 exec_lo, exec_lo, s12
	s_delay_alu instid0(VALU_DEP_1)
	v_mov_b32_e32 v9, v12
.LBB100_210:
	s_or_b32 exec_lo, exec_lo, s11
	s_delay_alu instid0(SALU_CYCLE_1)
	s_or_b32 exec_lo, exec_lo, s10
	s_and_saveexec_b32 s9, s8
	s_cbranch_execz .LBB100_171
.LBB100_211:
	s_mov_b32 s10, exec_lo
	v_cmpx_o_f16_e32 v9, v9
	s_cbranch_execz .LBB100_215
; %bb.212:
	s_mov_b32 s11, exec_lo
	s_waitcnt vmcnt(0)
	v_cmpx_o_f16_e32 v11, v11
; %bb.213:
	v_cmp_lt_f16_e64 s8, v11, v9
	s_delay_alu instid0(VALU_DEP_1)
	v_cndmask_b32_e64 v11, v9, v11, s8
; %bb.214:
	s_or_b32 exec_lo, exec_lo, s11
	s_delay_alu instid0(VALU_DEP_1)
	v_mov_b32_e32 v9, v11
.LBB100_215:
	s_or_b32 exec_lo, exec_lo, s10
	s_delay_alu instid0(SALU_CYCLE_1)
	s_or_b32 exec_lo, exec_lo, s9
	s_and_saveexec_b32 s8, s7
	s_cbranch_execz .LBB100_172
.LBB100_216:
	s_mov_b32 s9, exec_lo
	v_cmpx_o_f16_e32 v9, v9
	s_cbranch_execz .LBB100_220
; %bb.217:
	s_mov_b32 s10, exec_lo
	s_waitcnt vmcnt(0)
	v_cmpx_o_f16_e32 v10, v10
; %bb.218:
	v_cmp_lt_f16_e64 s7, v10, v9
	s_delay_alu instid0(VALU_DEP_1)
	v_cndmask_b32_e64 v10, v9, v10, s7
; %bb.219:
	s_or_b32 exec_lo, exec_lo, s10
	s_delay_alu instid0(VALU_DEP_1)
	v_mov_b32_e32 v9, v10
.LBB100_220:
	s_or_b32 exec_lo, exec_lo, s9
	s_delay_alu instid0(SALU_CYCLE_1)
	s_or_b32 exec_lo, exec_lo, s8
	s_and_saveexec_b32 s7, s6
	s_cbranch_execz .LBB100_173
.LBB100_221:
	s_mov_b32 s8, exec_lo
	v_cmpx_o_f16_e32 v9, v9
	s_cbranch_execz .LBB100_225
; %bb.222:
	s_mov_b32 s9, exec_lo
	s_waitcnt vmcnt(0)
	v_cmpx_o_f16_e32 v8, v8
; %bb.223:
	v_cmp_lt_f16_e64 s6, v8, v9
	s_delay_alu instid0(VALU_DEP_1)
	v_cndmask_b32_e64 v8, v9, v8, s6
; %bb.224:
	s_or_b32 exec_lo, exec_lo, s9
	s_delay_alu instid0(VALU_DEP_1)
	v_mov_b32_e32 v9, v8
.LBB100_225:
	s_or_b32 exec_lo, exec_lo, s8
	s_delay_alu instid0(SALU_CYCLE_1)
	s_or_b32 exec_lo, exec_lo, s7
	s_and_saveexec_b32 s6, s5
	s_cbranch_execz .LBB100_174
.LBB100_226:
	s_mov_b32 s7, exec_lo
	v_cmpx_o_f16_e32 v9, v9
	s_cbranch_execz .LBB100_230
; %bb.227:
	s_mov_b32 s8, exec_lo
	s_waitcnt vmcnt(0)
	v_cmpx_o_f16_e32 v7, v7
; %bb.228:
	v_cmp_lt_f16_e64 s5, v7, v9
	s_delay_alu instid0(VALU_DEP_1)
	v_cndmask_b32_e64 v7, v9, v7, s5
; %bb.229:
	s_or_b32 exec_lo, exec_lo, s8
	s_delay_alu instid0(VALU_DEP_1)
	v_mov_b32_e32 v9, v7
.LBB100_230:
	s_or_b32 exec_lo, exec_lo, s7
	s_delay_alu instid0(SALU_CYCLE_1)
	s_or_b32 exec_lo, exec_lo, s6
	s_and_saveexec_b32 s5, s4
	s_cbranch_execz .LBB100_175
.LBB100_231:
	s_mov_b32 s6, exec_lo
	v_cmpx_o_f16_e32 v9, v9
	s_cbranch_execz .LBB100_235
; %bb.232:
	s_mov_b32 s7, exec_lo
	s_waitcnt vmcnt(0)
	v_cmpx_o_f16_e32 v6, v6
; %bb.233:
	v_cmp_lt_f16_e64 s4, v6, v9
	s_delay_alu instid0(VALU_DEP_1)
	v_cndmask_b32_e64 v6, v9, v6, s4
; %bb.234:
	s_or_b32 exec_lo, exec_lo, s7
	s_delay_alu instid0(VALU_DEP_1)
	v_mov_b32_e32 v9, v6
.LBB100_235:
	s_or_b32 exec_lo, exec_lo, s6
	s_delay_alu instid0(SALU_CYCLE_1)
	s_or_b32 exec_lo, exec_lo, s5
	s_and_saveexec_b32 s4, s3
	s_cbranch_execz .LBB100_176
.LBB100_236:
	s_mov_b32 s5, exec_lo
	v_cmpx_o_f16_e32 v9, v9
	s_cbranch_execz .LBB100_240
; %bb.237:
	s_mov_b32 s6, exec_lo
	s_waitcnt vmcnt(0)
	v_cmpx_o_f16_e32 v5, v5
; %bb.238:
	v_cmp_lt_f16_e64 s3, v5, v9
	s_delay_alu instid0(VALU_DEP_1)
	v_cndmask_b32_e64 v5, v9, v5, s3
; %bb.239:
	s_or_b32 exec_lo, exec_lo, s6
	s_delay_alu instid0(VALU_DEP_1)
	v_mov_b32_e32 v9, v5
.LBB100_240:
	s_or_b32 exec_lo, exec_lo, s5
	s_delay_alu instid0(SALU_CYCLE_1)
	s_or_b32 exec_lo, exec_lo, s4
	s_and_saveexec_b32 s3, s2
	s_cbranch_execz .LBB100_177
.LBB100_241:
	s_mov_b32 s4, exec_lo
	v_cmpx_o_f16_e32 v9, v9
	s_cbranch_execz .LBB100_245
; %bb.242:
	s_mov_b32 s5, exec_lo
	s_waitcnt vmcnt(0)
	v_cmpx_o_f16_e32 v4, v4
; %bb.243:
	v_cmp_lt_f16_e64 s2, v4, v9
	s_delay_alu instid0(VALU_DEP_1)
	v_cndmask_b32_e64 v4, v9, v4, s2
; %bb.244:
	s_or_b32 exec_lo, exec_lo, s5
	s_delay_alu instid0(VALU_DEP_1)
	v_mov_b32_e32 v9, v4
.LBB100_245:
	s_or_b32 exec_lo, exec_lo, s4
	s_delay_alu instid0(SALU_CYCLE_1)
	s_or_b32 exec_lo, exec_lo, s3
	s_and_saveexec_b32 s2, s1
	s_cbranch_execz .LBB100_178
.LBB100_246:
	s_mov_b32 s3, exec_lo
	v_cmpx_o_f16_e32 v9, v9
	s_cbranch_execz .LBB100_250
; %bb.247:
	s_mov_b32 s4, exec_lo
	s_waitcnt vmcnt(0)
	v_cmpx_o_f16_e32 v3, v3
; %bb.248:
	v_cmp_lt_f16_e64 s1, v3, v9
	s_delay_alu instid0(VALU_DEP_1)
	v_cndmask_b32_e64 v3, v9, v3, s1
; %bb.249:
	s_or_b32 exec_lo, exec_lo, s4
	s_delay_alu instid0(VALU_DEP_1)
	v_mov_b32_e32 v9, v3
.LBB100_250:
	s_or_b32 exec_lo, exec_lo, s3
	s_delay_alu instid0(SALU_CYCLE_1)
	s_or_b32 exec_lo, exec_lo, s2
	s_and_saveexec_b32 s1, s0
	s_cbranch_execz .LBB100_179
.LBB100_251:
	s_mov_b32 s2, exec_lo
	v_cmpx_o_f16_e32 v9, v9
	s_cbranch_execz .LBB100_255
; %bb.252:
	s_mov_b32 s3, exec_lo
	s_waitcnt vmcnt(0)
	v_cmpx_o_f16_e32 v2, v2
; %bb.253:
	v_cmp_lt_f16_e64 s0, v2, v9
	s_delay_alu instid0(VALU_DEP_1)
	v_cndmask_b32_e64 v2, v9, v2, s0
; %bb.254:
	s_or_b32 exec_lo, exec_lo, s3
	s_delay_alu instid0(VALU_DEP_1)
	v_mov_b32_e32 v9, v2
.LBB100_255:
	s_or_b32 exec_lo, exec_lo, s2
	s_delay_alu instid0(SALU_CYCLE_1)
	s_or_b32 exec_lo, exec_lo, s1
	s_and_saveexec_b32 s0, vcc_lo
	s_cbranch_execz .LBB100_261
.LBB100_256:
	s_mov_b32 s1, exec_lo
	v_cmpx_o_f16_e32 v9, v9
	s_cbranch_execz .LBB100_260
; %bb.257:
	s_mov_b32 s2, exec_lo
	s_waitcnt vmcnt(0)
	v_cmpx_o_f16_e32 v1, v1
; %bb.258:
	v_cmp_lt_f16_e32 vcc_lo, v1, v9
	v_cndmask_b32_e32 v1, v9, v1, vcc_lo
; %bb.259:
	s_or_b32 exec_lo, exec_lo, s2
	s_delay_alu instid0(VALU_DEP_1)
	v_mov_b32_e32 v9, v1
.LBB100_260:
	s_or_b32 exec_lo, exec_lo, s1
.LBB100_261:
	s_delay_alu instid0(SALU_CYCLE_1) | instskip(SKIP_1) | instid1(VALU_DEP_1)
	s_or_b32 exec_lo, exec_lo, s0
	s_waitcnt vmcnt(0)
	v_and_b32_e32 v1, 0xffff, v9
	s_mov_b32 s0, exec_lo
	s_delay_alu instid0(VALU_DEP_1) | instskip(NEXT) | instid1(VALU_DEP_1)
	v_mov_b32_dpp v1, v1 quad_perm:[1,0,3,2] row_mask:0xf bank_mask:0xf
	v_cmpx_o_f16_e32 v1, v1
	s_xor_b32 s0, exec_lo, s0
	s_cbranch_execz .LBB100_265
; %bb.262:
	s_mov_b32 s1, exec_lo
	v_cmpx_o_f16_e32 v9, v9
; %bb.263:
	v_cmp_lt_f16_e32 vcc_lo, v9, v1
	v_cndmask_b32_e32 v9, v1, v9, vcc_lo
; %bb.264:
	s_or_b32 exec_lo, exec_lo, s1
	s_delay_alu instid0(VALU_DEP_1)
	v_mov_b32_e32 v1, v9
.LBB100_265:
	s_or_b32 exec_lo, exec_lo, s0
	s_delay_alu instid0(VALU_DEP_1) | instskip(SKIP_1) | instid1(VALU_DEP_1)
	v_and_b32_e32 v2, 0xffff, v1
	s_mov_b32 s0, exec_lo
	v_mov_b32_dpp v2, v2 quad_perm:[2,3,0,1] row_mask:0xf bank_mask:0xf
	s_delay_alu instid0(VALU_DEP_1)
	v_cmpx_o_f16_e32 v2, v2
	s_cbranch_execz .LBB100_269
; %bb.266:
	s_mov_b32 s1, exec_lo
	v_cmpx_o_f16_e32 v1, v1
; %bb.267:
	v_cmp_lt_f16_e32 vcc_lo, v1, v2
	v_cndmask_b32_e32 v1, v2, v1, vcc_lo
; %bb.268:
	s_or_b32 exec_lo, exec_lo, s1
	s_delay_alu instid0(VALU_DEP_1)
	v_mov_b32_e32 v2, v1
.LBB100_269:
	s_or_b32 exec_lo, exec_lo, s0
	s_delay_alu instid0(VALU_DEP_1) | instskip(SKIP_1) | instid1(VALU_DEP_1)
	v_and_b32_e32 v1, 0xffff, v2
	s_mov_b32 s0, exec_lo
	v_mov_b32_dpp v1, v1 row_ror:4 row_mask:0xf bank_mask:0xf
	s_delay_alu instid0(VALU_DEP_1)
	v_cmpx_o_f16_e32 v1, v1
	s_cbranch_execz .LBB100_273
; %bb.270:
	s_mov_b32 s1, exec_lo
	v_cmpx_o_f16_e32 v2, v2
; %bb.271:
	v_cmp_lt_f16_e32 vcc_lo, v2, v1
	v_cndmask_b32_e32 v2, v1, v2, vcc_lo
; %bb.272:
	s_or_b32 exec_lo, exec_lo, s1
	s_delay_alu instid0(VALU_DEP_1)
	v_mov_b32_e32 v1, v2
.LBB100_273:
	s_or_b32 exec_lo, exec_lo, s0
	s_delay_alu instid0(VALU_DEP_1) | instskip(SKIP_1) | instid1(VALU_DEP_1)
	v_and_b32_e32 v2, 0xffff, v1
	s_mov_b32 s0, exec_lo
	v_mov_b32_dpp v2, v2 row_ror:8 row_mask:0xf bank_mask:0xf
	s_delay_alu instid0(VALU_DEP_1)
	v_cmpx_o_f16_e32 v2, v2
	s_cbranch_execz .LBB100_277
; %bb.274:
	s_mov_b32 s1, exec_lo
	v_cmpx_o_f16_e32 v1, v1
; %bb.275:
	v_cmp_lt_f16_e32 vcc_lo, v1, v2
	v_cndmask_b32_e32 v1, v2, v1, vcc_lo
; %bb.276:
	s_or_b32 exec_lo, exec_lo, s1
	s_delay_alu instid0(VALU_DEP_1)
	v_mov_b32_e32 v2, v1
.LBB100_277:
	s_or_b32 exec_lo, exec_lo, s0
	s_delay_alu instid0(VALU_DEP_1)
	v_and_b32_e32 v1, 0xffff, v2
	s_mov_b32 s0, exec_lo
	ds_swizzle_b32 v1, v1 offset:swizzle(BROADCAST,32,15)
	s_waitcnt lgkmcnt(0)
	v_cmpx_o_f16_e32 v1, v1
	s_cbranch_execz .LBB100_281
; %bb.278:
	s_mov_b32 s1, exec_lo
	v_cmpx_o_f16_e32 v2, v2
; %bb.279:
	v_cmp_lt_f16_e32 vcc_lo, v2, v1
	v_cndmask_b32_e32 v2, v1, v2, vcc_lo
; %bb.280:
	s_or_b32 exec_lo, exec_lo, s1
	s_delay_alu instid0(VALU_DEP_1)
	v_mov_b32_e32 v1, v2
.LBB100_281:
	s_or_b32 exec_lo, exec_lo, s0
	s_delay_alu instid0(VALU_DEP_1) | instskip(SKIP_3) | instid1(VALU_DEP_1)
	v_dual_mov_b32 v2, 0 :: v_dual_and_b32 v1, 0xffff, v1
	s_mov_b32 s0, exec_lo
	ds_bpermute_b32 v2, v2, v1 offset:124
	v_mbcnt_lo_u32_b32 v1, -1, 0
	v_cmpx_eq_u32_e32 0, v1
	s_cbranch_execz .LBB100_283
; %bb.282:
	v_lshrrev_b32_e32 v3, 4, v0
	s_delay_alu instid0(VALU_DEP_1)
	v_and_b32_e32 v3, 14, v3
	s_waitcnt lgkmcnt(0)
	ds_store_b16 v3, v2
.LBB100_283:
	s_or_b32 exec_lo, exec_lo, s0
	s_delay_alu instid0(SALU_CYCLE_1)
	s_mov_b32 s0, exec_lo
	s_waitcnt lgkmcnt(0)
	s_barrier
	buffer_gl0_inv
	v_cmpx_gt_u32_e32 32, v0
	s_cbranch_execz .LBB100_297
; %bb.284:
	v_and_b32_e32 v3, 7, v1
	s_mov_b32 s1, exec_lo
	s_delay_alu instid0(VALU_DEP_1) | instskip(SKIP_3) | instid1(VALU_DEP_1)
	v_lshlrev_b32_e32 v2, 1, v3
	v_cmp_ne_u32_e32 vcc_lo, 7, v3
	ds_load_u16 v2, v2
	v_add_co_ci_u32_e32 v4, vcc_lo, 0, v1, vcc_lo
	v_lshlrev_b32_e32 v4, 2, v4
	s_waitcnt lgkmcnt(0)
	v_and_b32_e32 v5, 0xffff, v2
	ds_bpermute_b32 v4, v4, v5
	v_cmpx_o_f16_e32 v2, v2
	s_cbranch_execz .LBB100_288
; %bb.285:
	s_mov_b32 s2, exec_lo
	s_waitcnt lgkmcnt(0)
	v_cmpx_o_f16_e32 v4, v4
; %bb.286:
	v_cmp_gt_f16_e32 vcc_lo, v2, v4
	v_cndmask_b32_e32 v4, v2, v4, vcc_lo
; %bb.287:
	s_or_b32 exec_lo, exec_lo, s2
	s_delay_alu instid0(VALU_DEP_1)
	v_mov_b32_e32 v2, v4
.LBB100_288:
	s_or_b32 exec_lo, exec_lo, s1
	v_cmp_gt_u32_e32 vcc_lo, 6, v3
	s_delay_alu instid0(VALU_DEP_2) | instskip(SKIP_3) | instid1(VALU_DEP_1)
	v_and_b32_e32 v5, 0xffff, v2
	s_mov_b32 s1, exec_lo
	s_waitcnt lgkmcnt(0)
	v_cndmask_b32_e64 v4, 0, 1, vcc_lo
	v_lshlrev_b32_e32 v4, 1, v4
	s_delay_alu instid0(VALU_DEP_1)
	v_add_lshl_u32 v4, v4, v1, 2
	ds_bpermute_b32 v4, v4, v5
	v_cmpx_o_f16_e32 v2, v2
	s_cbranch_execz .LBB100_292
; %bb.289:
	s_mov_b32 s2, exec_lo
	s_waitcnt lgkmcnt(0)
	v_cmpx_o_f16_e32 v4, v4
; %bb.290:
	v_cmp_gt_f16_e32 vcc_lo, v2, v4
	v_cndmask_b32_e32 v4, v2, v4, vcc_lo
; %bb.291:
	s_or_b32 exec_lo, exec_lo, s2
	s_delay_alu instid0(VALU_DEP_1)
	v_mov_b32_e32 v2, v4
.LBB100_292:
	s_or_b32 exec_lo, exec_lo, s1
	v_cmp_gt_u32_e32 vcc_lo, 4, v3
	s_waitcnt lgkmcnt(0)
	s_delay_alu instid0(VALU_DEP_2) | instskip(SKIP_2) | instid1(VALU_DEP_1)
	v_and_b32_e32 v4, 0xffff, v2
	s_mov_b32 s1, exec_lo
	v_cndmask_b32_e64 v3, 0, 1, vcc_lo
	v_lshlrev_b32_e32 v3, 2, v3
	s_delay_alu instid0(VALU_DEP_1)
	v_add_lshl_u32 v1, v3, v1, 2
	ds_bpermute_b32 v1, v1, v4
	v_cmpx_o_f16_e32 v2, v2
	s_cbranch_execz .LBB100_296
; %bb.293:
	s_mov_b32 s2, exec_lo
	s_waitcnt lgkmcnt(0)
	v_cmpx_o_f16_e32 v1, v1
; %bb.294:
	v_cmp_gt_f16_e32 vcc_lo, v2, v1
	v_cndmask_b32_e32 v1, v2, v1, vcc_lo
; %bb.295:
	s_or_b32 exec_lo, exec_lo, s2
	s_delay_alu instid0(VALU_DEP_1)
	v_mov_b32_e32 v2, v1
.LBB100_296:
	s_or_b32 exec_lo, exec_lo, s1
.LBB100_297:
	s_delay_alu instid0(SALU_CYCLE_1)
	s_or_b32 exec_lo, exec_lo, s0
	s_branch .LBB100_400
.LBB100_298:
	s_sub_i32 s0, s29, s22
	s_mov_b32 s1, exec_lo
                                        ; implicit-def: $vgpr4
	v_cmpx_gt_u32_e64 s0, v0
	s_cbranch_execz .LBB100_308
; %bb.299:
	s_waitcnt lgkmcnt(0)
	v_add_nc_u32_e32 v1, s22, v0
	s_mov_b32 s2, exec_lo
	s_delay_alu instid0(VALU_DEP_1) | instskip(NEXT) | instid1(VALU_DEP_1)
	v_ashrrev_i32_e32 v2, 31, v1
	v_lshlrev_b64 v[2:3], 1, v[1:2]
	v_add_nc_u32_e32 v1, 0x100, v1
	s_delay_alu instid0(VALU_DEP_2) | instskip(NEXT) | instid1(VALU_DEP_3)
	v_add_co_u32 v2, vcc_lo, s16, v2
	v_add_co_ci_u32_e32 v3, vcc_lo, s17, v3, vcc_lo
	global_load_u16 v4, v[2:3], off
	v_cmpx_gt_i32_e64 s29, v1
	s_cbranch_execz .LBB100_307
; %bb.300:
	s_mov_b32 s3, 0
	s_set_inst_prefetch_distance 0x1
	s_branch .LBB100_303
	.p2align	6
.LBB100_301:                            ;   in Loop: Header=BB100_303 Depth=1
	s_or_b32 exec_lo, exec_lo, s5
	s_delay_alu instid0(VALU_DEP_1)
	v_mov_b32_e32 v4, v2
.LBB100_302:                            ;   in Loop: Header=BB100_303 Depth=1
	s_or_b32 exec_lo, exec_lo, s4
	v_add_nc_u32_e32 v1, 0x100, v1
	s_delay_alu instid0(VALU_DEP_1) | instskip(SKIP_1) | instid1(SALU_CYCLE_1)
	v_cmp_le_i32_e32 vcc_lo, s29, v1
	s_or_b32 s3, vcc_lo, s3
	s_and_not1_b32 exec_lo, exec_lo, s3
	s_cbranch_execz .LBB100_306
.LBB100_303:                            ; =>This Inner Loop Header: Depth=1
	s_mov_b32 s4, exec_lo
	s_waitcnt vmcnt(0)
	v_cmpx_o_f16_e32 v4, v4
	s_cbranch_execz .LBB100_302
; %bb.304:                              ;   in Loop: Header=BB100_303 Depth=1
	v_ashrrev_i32_e32 v2, 31, v1
	s_mov_b32 s5, exec_lo
	s_delay_alu instid0(VALU_DEP_1) | instskip(NEXT) | instid1(VALU_DEP_1)
	v_lshlrev_b64 v[2:3], 1, v[1:2]
	v_add_co_u32 v2, vcc_lo, s16, v2
	s_delay_alu instid0(VALU_DEP_2)
	v_add_co_ci_u32_e32 v3, vcc_lo, s17, v3, vcc_lo
	global_load_u16 v2, v[2:3], off
	s_waitcnt vmcnt(0)
	v_cmpx_o_f16_e32 v2, v2
	s_cbranch_execz .LBB100_301
; %bb.305:                              ;   in Loop: Header=BB100_303 Depth=1
	v_cmp_lt_f16_e32 vcc_lo, v2, v4
	v_cndmask_b32_e32 v2, v4, v2, vcc_lo
	s_branch .LBB100_301
.LBB100_306:
	s_set_inst_prefetch_distance 0x2
	s_or_b32 exec_lo, exec_lo, s3
.LBB100_307:
	s_delay_alu instid0(SALU_CYCLE_1)
	s_or_b32 exec_lo, exec_lo, s2
.LBB100_308:
	s_delay_alu instid0(SALU_CYCLE_1)
	s_or_b32 exec_lo, exec_lo, s1
	v_lshrrev_b32_e32 v3, 5, v0
	s_waitcnt lgkmcnt(0)
	v_mbcnt_lo_u32_b32 v1, -1, 0
	s_waitcnt vmcnt(0)
	v_and_b32_e32 v5, 0xffff, v4
	s_cmpk_lt_u32 s0, 0x100
	s_mov_b32 s1, -1
	s_cbranch_scc0 .LBB100_362
; %bb.309:
	v_cmp_ne_u32_e32 vcc_lo, 31, v1
	v_mov_b32_e32 v7, v5
	v_add_co_ci_u32_e32 v2, vcc_lo, 0, v1, vcc_lo
	s_delay_alu instid0(VALU_DEP_1) | instskip(SKIP_2) | instid1(VALU_DEP_1)
	v_lshlrev_b32_e32 v2, 2, v2
	ds_bpermute_b32 v8, v2, v5
	v_and_b32_e32 v2, 0xe0, v0
	v_sub_nc_u32_e64 v6, s0, v2 clamp
	v_add_nc_u32_e32 v2, 1, v1
	s_delay_alu instid0(VALU_DEP_1)
	v_cmp_lt_u32_e32 vcc_lo, v2, v6
	v_mov_b32_e32 v2, v4
	s_and_saveexec_b32 s1, vcc_lo
	s_cbranch_execz .LBB100_315
; %bb.310:
	v_mov_b32_e32 v2, v4
	s_mov_b32 s2, exec_lo
	v_cmpx_o_f16_e32 v4, v4
	s_cbranch_execz .LBB100_314
; %bb.311:
	s_mov_b32 s3, exec_lo
	s_waitcnt lgkmcnt(0)
	v_cmpx_o_f16_e32 v8, v8
; %bb.312:
	v_cmp_gt_f16_e32 vcc_lo, v4, v8
	v_cndmask_b32_e32 v8, v4, v8, vcc_lo
; %bb.313:
	s_or_b32 exec_lo, exec_lo, s3
	s_delay_alu instid0(VALU_DEP_1)
	v_mov_b32_e32 v2, v8
.LBB100_314:
	s_or_b32 exec_lo, exec_lo, s2
	s_delay_alu instid0(VALU_DEP_1)
	v_and_b32_e32 v7, 0xffff, v2
.LBB100_315:
	s_or_b32 exec_lo, exec_lo, s1
	v_cmp_gt_u32_e32 vcc_lo, 30, v1
	v_add_nc_u32_e32 v9, 2, v1
	s_mov_b32 s1, exec_lo
	s_waitcnt lgkmcnt(0)
	v_cndmask_b32_e64 v8, 0, 1, vcc_lo
	s_delay_alu instid0(VALU_DEP_1) | instskip(NEXT) | instid1(VALU_DEP_1)
	v_lshlrev_b32_e32 v8, 1, v8
	v_add_lshl_u32 v8, v8, v1, 2
	ds_bpermute_b32 v8, v8, v7
	v_cmpx_lt_u32_e64 v9, v6
	s_cbranch_execz .LBB100_321
; %bb.316:
	s_mov_b32 s2, exec_lo
	v_cmpx_o_f16_e32 v2, v2
	s_cbranch_execz .LBB100_320
; %bb.317:
	s_mov_b32 s3, exec_lo
	s_waitcnt lgkmcnt(0)
	v_cmpx_o_f16_e32 v8, v8
; %bb.318:
	v_cmp_gt_f16_e32 vcc_lo, v2, v8
	v_cndmask_b32_e32 v8, v2, v8, vcc_lo
; %bb.319:
	s_or_b32 exec_lo, exec_lo, s3
	s_delay_alu instid0(VALU_DEP_1)
	v_mov_b32_e32 v2, v8
.LBB100_320:
	s_or_b32 exec_lo, exec_lo, s2
	s_delay_alu instid0(VALU_DEP_1)
	v_and_b32_e32 v7, 0xffff, v2
.LBB100_321:
	s_or_b32 exec_lo, exec_lo, s1
	v_cmp_gt_u32_e32 vcc_lo, 28, v1
	v_add_nc_u32_e32 v9, 4, v1
	s_mov_b32 s1, exec_lo
	s_waitcnt lgkmcnt(0)
	v_cndmask_b32_e64 v8, 0, 1, vcc_lo
	s_delay_alu instid0(VALU_DEP_1) | instskip(NEXT) | instid1(VALU_DEP_1)
	v_lshlrev_b32_e32 v8, 2, v8
	v_add_lshl_u32 v8, v8, v1, 2
	ds_bpermute_b32 v8, v8, v7
	v_cmpx_lt_u32_e64 v9, v6
	s_cbranch_execz .LBB100_327
; %bb.322:
	s_mov_b32 s2, exec_lo
	v_cmpx_o_f16_e32 v2, v2
	s_cbranch_execz .LBB100_326
; %bb.323:
	s_mov_b32 s3, exec_lo
	s_waitcnt lgkmcnt(0)
	v_cmpx_o_f16_e32 v8, v8
; %bb.324:
	v_cmp_gt_f16_e32 vcc_lo, v2, v8
	v_cndmask_b32_e32 v8, v2, v8, vcc_lo
; %bb.325:
	s_or_b32 exec_lo, exec_lo, s3
	s_delay_alu instid0(VALU_DEP_1)
	v_mov_b32_e32 v2, v8
.LBB100_326:
	s_or_b32 exec_lo, exec_lo, s2
	s_delay_alu instid0(VALU_DEP_1)
	v_and_b32_e32 v7, 0xffff, v2
.LBB100_327:
	;; [unrolled: 32-line block ×3, first 2 shown]
	s_or_b32 exec_lo, exec_lo, s1
	v_cmp_gt_u32_e32 vcc_lo, 16, v1
	s_mov_b32 s1, exec_lo
	s_waitcnt lgkmcnt(0)
	v_cndmask_b32_e64 v8, 0, 1, vcc_lo
	s_delay_alu instid0(VALU_DEP_1) | instskip(NEXT) | instid1(VALU_DEP_1)
	v_lshlrev_b32_e32 v8, 4, v8
	v_add_lshl_u32 v8, v8, v1, 2
	ds_bpermute_b32 v7, v8, v7
	v_add_nc_u32_e32 v8, 16, v1
	s_delay_alu instid0(VALU_DEP_1)
	v_cmpx_lt_u32_e64 v8, v6
	s_cbranch_execz .LBB100_339
; %bb.334:
	s_mov_b32 s2, exec_lo
	v_cmpx_o_f16_e32 v2, v2
	s_cbranch_execz .LBB100_338
; %bb.335:
	s_mov_b32 s3, exec_lo
	s_waitcnt lgkmcnt(0)
	v_cmpx_o_f16_e32 v7, v7
; %bb.336:
	v_cmp_gt_f16_e32 vcc_lo, v2, v7
	v_cndmask_b32_e32 v7, v2, v7, vcc_lo
; %bb.337:
	s_or_b32 exec_lo, exec_lo, s3
	s_delay_alu instid0(VALU_DEP_1)
	v_mov_b32_e32 v2, v7
.LBB100_338:
	s_or_b32 exec_lo, exec_lo, s2
.LBB100_339:
	s_delay_alu instid0(SALU_CYCLE_1) | instskip(NEXT) | instid1(SALU_CYCLE_1)
	s_or_b32 exec_lo, exec_lo, s1
	s_mov_b32 s1, exec_lo
	v_cmpx_eq_u32_e32 0, v1
	s_cbranch_execz .LBB100_341
; %bb.340:
	v_lshlrev_b32_e32 v6, 1, v3
	ds_store_b16 v6, v2
.LBB100_341:
	s_or_b32 exec_lo, exec_lo, s1
	s_delay_alu instid0(SALU_CYCLE_1)
	s_mov_b32 s1, exec_lo
	s_waitcnt lgkmcnt(0)
	s_barrier
	buffer_gl0_inv
	v_cmpx_gt_u32_e32 8, v0
	s_cbranch_execz .LBB100_361
; %bb.342:
	v_lshlrev_b32_e32 v2, 1, v1
	v_and_b32_e32 v6, 7, v1
	s_add_i32 s0, s0, 31
	s_mov_b32 s2, exec_lo
	s_lshr_b32 s0, s0, 5
	ds_load_u16 v2, v2
	v_cmp_ne_u32_e32 vcc_lo, 7, v6
	v_add_nc_u32_e32 v9, 1, v6
	v_add_co_ci_u32_e32 v8, vcc_lo, 0, v1, vcc_lo
	s_delay_alu instid0(VALU_DEP_1)
	v_lshlrev_b32_e32 v8, 2, v8
	s_waitcnt lgkmcnt(0)
	v_and_b32_e32 v7, 0xffff, v2
	ds_bpermute_b32 v8, v8, v7
	v_cmpx_gt_u32_e64 s0, v9
	s_cbranch_execz .LBB100_348
; %bb.343:
	s_mov_b32 s3, exec_lo
	v_cmpx_o_f16_e32 v2, v2
	s_cbranch_execz .LBB100_347
; %bb.344:
	s_mov_b32 s4, exec_lo
	s_waitcnt lgkmcnt(0)
	v_cmpx_o_f16_e32 v8, v8
; %bb.345:
	v_cmp_gt_f16_e32 vcc_lo, v2, v8
	v_cndmask_b32_e32 v8, v2, v8, vcc_lo
; %bb.346:
	s_or_b32 exec_lo, exec_lo, s4
	s_delay_alu instid0(VALU_DEP_1)
	v_mov_b32_e32 v2, v8
.LBB100_347:
	s_or_b32 exec_lo, exec_lo, s3
	s_delay_alu instid0(VALU_DEP_1)
	v_and_b32_e32 v7, 0xffff, v2
.LBB100_348:
	s_or_b32 exec_lo, exec_lo, s2
	v_cmp_gt_u32_e32 vcc_lo, 6, v6
	v_add_nc_u32_e32 v9, 2, v6
	s_mov_b32 s2, exec_lo
	s_waitcnt lgkmcnt(0)
	v_cndmask_b32_e64 v8, 0, 1, vcc_lo
	s_delay_alu instid0(VALU_DEP_1) | instskip(NEXT) | instid1(VALU_DEP_1)
	v_lshlrev_b32_e32 v8, 1, v8
	v_add_lshl_u32 v8, v8, v1, 2
	ds_bpermute_b32 v8, v8, v7
	v_cmpx_gt_u32_e64 s0, v9
	s_cbranch_execz .LBB100_354
; %bb.349:
	s_mov_b32 s3, exec_lo
	v_cmpx_o_f16_e32 v2, v2
	s_cbranch_execz .LBB100_353
; %bb.350:
	s_mov_b32 s4, exec_lo
	s_waitcnt lgkmcnt(0)
	v_cmpx_o_f16_e32 v8, v8
; %bb.351:
	v_cmp_gt_f16_e32 vcc_lo, v2, v8
	v_cndmask_b32_e32 v8, v2, v8, vcc_lo
; %bb.352:
	s_or_b32 exec_lo, exec_lo, s4
	s_delay_alu instid0(VALU_DEP_1)
	v_mov_b32_e32 v2, v8
.LBB100_353:
	s_or_b32 exec_lo, exec_lo, s3
	s_delay_alu instid0(VALU_DEP_1)
	v_and_b32_e32 v7, 0xffff, v2
.LBB100_354:
	s_or_b32 exec_lo, exec_lo, s2
	v_cmp_gt_u32_e32 vcc_lo, 4, v6
	v_add_nc_u32_e32 v6, 4, v6
	s_waitcnt lgkmcnt(0)
	v_cndmask_b32_e64 v8, 0, 1, vcc_lo
	s_delay_alu instid0(VALU_DEP_2) | instskip(NEXT) | instid1(VALU_DEP_2)
	v_cmp_gt_u32_e32 vcc_lo, s0, v6
	v_lshlrev_b32_e32 v8, 2, v8
	s_delay_alu instid0(VALU_DEP_1)
	v_add_lshl_u32 v8, v8, v1, 2
	ds_bpermute_b32 v7, v8, v7
	s_and_saveexec_b32 s0, vcc_lo
	s_cbranch_execz .LBB100_360
; %bb.355:
	s_mov_b32 s2, exec_lo
	v_cmpx_o_f16_e32 v2, v2
	s_cbranch_execz .LBB100_359
; %bb.356:
	s_mov_b32 s3, exec_lo
	s_waitcnt lgkmcnt(0)
	v_cmpx_o_f16_e32 v7, v7
; %bb.357:
	v_cmp_gt_f16_e32 vcc_lo, v2, v7
	v_cndmask_b32_e32 v7, v2, v7, vcc_lo
; %bb.358:
	s_or_b32 exec_lo, exec_lo, s3
	s_delay_alu instid0(VALU_DEP_1)
	v_mov_b32_e32 v2, v7
.LBB100_359:
	s_or_b32 exec_lo, exec_lo, s2
.LBB100_360:
	s_delay_alu instid0(SALU_CYCLE_1)
	s_or_b32 exec_lo, exec_lo, s0
.LBB100_361:
	s_delay_alu instid0(SALU_CYCLE_1)
	s_or_b32 exec_lo, exec_lo, s1
	s_branch .LBB100_400
.LBB100_362:
                                        ; implicit-def: $vgpr2
	s_and_b32 vcc_lo, exec_lo, s1
	s_cbranch_vccz .LBB100_400
; %bb.363:
	v_mov_b32_dpp v2, v5 quad_perm:[1,0,3,2] row_mask:0xf bank_mask:0xf
	s_mov_b32 s0, exec_lo
	s_delay_alu instid0(VALU_DEP_1)
	v_cmpx_o_f16_e32 v2, v2
	s_cbranch_execz .LBB100_367
; %bb.364:
	s_mov_b32 s1, exec_lo
	v_cmpx_o_f16_e32 v4, v4
; %bb.365:
	v_cmp_lt_f16_e32 vcc_lo, v4, v2
	v_cndmask_b32_e32 v4, v2, v4, vcc_lo
; %bb.366:
	s_or_b32 exec_lo, exec_lo, s1
	s_delay_alu instid0(VALU_DEP_1)
	v_mov_b32_e32 v2, v4
.LBB100_367:
	s_or_b32 exec_lo, exec_lo, s0
	s_delay_alu instid0(VALU_DEP_1) | instskip(SKIP_1) | instid1(VALU_DEP_1)
	v_and_b32_e32 v4, 0xffff, v2
	s_mov_b32 s0, exec_lo
	v_mov_b32_dpp v4, v4 quad_perm:[2,3,0,1] row_mask:0xf bank_mask:0xf
	s_delay_alu instid0(VALU_DEP_1)
	v_cmpx_o_f16_e32 v4, v4
	s_cbranch_execz .LBB100_371
; %bb.368:
	s_mov_b32 s1, exec_lo
	v_cmpx_o_f16_e32 v2, v2
; %bb.369:
	v_cmp_lt_f16_e32 vcc_lo, v2, v4
	v_cndmask_b32_e32 v2, v4, v2, vcc_lo
; %bb.370:
	s_or_b32 exec_lo, exec_lo, s1
	s_delay_alu instid0(VALU_DEP_1)
	v_mov_b32_e32 v4, v2
.LBB100_371:
	s_or_b32 exec_lo, exec_lo, s0
	s_delay_alu instid0(VALU_DEP_1) | instskip(SKIP_1) | instid1(VALU_DEP_1)
	v_and_b32_e32 v2, 0xffff, v4
	s_mov_b32 s0, exec_lo
	v_mov_b32_dpp v2, v2 row_ror:4 row_mask:0xf bank_mask:0xf
	s_delay_alu instid0(VALU_DEP_1)
	v_cmpx_o_f16_e32 v2, v2
	s_cbranch_execz .LBB100_375
; %bb.372:
	s_mov_b32 s1, exec_lo
	v_cmpx_o_f16_e32 v4, v4
; %bb.373:
	v_cmp_lt_f16_e32 vcc_lo, v4, v2
	v_cndmask_b32_e32 v4, v2, v4, vcc_lo
; %bb.374:
	s_or_b32 exec_lo, exec_lo, s1
	s_delay_alu instid0(VALU_DEP_1)
	v_mov_b32_e32 v2, v4
.LBB100_375:
	s_or_b32 exec_lo, exec_lo, s0
	s_delay_alu instid0(VALU_DEP_1) | instskip(SKIP_1) | instid1(VALU_DEP_1)
	v_and_b32_e32 v4, 0xffff, v2
	s_mov_b32 s0, exec_lo
	v_mov_b32_dpp v4, v4 row_ror:8 row_mask:0xf bank_mask:0xf
	s_delay_alu instid0(VALU_DEP_1)
	v_cmpx_o_f16_e32 v4, v4
	s_cbranch_execz .LBB100_379
; %bb.376:
	s_mov_b32 s1, exec_lo
	v_cmpx_o_f16_e32 v2, v2
; %bb.377:
	v_cmp_lt_f16_e32 vcc_lo, v2, v4
	v_cndmask_b32_e32 v2, v4, v2, vcc_lo
; %bb.378:
	s_or_b32 exec_lo, exec_lo, s1
	s_delay_alu instid0(VALU_DEP_1)
	v_mov_b32_e32 v4, v2
.LBB100_379:
	s_or_b32 exec_lo, exec_lo, s0
	s_delay_alu instid0(VALU_DEP_1)
	v_and_b32_e32 v2, 0xffff, v4
	s_mov_b32 s0, exec_lo
	ds_swizzle_b32 v2, v2 offset:swizzle(BROADCAST,32,15)
	s_waitcnt lgkmcnt(0)
	v_cmpx_o_f16_e32 v2, v2
	s_cbranch_execz .LBB100_383
; %bb.380:
	s_mov_b32 s1, exec_lo
	v_cmpx_o_f16_e32 v4, v4
; %bb.381:
	v_cmp_lt_f16_e32 vcc_lo, v4, v2
	v_cndmask_b32_e32 v4, v2, v4, vcc_lo
; %bb.382:
	s_or_b32 exec_lo, exec_lo, s1
	s_delay_alu instid0(VALU_DEP_1)
	v_mov_b32_e32 v2, v4
.LBB100_383:
	s_or_b32 exec_lo, exec_lo, s0
	s_delay_alu instid0(VALU_DEP_1)
	v_and_b32_e32 v2, 0xffff, v2
	v_mov_b32_e32 v4, 0
	s_mov_b32 s0, exec_lo
	ds_bpermute_b32 v2, v4, v2 offset:124
	v_cmpx_eq_u32_e32 0, v1
	s_cbranch_execz .LBB100_385
; %bb.384:
	v_lshlrev_b32_e32 v3, 1, v3
	s_waitcnt lgkmcnt(0)
	ds_store_b16 v3, v2
.LBB100_385:
	s_or_b32 exec_lo, exec_lo, s0
	s_delay_alu instid0(SALU_CYCLE_1)
	s_mov_b32 s0, exec_lo
	s_waitcnt lgkmcnt(0)
	s_barrier
	buffer_gl0_inv
	v_cmpx_gt_u32_e32 32, v0
	s_cbranch_execz .LBB100_399
; %bb.386:
	v_and_b32_e32 v3, 7, v1
	s_mov_b32 s1, exec_lo
	s_delay_alu instid0(VALU_DEP_1) | instskip(SKIP_3) | instid1(VALU_DEP_1)
	v_lshlrev_b32_e32 v2, 1, v3
	v_cmp_ne_u32_e32 vcc_lo, 7, v3
	ds_load_u16 v2, v2
	v_add_co_ci_u32_e32 v4, vcc_lo, 0, v1, vcc_lo
	v_lshlrev_b32_e32 v4, 2, v4
	s_waitcnt lgkmcnt(0)
	v_and_b32_e32 v5, 0xffff, v2
	ds_bpermute_b32 v4, v4, v5
	v_cmpx_o_f16_e32 v2, v2
	s_cbranch_execz .LBB100_390
; %bb.387:
	s_mov_b32 s2, exec_lo
	s_waitcnt lgkmcnt(0)
	v_cmpx_o_f16_e32 v4, v4
; %bb.388:
	v_cmp_gt_f16_e32 vcc_lo, v2, v4
	v_cndmask_b32_e32 v4, v2, v4, vcc_lo
; %bb.389:
	s_or_b32 exec_lo, exec_lo, s2
	s_delay_alu instid0(VALU_DEP_1)
	v_mov_b32_e32 v2, v4
.LBB100_390:
	s_or_b32 exec_lo, exec_lo, s1
	v_cmp_gt_u32_e32 vcc_lo, 6, v3
	s_delay_alu instid0(VALU_DEP_2) | instskip(SKIP_3) | instid1(VALU_DEP_1)
	v_and_b32_e32 v5, 0xffff, v2
	s_mov_b32 s1, exec_lo
	s_waitcnt lgkmcnt(0)
	v_cndmask_b32_e64 v4, 0, 1, vcc_lo
	v_lshlrev_b32_e32 v4, 1, v4
	s_delay_alu instid0(VALU_DEP_1)
	v_add_lshl_u32 v4, v4, v1, 2
	ds_bpermute_b32 v4, v4, v5
	v_cmpx_o_f16_e32 v2, v2
	s_cbranch_execz .LBB100_394
; %bb.391:
	s_mov_b32 s2, exec_lo
	s_waitcnt lgkmcnt(0)
	v_cmpx_o_f16_e32 v4, v4
; %bb.392:
	v_cmp_gt_f16_e32 vcc_lo, v2, v4
	v_cndmask_b32_e32 v4, v2, v4, vcc_lo
; %bb.393:
	s_or_b32 exec_lo, exec_lo, s2
	s_delay_alu instid0(VALU_DEP_1)
	v_mov_b32_e32 v2, v4
.LBB100_394:
	s_or_b32 exec_lo, exec_lo, s1
	v_cmp_gt_u32_e32 vcc_lo, 4, v3
	s_waitcnt lgkmcnt(0)
	s_delay_alu instid0(VALU_DEP_2) | instskip(SKIP_2) | instid1(VALU_DEP_1)
	v_and_b32_e32 v4, 0xffff, v2
	s_mov_b32 s1, exec_lo
	v_cndmask_b32_e64 v3, 0, 1, vcc_lo
	v_lshlrev_b32_e32 v3, 2, v3
	s_delay_alu instid0(VALU_DEP_1)
	v_add_lshl_u32 v1, v3, v1, 2
	ds_bpermute_b32 v1, v1, v4
	v_cmpx_o_f16_e32 v2, v2
	s_cbranch_execz .LBB100_398
; %bb.395:
	s_mov_b32 s2, exec_lo
	s_waitcnt lgkmcnt(0)
	v_cmpx_o_f16_e32 v1, v1
; %bb.396:
	v_cmp_gt_f16_e32 vcc_lo, v2, v1
	v_cndmask_b32_e32 v1, v2, v1, vcc_lo
; %bb.397:
	s_or_b32 exec_lo, exec_lo, s2
	s_delay_alu instid0(VALU_DEP_1)
	v_mov_b32_e32 v2, v1
.LBB100_398:
	s_or_b32 exec_lo, exec_lo, s1
.LBB100_399:
	s_delay_alu instid0(SALU_CYCLE_1)
	s_or_b32 exec_lo, exec_lo, s0
.LBB100_400:
	s_delay_alu instid0(SALU_CYCLE_1)
	s_mov_b32 s0, exec_lo
                                        ; implicit-def: $vgpr1
	v_cmpx_eq_u32_e32 0, v0
	s_cbranch_execz .LBB100_406
; %bb.401:
	v_cmp_u_f16_e64 s1, s15, s15
	s_waitcnt lgkmcnt(0)
	v_mov_b32_e32 v1, s15
	s_delay_alu instid0(VALU_DEP_2)
	s_and_b32 vcc_lo, exec_lo, s1
	s_cbranch_vccnz .LBB100_405
; %bb.402:
	s_mov_b32 s1, exec_lo
	v_cmpx_o_f16_e32 v2, v2
; %bb.403:
	v_cmp_gt_f16_e32 vcc_lo, s15, v2
	v_cndmask_b32_e32 v2, s15, v2, vcc_lo
; %bb.404:
	s_or_b32 exec_lo, exec_lo, s1
	s_delay_alu instid0(VALU_DEP_1)
	v_mov_b32_e32 v1, v2
.LBB100_405:
	s_or_b32 s28, s28, exec_lo
.LBB100_406:
	s_or_b32 exec_lo, exec_lo, s0
	s_and_saveexec_b32 s0, s28
	s_cbranch_execz .LBB100_408
.LBB100_407:
	s_lshl_b64 s[0:1], s[20:21], 1
	v_mov_b32_e32 v0, 0
	s_add_u32 s2, s18, s0
	s_addc_u32 s3, s19, s1
	s_lshl_b64 s[0:1], s[24:25], 1
	s_delay_alu instid0(SALU_CYCLE_1)
	s_add_u32 s0, s2, s0
	s_addc_u32 s1, s3, s1
	s_waitcnt lgkmcnt(0)
	global_store_b16 v0, v1, s[0:1]
.LBB100_408:
	s_nop 0
	s_sendmsg sendmsg(MSG_DEALLOC_VGPRS)
	s_endpgm
	.section	.rodata,"a",@progbits
	.p2align	6, 0x0
	.amdhsa_kernel _ZN7rocprim17ROCPRIM_400000_NS6detail17trampoline_kernelINS0_14default_configENS1_32segmented_reduce_config_selectorIN3c104HalfEEEZNS1_21segmented_reduce_implIS3_PKS6_PS6_PKiS6_N6hipcub16HIPCUB_304000_NS6detail27convert_result_type_wrapperISA_SB_N2at6native12_GLOBAL__N_19CustomMinEEEEE10hipError_tPvRmT0_T1_jT2_SS_T4_T3_P12ihipStream_tbEUlT_E_NS1_11comp_targetILNS1_3genE9ELNS1_11target_archE1100ELNS1_3gpuE3ELNS1_3repE0EEENS1_30default_config_static_selectorELNS0_4arch9wavefront6targetE0EEEvSR_
		.amdhsa_group_segment_fixed_size 16
		.amdhsa_private_segment_fixed_size 0
		.amdhsa_kernarg_size 48
		.amdhsa_user_sgpr_count 15
		.amdhsa_user_sgpr_dispatch_ptr 0
		.amdhsa_user_sgpr_queue_ptr 0
		.amdhsa_user_sgpr_kernarg_segment_ptr 1
		.amdhsa_user_sgpr_dispatch_id 0
		.amdhsa_user_sgpr_private_segment_size 0
		.amdhsa_wavefront_size32 1
		.amdhsa_uses_dynamic_stack 0
		.amdhsa_enable_private_segment 0
		.amdhsa_system_sgpr_workgroup_id_x 1
		.amdhsa_system_sgpr_workgroup_id_y 0
		.amdhsa_system_sgpr_workgroup_id_z 0
		.amdhsa_system_sgpr_workgroup_info 0
		.amdhsa_system_vgpr_workitem_id 0
		.amdhsa_next_free_vgpr 23
		.amdhsa_next_free_sgpr 31
		.amdhsa_reserve_vcc 1
		.amdhsa_float_round_mode_32 0
		.amdhsa_float_round_mode_16_64 0
		.amdhsa_float_denorm_mode_32 3
		.amdhsa_float_denorm_mode_16_64 3
		.amdhsa_dx10_clamp 1
		.amdhsa_ieee_mode 1
		.amdhsa_fp16_overflow 0
		.amdhsa_workgroup_processor_mode 1
		.amdhsa_memory_ordered 1
		.amdhsa_forward_progress 0
		.amdhsa_shared_vgpr_count 0
		.amdhsa_exception_fp_ieee_invalid_op 0
		.amdhsa_exception_fp_denorm_src 0
		.amdhsa_exception_fp_ieee_div_zero 0
		.amdhsa_exception_fp_ieee_overflow 0
		.amdhsa_exception_fp_ieee_underflow 0
		.amdhsa_exception_fp_ieee_inexact 0
		.amdhsa_exception_int_div_zero 0
	.end_amdhsa_kernel
	.section	.text._ZN7rocprim17ROCPRIM_400000_NS6detail17trampoline_kernelINS0_14default_configENS1_32segmented_reduce_config_selectorIN3c104HalfEEEZNS1_21segmented_reduce_implIS3_PKS6_PS6_PKiS6_N6hipcub16HIPCUB_304000_NS6detail27convert_result_type_wrapperISA_SB_N2at6native12_GLOBAL__N_19CustomMinEEEEE10hipError_tPvRmT0_T1_jT2_SS_T4_T3_P12ihipStream_tbEUlT_E_NS1_11comp_targetILNS1_3genE9ELNS1_11target_archE1100ELNS1_3gpuE3ELNS1_3repE0EEENS1_30default_config_static_selectorELNS0_4arch9wavefront6targetE0EEEvSR_,"axG",@progbits,_ZN7rocprim17ROCPRIM_400000_NS6detail17trampoline_kernelINS0_14default_configENS1_32segmented_reduce_config_selectorIN3c104HalfEEEZNS1_21segmented_reduce_implIS3_PKS6_PS6_PKiS6_N6hipcub16HIPCUB_304000_NS6detail27convert_result_type_wrapperISA_SB_N2at6native12_GLOBAL__N_19CustomMinEEEEE10hipError_tPvRmT0_T1_jT2_SS_T4_T3_P12ihipStream_tbEUlT_E_NS1_11comp_targetILNS1_3genE9ELNS1_11target_archE1100ELNS1_3gpuE3ELNS1_3repE0EEENS1_30default_config_static_selectorELNS0_4arch9wavefront6targetE0EEEvSR_,comdat
.Lfunc_end100:
	.size	_ZN7rocprim17ROCPRIM_400000_NS6detail17trampoline_kernelINS0_14default_configENS1_32segmented_reduce_config_selectorIN3c104HalfEEEZNS1_21segmented_reduce_implIS3_PKS6_PS6_PKiS6_N6hipcub16HIPCUB_304000_NS6detail27convert_result_type_wrapperISA_SB_N2at6native12_GLOBAL__N_19CustomMinEEEEE10hipError_tPvRmT0_T1_jT2_SS_T4_T3_P12ihipStream_tbEUlT_E_NS1_11comp_targetILNS1_3genE9ELNS1_11target_archE1100ELNS1_3gpuE3ELNS1_3repE0EEENS1_30default_config_static_selectorELNS0_4arch9wavefront6targetE0EEEvSR_, .Lfunc_end100-_ZN7rocprim17ROCPRIM_400000_NS6detail17trampoline_kernelINS0_14default_configENS1_32segmented_reduce_config_selectorIN3c104HalfEEEZNS1_21segmented_reduce_implIS3_PKS6_PS6_PKiS6_N6hipcub16HIPCUB_304000_NS6detail27convert_result_type_wrapperISA_SB_N2at6native12_GLOBAL__N_19CustomMinEEEEE10hipError_tPvRmT0_T1_jT2_SS_T4_T3_P12ihipStream_tbEUlT_E_NS1_11comp_targetILNS1_3genE9ELNS1_11target_archE1100ELNS1_3gpuE3ELNS1_3repE0EEENS1_30default_config_static_selectorELNS0_4arch9wavefront6targetE0EEEvSR_
                                        ; -- End function
	.section	.AMDGPU.csdata,"",@progbits
; Kernel info:
; codeLenInByte = 7544
; NumSgprs: 33
; NumVgprs: 23
; ScratchSize: 0
; MemoryBound: 0
; FloatMode: 240
; IeeeMode: 1
; LDSByteSize: 16 bytes/workgroup (compile time only)
; SGPRBlocks: 4
; VGPRBlocks: 2
; NumSGPRsForWavesPerEU: 33
; NumVGPRsForWavesPerEU: 23
; Occupancy: 16
; WaveLimiterHint : 1
; COMPUTE_PGM_RSRC2:SCRATCH_EN: 0
; COMPUTE_PGM_RSRC2:USER_SGPR: 15
; COMPUTE_PGM_RSRC2:TRAP_HANDLER: 0
; COMPUTE_PGM_RSRC2:TGID_X_EN: 1
; COMPUTE_PGM_RSRC2:TGID_Y_EN: 0
; COMPUTE_PGM_RSRC2:TGID_Z_EN: 0
; COMPUTE_PGM_RSRC2:TIDIG_COMP_CNT: 0
	.section	.text._ZN7rocprim17ROCPRIM_400000_NS6detail17trampoline_kernelINS0_14default_configENS1_32segmented_reduce_config_selectorIN3c104HalfEEEZNS1_21segmented_reduce_implIS3_PKS6_PS6_PKiS6_N6hipcub16HIPCUB_304000_NS6detail27convert_result_type_wrapperISA_SB_N2at6native12_GLOBAL__N_19CustomMinEEEEE10hipError_tPvRmT0_T1_jT2_SS_T4_T3_P12ihipStream_tbEUlT_E_NS1_11comp_targetILNS1_3genE8ELNS1_11target_archE1030ELNS1_3gpuE2ELNS1_3repE0EEENS1_30default_config_static_selectorELNS0_4arch9wavefront6targetE0EEEvSR_,"axG",@progbits,_ZN7rocprim17ROCPRIM_400000_NS6detail17trampoline_kernelINS0_14default_configENS1_32segmented_reduce_config_selectorIN3c104HalfEEEZNS1_21segmented_reduce_implIS3_PKS6_PS6_PKiS6_N6hipcub16HIPCUB_304000_NS6detail27convert_result_type_wrapperISA_SB_N2at6native12_GLOBAL__N_19CustomMinEEEEE10hipError_tPvRmT0_T1_jT2_SS_T4_T3_P12ihipStream_tbEUlT_E_NS1_11comp_targetILNS1_3genE8ELNS1_11target_archE1030ELNS1_3gpuE2ELNS1_3repE0EEENS1_30default_config_static_selectorELNS0_4arch9wavefront6targetE0EEEvSR_,comdat
	.globl	_ZN7rocprim17ROCPRIM_400000_NS6detail17trampoline_kernelINS0_14default_configENS1_32segmented_reduce_config_selectorIN3c104HalfEEEZNS1_21segmented_reduce_implIS3_PKS6_PS6_PKiS6_N6hipcub16HIPCUB_304000_NS6detail27convert_result_type_wrapperISA_SB_N2at6native12_GLOBAL__N_19CustomMinEEEEE10hipError_tPvRmT0_T1_jT2_SS_T4_T3_P12ihipStream_tbEUlT_E_NS1_11comp_targetILNS1_3genE8ELNS1_11target_archE1030ELNS1_3gpuE2ELNS1_3repE0EEENS1_30default_config_static_selectorELNS0_4arch9wavefront6targetE0EEEvSR_ ; -- Begin function _ZN7rocprim17ROCPRIM_400000_NS6detail17trampoline_kernelINS0_14default_configENS1_32segmented_reduce_config_selectorIN3c104HalfEEEZNS1_21segmented_reduce_implIS3_PKS6_PS6_PKiS6_N6hipcub16HIPCUB_304000_NS6detail27convert_result_type_wrapperISA_SB_N2at6native12_GLOBAL__N_19CustomMinEEEEE10hipError_tPvRmT0_T1_jT2_SS_T4_T3_P12ihipStream_tbEUlT_E_NS1_11comp_targetILNS1_3genE8ELNS1_11target_archE1030ELNS1_3gpuE2ELNS1_3repE0EEENS1_30default_config_static_selectorELNS0_4arch9wavefront6targetE0EEEvSR_
	.p2align	8
	.type	_ZN7rocprim17ROCPRIM_400000_NS6detail17trampoline_kernelINS0_14default_configENS1_32segmented_reduce_config_selectorIN3c104HalfEEEZNS1_21segmented_reduce_implIS3_PKS6_PS6_PKiS6_N6hipcub16HIPCUB_304000_NS6detail27convert_result_type_wrapperISA_SB_N2at6native12_GLOBAL__N_19CustomMinEEEEE10hipError_tPvRmT0_T1_jT2_SS_T4_T3_P12ihipStream_tbEUlT_E_NS1_11comp_targetILNS1_3genE8ELNS1_11target_archE1030ELNS1_3gpuE2ELNS1_3repE0EEENS1_30default_config_static_selectorELNS0_4arch9wavefront6targetE0EEEvSR_,@function
_ZN7rocprim17ROCPRIM_400000_NS6detail17trampoline_kernelINS0_14default_configENS1_32segmented_reduce_config_selectorIN3c104HalfEEEZNS1_21segmented_reduce_implIS3_PKS6_PS6_PKiS6_N6hipcub16HIPCUB_304000_NS6detail27convert_result_type_wrapperISA_SB_N2at6native12_GLOBAL__N_19CustomMinEEEEE10hipError_tPvRmT0_T1_jT2_SS_T4_T3_P12ihipStream_tbEUlT_E_NS1_11comp_targetILNS1_3genE8ELNS1_11target_archE1030ELNS1_3gpuE2ELNS1_3repE0EEENS1_30default_config_static_selectorELNS0_4arch9wavefront6targetE0EEEvSR_: ; @_ZN7rocprim17ROCPRIM_400000_NS6detail17trampoline_kernelINS0_14default_configENS1_32segmented_reduce_config_selectorIN3c104HalfEEEZNS1_21segmented_reduce_implIS3_PKS6_PS6_PKiS6_N6hipcub16HIPCUB_304000_NS6detail27convert_result_type_wrapperISA_SB_N2at6native12_GLOBAL__N_19CustomMinEEEEE10hipError_tPvRmT0_T1_jT2_SS_T4_T3_P12ihipStream_tbEUlT_E_NS1_11comp_targetILNS1_3genE8ELNS1_11target_archE1030ELNS1_3gpuE2ELNS1_3repE0EEENS1_30default_config_static_selectorELNS0_4arch9wavefront6targetE0EEEvSR_
; %bb.0:
	.section	.rodata,"a",@progbits
	.p2align	6, 0x0
	.amdhsa_kernel _ZN7rocprim17ROCPRIM_400000_NS6detail17trampoline_kernelINS0_14default_configENS1_32segmented_reduce_config_selectorIN3c104HalfEEEZNS1_21segmented_reduce_implIS3_PKS6_PS6_PKiS6_N6hipcub16HIPCUB_304000_NS6detail27convert_result_type_wrapperISA_SB_N2at6native12_GLOBAL__N_19CustomMinEEEEE10hipError_tPvRmT0_T1_jT2_SS_T4_T3_P12ihipStream_tbEUlT_E_NS1_11comp_targetILNS1_3genE8ELNS1_11target_archE1030ELNS1_3gpuE2ELNS1_3repE0EEENS1_30default_config_static_selectorELNS0_4arch9wavefront6targetE0EEEvSR_
		.amdhsa_group_segment_fixed_size 0
		.amdhsa_private_segment_fixed_size 0
		.amdhsa_kernarg_size 48
		.amdhsa_user_sgpr_count 15
		.amdhsa_user_sgpr_dispatch_ptr 0
		.amdhsa_user_sgpr_queue_ptr 0
		.amdhsa_user_sgpr_kernarg_segment_ptr 1
		.amdhsa_user_sgpr_dispatch_id 0
		.amdhsa_user_sgpr_private_segment_size 0
		.amdhsa_wavefront_size32 1
		.amdhsa_uses_dynamic_stack 0
		.amdhsa_enable_private_segment 0
		.amdhsa_system_sgpr_workgroup_id_x 1
		.amdhsa_system_sgpr_workgroup_id_y 0
		.amdhsa_system_sgpr_workgroup_id_z 0
		.amdhsa_system_sgpr_workgroup_info 0
		.amdhsa_system_vgpr_workitem_id 0
		.amdhsa_next_free_vgpr 1
		.amdhsa_next_free_sgpr 1
		.amdhsa_reserve_vcc 0
		.amdhsa_float_round_mode_32 0
		.amdhsa_float_round_mode_16_64 0
		.amdhsa_float_denorm_mode_32 3
		.amdhsa_float_denorm_mode_16_64 3
		.amdhsa_dx10_clamp 1
		.amdhsa_ieee_mode 1
		.amdhsa_fp16_overflow 0
		.amdhsa_workgroup_processor_mode 1
		.amdhsa_memory_ordered 1
		.amdhsa_forward_progress 0
		.amdhsa_shared_vgpr_count 0
		.amdhsa_exception_fp_ieee_invalid_op 0
		.amdhsa_exception_fp_denorm_src 0
		.amdhsa_exception_fp_ieee_div_zero 0
		.amdhsa_exception_fp_ieee_overflow 0
		.amdhsa_exception_fp_ieee_underflow 0
		.amdhsa_exception_fp_ieee_inexact 0
		.amdhsa_exception_int_div_zero 0
	.end_amdhsa_kernel
	.section	.text._ZN7rocprim17ROCPRIM_400000_NS6detail17trampoline_kernelINS0_14default_configENS1_32segmented_reduce_config_selectorIN3c104HalfEEEZNS1_21segmented_reduce_implIS3_PKS6_PS6_PKiS6_N6hipcub16HIPCUB_304000_NS6detail27convert_result_type_wrapperISA_SB_N2at6native12_GLOBAL__N_19CustomMinEEEEE10hipError_tPvRmT0_T1_jT2_SS_T4_T3_P12ihipStream_tbEUlT_E_NS1_11comp_targetILNS1_3genE8ELNS1_11target_archE1030ELNS1_3gpuE2ELNS1_3repE0EEENS1_30default_config_static_selectorELNS0_4arch9wavefront6targetE0EEEvSR_,"axG",@progbits,_ZN7rocprim17ROCPRIM_400000_NS6detail17trampoline_kernelINS0_14default_configENS1_32segmented_reduce_config_selectorIN3c104HalfEEEZNS1_21segmented_reduce_implIS3_PKS6_PS6_PKiS6_N6hipcub16HIPCUB_304000_NS6detail27convert_result_type_wrapperISA_SB_N2at6native12_GLOBAL__N_19CustomMinEEEEE10hipError_tPvRmT0_T1_jT2_SS_T4_T3_P12ihipStream_tbEUlT_E_NS1_11comp_targetILNS1_3genE8ELNS1_11target_archE1030ELNS1_3gpuE2ELNS1_3repE0EEENS1_30default_config_static_selectorELNS0_4arch9wavefront6targetE0EEEvSR_,comdat
.Lfunc_end101:
	.size	_ZN7rocprim17ROCPRIM_400000_NS6detail17trampoline_kernelINS0_14default_configENS1_32segmented_reduce_config_selectorIN3c104HalfEEEZNS1_21segmented_reduce_implIS3_PKS6_PS6_PKiS6_N6hipcub16HIPCUB_304000_NS6detail27convert_result_type_wrapperISA_SB_N2at6native12_GLOBAL__N_19CustomMinEEEEE10hipError_tPvRmT0_T1_jT2_SS_T4_T3_P12ihipStream_tbEUlT_E_NS1_11comp_targetILNS1_3genE8ELNS1_11target_archE1030ELNS1_3gpuE2ELNS1_3repE0EEENS1_30default_config_static_selectorELNS0_4arch9wavefront6targetE0EEEvSR_, .Lfunc_end101-_ZN7rocprim17ROCPRIM_400000_NS6detail17trampoline_kernelINS0_14default_configENS1_32segmented_reduce_config_selectorIN3c104HalfEEEZNS1_21segmented_reduce_implIS3_PKS6_PS6_PKiS6_N6hipcub16HIPCUB_304000_NS6detail27convert_result_type_wrapperISA_SB_N2at6native12_GLOBAL__N_19CustomMinEEEEE10hipError_tPvRmT0_T1_jT2_SS_T4_T3_P12ihipStream_tbEUlT_E_NS1_11comp_targetILNS1_3genE8ELNS1_11target_archE1030ELNS1_3gpuE2ELNS1_3repE0EEENS1_30default_config_static_selectorELNS0_4arch9wavefront6targetE0EEEvSR_
                                        ; -- End function
	.section	.AMDGPU.csdata,"",@progbits
; Kernel info:
; codeLenInByte = 0
; NumSgprs: 0
; NumVgprs: 0
; ScratchSize: 0
; MemoryBound: 0
; FloatMode: 240
; IeeeMode: 1
; LDSByteSize: 0 bytes/workgroup (compile time only)
; SGPRBlocks: 0
; VGPRBlocks: 0
; NumSGPRsForWavesPerEU: 1
; NumVGPRsForWavesPerEU: 1
; Occupancy: 16
; WaveLimiterHint : 0
; COMPUTE_PGM_RSRC2:SCRATCH_EN: 0
; COMPUTE_PGM_RSRC2:USER_SGPR: 15
; COMPUTE_PGM_RSRC2:TRAP_HANDLER: 0
; COMPUTE_PGM_RSRC2:TGID_X_EN: 1
; COMPUTE_PGM_RSRC2:TGID_Y_EN: 0
; COMPUTE_PGM_RSRC2:TGID_Z_EN: 0
; COMPUTE_PGM_RSRC2:TIDIG_COMP_CNT: 0
	.section	.text._ZN7rocprim17ROCPRIM_400000_NS6detail17trampoline_kernelINS0_14default_configENS1_32segmented_reduce_config_selectorIN3c104HalfEEEZNS1_21segmented_reduce_implIS3_PKS6_PS6_PKiS6_N6hipcub16HIPCUB_304000_NS6detail27convert_result_type_wrapperISA_SB_N2at6native12_GLOBAL__N_110CustomProdEEEEE10hipError_tPvRmT0_T1_jT2_SS_T4_T3_P12ihipStream_tbEUlT_E_NS1_11comp_targetILNS1_3genE0ELNS1_11target_archE4294967295ELNS1_3gpuE0ELNS1_3repE0EEENS1_30default_config_static_selectorELNS0_4arch9wavefront6targetE0EEEvSR_,"axG",@progbits,_ZN7rocprim17ROCPRIM_400000_NS6detail17trampoline_kernelINS0_14default_configENS1_32segmented_reduce_config_selectorIN3c104HalfEEEZNS1_21segmented_reduce_implIS3_PKS6_PS6_PKiS6_N6hipcub16HIPCUB_304000_NS6detail27convert_result_type_wrapperISA_SB_N2at6native12_GLOBAL__N_110CustomProdEEEEE10hipError_tPvRmT0_T1_jT2_SS_T4_T3_P12ihipStream_tbEUlT_E_NS1_11comp_targetILNS1_3genE0ELNS1_11target_archE4294967295ELNS1_3gpuE0ELNS1_3repE0EEENS1_30default_config_static_selectorELNS0_4arch9wavefront6targetE0EEEvSR_,comdat
	.globl	_ZN7rocprim17ROCPRIM_400000_NS6detail17trampoline_kernelINS0_14default_configENS1_32segmented_reduce_config_selectorIN3c104HalfEEEZNS1_21segmented_reduce_implIS3_PKS6_PS6_PKiS6_N6hipcub16HIPCUB_304000_NS6detail27convert_result_type_wrapperISA_SB_N2at6native12_GLOBAL__N_110CustomProdEEEEE10hipError_tPvRmT0_T1_jT2_SS_T4_T3_P12ihipStream_tbEUlT_E_NS1_11comp_targetILNS1_3genE0ELNS1_11target_archE4294967295ELNS1_3gpuE0ELNS1_3repE0EEENS1_30default_config_static_selectorELNS0_4arch9wavefront6targetE0EEEvSR_ ; -- Begin function _ZN7rocprim17ROCPRIM_400000_NS6detail17trampoline_kernelINS0_14default_configENS1_32segmented_reduce_config_selectorIN3c104HalfEEEZNS1_21segmented_reduce_implIS3_PKS6_PS6_PKiS6_N6hipcub16HIPCUB_304000_NS6detail27convert_result_type_wrapperISA_SB_N2at6native12_GLOBAL__N_110CustomProdEEEEE10hipError_tPvRmT0_T1_jT2_SS_T4_T3_P12ihipStream_tbEUlT_E_NS1_11comp_targetILNS1_3genE0ELNS1_11target_archE4294967295ELNS1_3gpuE0ELNS1_3repE0EEENS1_30default_config_static_selectorELNS0_4arch9wavefront6targetE0EEEvSR_
	.p2align	8
	.type	_ZN7rocprim17ROCPRIM_400000_NS6detail17trampoline_kernelINS0_14default_configENS1_32segmented_reduce_config_selectorIN3c104HalfEEEZNS1_21segmented_reduce_implIS3_PKS6_PS6_PKiS6_N6hipcub16HIPCUB_304000_NS6detail27convert_result_type_wrapperISA_SB_N2at6native12_GLOBAL__N_110CustomProdEEEEE10hipError_tPvRmT0_T1_jT2_SS_T4_T3_P12ihipStream_tbEUlT_E_NS1_11comp_targetILNS1_3genE0ELNS1_11target_archE4294967295ELNS1_3gpuE0ELNS1_3repE0EEENS1_30default_config_static_selectorELNS0_4arch9wavefront6targetE0EEEvSR_,@function
_ZN7rocprim17ROCPRIM_400000_NS6detail17trampoline_kernelINS0_14default_configENS1_32segmented_reduce_config_selectorIN3c104HalfEEEZNS1_21segmented_reduce_implIS3_PKS6_PS6_PKiS6_N6hipcub16HIPCUB_304000_NS6detail27convert_result_type_wrapperISA_SB_N2at6native12_GLOBAL__N_110CustomProdEEEEE10hipError_tPvRmT0_T1_jT2_SS_T4_T3_P12ihipStream_tbEUlT_E_NS1_11comp_targetILNS1_3genE0ELNS1_11target_archE4294967295ELNS1_3gpuE0ELNS1_3repE0EEENS1_30default_config_static_selectorELNS0_4arch9wavefront6targetE0EEEvSR_: ; @_ZN7rocprim17ROCPRIM_400000_NS6detail17trampoline_kernelINS0_14default_configENS1_32segmented_reduce_config_selectorIN3c104HalfEEEZNS1_21segmented_reduce_implIS3_PKS6_PS6_PKiS6_N6hipcub16HIPCUB_304000_NS6detail27convert_result_type_wrapperISA_SB_N2at6native12_GLOBAL__N_110CustomProdEEEEE10hipError_tPvRmT0_T1_jT2_SS_T4_T3_P12ihipStream_tbEUlT_E_NS1_11comp_targetILNS1_3genE0ELNS1_11target_archE4294967295ELNS1_3gpuE0ELNS1_3repE0EEENS1_30default_config_static_selectorELNS0_4arch9wavefront6targetE0EEEvSR_
; %bb.0:
	.section	.rodata,"a",@progbits
	.p2align	6, 0x0
	.amdhsa_kernel _ZN7rocprim17ROCPRIM_400000_NS6detail17trampoline_kernelINS0_14default_configENS1_32segmented_reduce_config_selectorIN3c104HalfEEEZNS1_21segmented_reduce_implIS3_PKS6_PS6_PKiS6_N6hipcub16HIPCUB_304000_NS6detail27convert_result_type_wrapperISA_SB_N2at6native12_GLOBAL__N_110CustomProdEEEEE10hipError_tPvRmT0_T1_jT2_SS_T4_T3_P12ihipStream_tbEUlT_E_NS1_11comp_targetILNS1_3genE0ELNS1_11target_archE4294967295ELNS1_3gpuE0ELNS1_3repE0EEENS1_30default_config_static_selectorELNS0_4arch9wavefront6targetE0EEEvSR_
		.amdhsa_group_segment_fixed_size 0
		.amdhsa_private_segment_fixed_size 0
		.amdhsa_kernarg_size 48
		.amdhsa_user_sgpr_count 15
		.amdhsa_user_sgpr_dispatch_ptr 0
		.amdhsa_user_sgpr_queue_ptr 0
		.amdhsa_user_sgpr_kernarg_segment_ptr 1
		.amdhsa_user_sgpr_dispatch_id 0
		.amdhsa_user_sgpr_private_segment_size 0
		.amdhsa_wavefront_size32 1
		.amdhsa_uses_dynamic_stack 0
		.amdhsa_enable_private_segment 0
		.amdhsa_system_sgpr_workgroup_id_x 1
		.amdhsa_system_sgpr_workgroup_id_y 0
		.amdhsa_system_sgpr_workgroup_id_z 0
		.amdhsa_system_sgpr_workgroup_info 0
		.amdhsa_system_vgpr_workitem_id 0
		.amdhsa_next_free_vgpr 1
		.amdhsa_next_free_sgpr 1
		.amdhsa_reserve_vcc 0
		.amdhsa_float_round_mode_32 0
		.amdhsa_float_round_mode_16_64 0
		.amdhsa_float_denorm_mode_32 3
		.amdhsa_float_denorm_mode_16_64 3
		.amdhsa_dx10_clamp 1
		.amdhsa_ieee_mode 1
		.amdhsa_fp16_overflow 0
		.amdhsa_workgroup_processor_mode 1
		.amdhsa_memory_ordered 1
		.amdhsa_forward_progress 0
		.amdhsa_shared_vgpr_count 0
		.amdhsa_exception_fp_ieee_invalid_op 0
		.amdhsa_exception_fp_denorm_src 0
		.amdhsa_exception_fp_ieee_div_zero 0
		.amdhsa_exception_fp_ieee_overflow 0
		.amdhsa_exception_fp_ieee_underflow 0
		.amdhsa_exception_fp_ieee_inexact 0
		.amdhsa_exception_int_div_zero 0
	.end_amdhsa_kernel
	.section	.text._ZN7rocprim17ROCPRIM_400000_NS6detail17trampoline_kernelINS0_14default_configENS1_32segmented_reduce_config_selectorIN3c104HalfEEEZNS1_21segmented_reduce_implIS3_PKS6_PS6_PKiS6_N6hipcub16HIPCUB_304000_NS6detail27convert_result_type_wrapperISA_SB_N2at6native12_GLOBAL__N_110CustomProdEEEEE10hipError_tPvRmT0_T1_jT2_SS_T4_T3_P12ihipStream_tbEUlT_E_NS1_11comp_targetILNS1_3genE0ELNS1_11target_archE4294967295ELNS1_3gpuE0ELNS1_3repE0EEENS1_30default_config_static_selectorELNS0_4arch9wavefront6targetE0EEEvSR_,"axG",@progbits,_ZN7rocprim17ROCPRIM_400000_NS6detail17trampoline_kernelINS0_14default_configENS1_32segmented_reduce_config_selectorIN3c104HalfEEEZNS1_21segmented_reduce_implIS3_PKS6_PS6_PKiS6_N6hipcub16HIPCUB_304000_NS6detail27convert_result_type_wrapperISA_SB_N2at6native12_GLOBAL__N_110CustomProdEEEEE10hipError_tPvRmT0_T1_jT2_SS_T4_T3_P12ihipStream_tbEUlT_E_NS1_11comp_targetILNS1_3genE0ELNS1_11target_archE4294967295ELNS1_3gpuE0ELNS1_3repE0EEENS1_30default_config_static_selectorELNS0_4arch9wavefront6targetE0EEEvSR_,comdat
.Lfunc_end102:
	.size	_ZN7rocprim17ROCPRIM_400000_NS6detail17trampoline_kernelINS0_14default_configENS1_32segmented_reduce_config_selectorIN3c104HalfEEEZNS1_21segmented_reduce_implIS3_PKS6_PS6_PKiS6_N6hipcub16HIPCUB_304000_NS6detail27convert_result_type_wrapperISA_SB_N2at6native12_GLOBAL__N_110CustomProdEEEEE10hipError_tPvRmT0_T1_jT2_SS_T4_T3_P12ihipStream_tbEUlT_E_NS1_11comp_targetILNS1_3genE0ELNS1_11target_archE4294967295ELNS1_3gpuE0ELNS1_3repE0EEENS1_30default_config_static_selectorELNS0_4arch9wavefront6targetE0EEEvSR_, .Lfunc_end102-_ZN7rocprim17ROCPRIM_400000_NS6detail17trampoline_kernelINS0_14default_configENS1_32segmented_reduce_config_selectorIN3c104HalfEEEZNS1_21segmented_reduce_implIS3_PKS6_PS6_PKiS6_N6hipcub16HIPCUB_304000_NS6detail27convert_result_type_wrapperISA_SB_N2at6native12_GLOBAL__N_110CustomProdEEEEE10hipError_tPvRmT0_T1_jT2_SS_T4_T3_P12ihipStream_tbEUlT_E_NS1_11comp_targetILNS1_3genE0ELNS1_11target_archE4294967295ELNS1_3gpuE0ELNS1_3repE0EEENS1_30default_config_static_selectorELNS0_4arch9wavefront6targetE0EEEvSR_
                                        ; -- End function
	.section	.AMDGPU.csdata,"",@progbits
; Kernel info:
; codeLenInByte = 0
; NumSgprs: 0
; NumVgprs: 0
; ScratchSize: 0
; MemoryBound: 0
; FloatMode: 240
; IeeeMode: 1
; LDSByteSize: 0 bytes/workgroup (compile time only)
; SGPRBlocks: 0
; VGPRBlocks: 0
; NumSGPRsForWavesPerEU: 1
; NumVGPRsForWavesPerEU: 1
; Occupancy: 16
; WaveLimiterHint : 0
; COMPUTE_PGM_RSRC2:SCRATCH_EN: 0
; COMPUTE_PGM_RSRC2:USER_SGPR: 15
; COMPUTE_PGM_RSRC2:TRAP_HANDLER: 0
; COMPUTE_PGM_RSRC2:TGID_X_EN: 1
; COMPUTE_PGM_RSRC2:TGID_Y_EN: 0
; COMPUTE_PGM_RSRC2:TGID_Z_EN: 0
; COMPUTE_PGM_RSRC2:TIDIG_COMP_CNT: 0
	.section	.text._ZN7rocprim17ROCPRIM_400000_NS6detail17trampoline_kernelINS0_14default_configENS1_32segmented_reduce_config_selectorIN3c104HalfEEEZNS1_21segmented_reduce_implIS3_PKS6_PS6_PKiS6_N6hipcub16HIPCUB_304000_NS6detail27convert_result_type_wrapperISA_SB_N2at6native12_GLOBAL__N_110CustomProdEEEEE10hipError_tPvRmT0_T1_jT2_SS_T4_T3_P12ihipStream_tbEUlT_E_NS1_11comp_targetILNS1_3genE5ELNS1_11target_archE942ELNS1_3gpuE9ELNS1_3repE0EEENS1_30default_config_static_selectorELNS0_4arch9wavefront6targetE0EEEvSR_,"axG",@progbits,_ZN7rocprim17ROCPRIM_400000_NS6detail17trampoline_kernelINS0_14default_configENS1_32segmented_reduce_config_selectorIN3c104HalfEEEZNS1_21segmented_reduce_implIS3_PKS6_PS6_PKiS6_N6hipcub16HIPCUB_304000_NS6detail27convert_result_type_wrapperISA_SB_N2at6native12_GLOBAL__N_110CustomProdEEEEE10hipError_tPvRmT0_T1_jT2_SS_T4_T3_P12ihipStream_tbEUlT_E_NS1_11comp_targetILNS1_3genE5ELNS1_11target_archE942ELNS1_3gpuE9ELNS1_3repE0EEENS1_30default_config_static_selectorELNS0_4arch9wavefront6targetE0EEEvSR_,comdat
	.globl	_ZN7rocprim17ROCPRIM_400000_NS6detail17trampoline_kernelINS0_14default_configENS1_32segmented_reduce_config_selectorIN3c104HalfEEEZNS1_21segmented_reduce_implIS3_PKS6_PS6_PKiS6_N6hipcub16HIPCUB_304000_NS6detail27convert_result_type_wrapperISA_SB_N2at6native12_GLOBAL__N_110CustomProdEEEEE10hipError_tPvRmT0_T1_jT2_SS_T4_T3_P12ihipStream_tbEUlT_E_NS1_11comp_targetILNS1_3genE5ELNS1_11target_archE942ELNS1_3gpuE9ELNS1_3repE0EEENS1_30default_config_static_selectorELNS0_4arch9wavefront6targetE0EEEvSR_ ; -- Begin function _ZN7rocprim17ROCPRIM_400000_NS6detail17trampoline_kernelINS0_14default_configENS1_32segmented_reduce_config_selectorIN3c104HalfEEEZNS1_21segmented_reduce_implIS3_PKS6_PS6_PKiS6_N6hipcub16HIPCUB_304000_NS6detail27convert_result_type_wrapperISA_SB_N2at6native12_GLOBAL__N_110CustomProdEEEEE10hipError_tPvRmT0_T1_jT2_SS_T4_T3_P12ihipStream_tbEUlT_E_NS1_11comp_targetILNS1_3genE5ELNS1_11target_archE942ELNS1_3gpuE9ELNS1_3repE0EEENS1_30default_config_static_selectorELNS0_4arch9wavefront6targetE0EEEvSR_
	.p2align	8
	.type	_ZN7rocprim17ROCPRIM_400000_NS6detail17trampoline_kernelINS0_14default_configENS1_32segmented_reduce_config_selectorIN3c104HalfEEEZNS1_21segmented_reduce_implIS3_PKS6_PS6_PKiS6_N6hipcub16HIPCUB_304000_NS6detail27convert_result_type_wrapperISA_SB_N2at6native12_GLOBAL__N_110CustomProdEEEEE10hipError_tPvRmT0_T1_jT2_SS_T4_T3_P12ihipStream_tbEUlT_E_NS1_11comp_targetILNS1_3genE5ELNS1_11target_archE942ELNS1_3gpuE9ELNS1_3repE0EEENS1_30default_config_static_selectorELNS0_4arch9wavefront6targetE0EEEvSR_,@function
_ZN7rocprim17ROCPRIM_400000_NS6detail17trampoline_kernelINS0_14default_configENS1_32segmented_reduce_config_selectorIN3c104HalfEEEZNS1_21segmented_reduce_implIS3_PKS6_PS6_PKiS6_N6hipcub16HIPCUB_304000_NS6detail27convert_result_type_wrapperISA_SB_N2at6native12_GLOBAL__N_110CustomProdEEEEE10hipError_tPvRmT0_T1_jT2_SS_T4_T3_P12ihipStream_tbEUlT_E_NS1_11comp_targetILNS1_3genE5ELNS1_11target_archE942ELNS1_3gpuE9ELNS1_3repE0EEENS1_30default_config_static_selectorELNS0_4arch9wavefront6targetE0EEEvSR_: ; @_ZN7rocprim17ROCPRIM_400000_NS6detail17trampoline_kernelINS0_14default_configENS1_32segmented_reduce_config_selectorIN3c104HalfEEEZNS1_21segmented_reduce_implIS3_PKS6_PS6_PKiS6_N6hipcub16HIPCUB_304000_NS6detail27convert_result_type_wrapperISA_SB_N2at6native12_GLOBAL__N_110CustomProdEEEEE10hipError_tPvRmT0_T1_jT2_SS_T4_T3_P12ihipStream_tbEUlT_E_NS1_11comp_targetILNS1_3genE5ELNS1_11target_archE942ELNS1_3gpuE9ELNS1_3repE0EEENS1_30default_config_static_selectorELNS0_4arch9wavefront6targetE0EEEvSR_
; %bb.0:
	.section	.rodata,"a",@progbits
	.p2align	6, 0x0
	.amdhsa_kernel _ZN7rocprim17ROCPRIM_400000_NS6detail17trampoline_kernelINS0_14default_configENS1_32segmented_reduce_config_selectorIN3c104HalfEEEZNS1_21segmented_reduce_implIS3_PKS6_PS6_PKiS6_N6hipcub16HIPCUB_304000_NS6detail27convert_result_type_wrapperISA_SB_N2at6native12_GLOBAL__N_110CustomProdEEEEE10hipError_tPvRmT0_T1_jT2_SS_T4_T3_P12ihipStream_tbEUlT_E_NS1_11comp_targetILNS1_3genE5ELNS1_11target_archE942ELNS1_3gpuE9ELNS1_3repE0EEENS1_30default_config_static_selectorELNS0_4arch9wavefront6targetE0EEEvSR_
		.amdhsa_group_segment_fixed_size 0
		.amdhsa_private_segment_fixed_size 0
		.amdhsa_kernarg_size 48
		.amdhsa_user_sgpr_count 15
		.amdhsa_user_sgpr_dispatch_ptr 0
		.amdhsa_user_sgpr_queue_ptr 0
		.amdhsa_user_sgpr_kernarg_segment_ptr 1
		.amdhsa_user_sgpr_dispatch_id 0
		.amdhsa_user_sgpr_private_segment_size 0
		.amdhsa_wavefront_size32 1
		.amdhsa_uses_dynamic_stack 0
		.amdhsa_enable_private_segment 0
		.amdhsa_system_sgpr_workgroup_id_x 1
		.amdhsa_system_sgpr_workgroup_id_y 0
		.amdhsa_system_sgpr_workgroup_id_z 0
		.amdhsa_system_sgpr_workgroup_info 0
		.amdhsa_system_vgpr_workitem_id 0
		.amdhsa_next_free_vgpr 1
		.amdhsa_next_free_sgpr 1
		.amdhsa_reserve_vcc 0
		.amdhsa_float_round_mode_32 0
		.amdhsa_float_round_mode_16_64 0
		.amdhsa_float_denorm_mode_32 3
		.amdhsa_float_denorm_mode_16_64 3
		.amdhsa_dx10_clamp 1
		.amdhsa_ieee_mode 1
		.amdhsa_fp16_overflow 0
		.amdhsa_workgroup_processor_mode 1
		.amdhsa_memory_ordered 1
		.amdhsa_forward_progress 0
		.amdhsa_shared_vgpr_count 0
		.amdhsa_exception_fp_ieee_invalid_op 0
		.amdhsa_exception_fp_denorm_src 0
		.amdhsa_exception_fp_ieee_div_zero 0
		.amdhsa_exception_fp_ieee_overflow 0
		.amdhsa_exception_fp_ieee_underflow 0
		.amdhsa_exception_fp_ieee_inexact 0
		.amdhsa_exception_int_div_zero 0
	.end_amdhsa_kernel
	.section	.text._ZN7rocprim17ROCPRIM_400000_NS6detail17trampoline_kernelINS0_14default_configENS1_32segmented_reduce_config_selectorIN3c104HalfEEEZNS1_21segmented_reduce_implIS3_PKS6_PS6_PKiS6_N6hipcub16HIPCUB_304000_NS6detail27convert_result_type_wrapperISA_SB_N2at6native12_GLOBAL__N_110CustomProdEEEEE10hipError_tPvRmT0_T1_jT2_SS_T4_T3_P12ihipStream_tbEUlT_E_NS1_11comp_targetILNS1_3genE5ELNS1_11target_archE942ELNS1_3gpuE9ELNS1_3repE0EEENS1_30default_config_static_selectorELNS0_4arch9wavefront6targetE0EEEvSR_,"axG",@progbits,_ZN7rocprim17ROCPRIM_400000_NS6detail17trampoline_kernelINS0_14default_configENS1_32segmented_reduce_config_selectorIN3c104HalfEEEZNS1_21segmented_reduce_implIS3_PKS6_PS6_PKiS6_N6hipcub16HIPCUB_304000_NS6detail27convert_result_type_wrapperISA_SB_N2at6native12_GLOBAL__N_110CustomProdEEEEE10hipError_tPvRmT0_T1_jT2_SS_T4_T3_P12ihipStream_tbEUlT_E_NS1_11comp_targetILNS1_3genE5ELNS1_11target_archE942ELNS1_3gpuE9ELNS1_3repE0EEENS1_30default_config_static_selectorELNS0_4arch9wavefront6targetE0EEEvSR_,comdat
.Lfunc_end103:
	.size	_ZN7rocprim17ROCPRIM_400000_NS6detail17trampoline_kernelINS0_14default_configENS1_32segmented_reduce_config_selectorIN3c104HalfEEEZNS1_21segmented_reduce_implIS3_PKS6_PS6_PKiS6_N6hipcub16HIPCUB_304000_NS6detail27convert_result_type_wrapperISA_SB_N2at6native12_GLOBAL__N_110CustomProdEEEEE10hipError_tPvRmT0_T1_jT2_SS_T4_T3_P12ihipStream_tbEUlT_E_NS1_11comp_targetILNS1_3genE5ELNS1_11target_archE942ELNS1_3gpuE9ELNS1_3repE0EEENS1_30default_config_static_selectorELNS0_4arch9wavefront6targetE0EEEvSR_, .Lfunc_end103-_ZN7rocprim17ROCPRIM_400000_NS6detail17trampoline_kernelINS0_14default_configENS1_32segmented_reduce_config_selectorIN3c104HalfEEEZNS1_21segmented_reduce_implIS3_PKS6_PS6_PKiS6_N6hipcub16HIPCUB_304000_NS6detail27convert_result_type_wrapperISA_SB_N2at6native12_GLOBAL__N_110CustomProdEEEEE10hipError_tPvRmT0_T1_jT2_SS_T4_T3_P12ihipStream_tbEUlT_E_NS1_11comp_targetILNS1_3genE5ELNS1_11target_archE942ELNS1_3gpuE9ELNS1_3repE0EEENS1_30default_config_static_selectorELNS0_4arch9wavefront6targetE0EEEvSR_
                                        ; -- End function
	.section	.AMDGPU.csdata,"",@progbits
; Kernel info:
; codeLenInByte = 0
; NumSgprs: 0
; NumVgprs: 0
; ScratchSize: 0
; MemoryBound: 0
; FloatMode: 240
; IeeeMode: 1
; LDSByteSize: 0 bytes/workgroup (compile time only)
; SGPRBlocks: 0
; VGPRBlocks: 0
; NumSGPRsForWavesPerEU: 1
; NumVGPRsForWavesPerEU: 1
; Occupancy: 16
; WaveLimiterHint : 0
; COMPUTE_PGM_RSRC2:SCRATCH_EN: 0
; COMPUTE_PGM_RSRC2:USER_SGPR: 15
; COMPUTE_PGM_RSRC2:TRAP_HANDLER: 0
; COMPUTE_PGM_RSRC2:TGID_X_EN: 1
; COMPUTE_PGM_RSRC2:TGID_Y_EN: 0
; COMPUTE_PGM_RSRC2:TGID_Z_EN: 0
; COMPUTE_PGM_RSRC2:TIDIG_COMP_CNT: 0
	.section	.text._ZN7rocprim17ROCPRIM_400000_NS6detail17trampoline_kernelINS0_14default_configENS1_32segmented_reduce_config_selectorIN3c104HalfEEEZNS1_21segmented_reduce_implIS3_PKS6_PS6_PKiS6_N6hipcub16HIPCUB_304000_NS6detail27convert_result_type_wrapperISA_SB_N2at6native12_GLOBAL__N_110CustomProdEEEEE10hipError_tPvRmT0_T1_jT2_SS_T4_T3_P12ihipStream_tbEUlT_E_NS1_11comp_targetILNS1_3genE10ELNS1_11target_archE1201ELNS1_3gpuE5ELNS1_3repE0EEENS1_30default_config_static_selectorELNS0_4arch9wavefront6targetE0EEEvSR_,"axG",@progbits,_ZN7rocprim17ROCPRIM_400000_NS6detail17trampoline_kernelINS0_14default_configENS1_32segmented_reduce_config_selectorIN3c104HalfEEEZNS1_21segmented_reduce_implIS3_PKS6_PS6_PKiS6_N6hipcub16HIPCUB_304000_NS6detail27convert_result_type_wrapperISA_SB_N2at6native12_GLOBAL__N_110CustomProdEEEEE10hipError_tPvRmT0_T1_jT2_SS_T4_T3_P12ihipStream_tbEUlT_E_NS1_11comp_targetILNS1_3genE10ELNS1_11target_archE1201ELNS1_3gpuE5ELNS1_3repE0EEENS1_30default_config_static_selectorELNS0_4arch9wavefront6targetE0EEEvSR_,comdat
	.globl	_ZN7rocprim17ROCPRIM_400000_NS6detail17trampoline_kernelINS0_14default_configENS1_32segmented_reduce_config_selectorIN3c104HalfEEEZNS1_21segmented_reduce_implIS3_PKS6_PS6_PKiS6_N6hipcub16HIPCUB_304000_NS6detail27convert_result_type_wrapperISA_SB_N2at6native12_GLOBAL__N_110CustomProdEEEEE10hipError_tPvRmT0_T1_jT2_SS_T4_T3_P12ihipStream_tbEUlT_E_NS1_11comp_targetILNS1_3genE10ELNS1_11target_archE1201ELNS1_3gpuE5ELNS1_3repE0EEENS1_30default_config_static_selectorELNS0_4arch9wavefront6targetE0EEEvSR_ ; -- Begin function _ZN7rocprim17ROCPRIM_400000_NS6detail17trampoline_kernelINS0_14default_configENS1_32segmented_reduce_config_selectorIN3c104HalfEEEZNS1_21segmented_reduce_implIS3_PKS6_PS6_PKiS6_N6hipcub16HIPCUB_304000_NS6detail27convert_result_type_wrapperISA_SB_N2at6native12_GLOBAL__N_110CustomProdEEEEE10hipError_tPvRmT0_T1_jT2_SS_T4_T3_P12ihipStream_tbEUlT_E_NS1_11comp_targetILNS1_3genE10ELNS1_11target_archE1201ELNS1_3gpuE5ELNS1_3repE0EEENS1_30default_config_static_selectorELNS0_4arch9wavefront6targetE0EEEvSR_
	.p2align	8
	.type	_ZN7rocprim17ROCPRIM_400000_NS6detail17trampoline_kernelINS0_14default_configENS1_32segmented_reduce_config_selectorIN3c104HalfEEEZNS1_21segmented_reduce_implIS3_PKS6_PS6_PKiS6_N6hipcub16HIPCUB_304000_NS6detail27convert_result_type_wrapperISA_SB_N2at6native12_GLOBAL__N_110CustomProdEEEEE10hipError_tPvRmT0_T1_jT2_SS_T4_T3_P12ihipStream_tbEUlT_E_NS1_11comp_targetILNS1_3genE10ELNS1_11target_archE1201ELNS1_3gpuE5ELNS1_3repE0EEENS1_30default_config_static_selectorELNS0_4arch9wavefront6targetE0EEEvSR_,@function
_ZN7rocprim17ROCPRIM_400000_NS6detail17trampoline_kernelINS0_14default_configENS1_32segmented_reduce_config_selectorIN3c104HalfEEEZNS1_21segmented_reduce_implIS3_PKS6_PS6_PKiS6_N6hipcub16HIPCUB_304000_NS6detail27convert_result_type_wrapperISA_SB_N2at6native12_GLOBAL__N_110CustomProdEEEEE10hipError_tPvRmT0_T1_jT2_SS_T4_T3_P12ihipStream_tbEUlT_E_NS1_11comp_targetILNS1_3genE10ELNS1_11target_archE1201ELNS1_3gpuE5ELNS1_3repE0EEENS1_30default_config_static_selectorELNS0_4arch9wavefront6targetE0EEEvSR_: ; @_ZN7rocprim17ROCPRIM_400000_NS6detail17trampoline_kernelINS0_14default_configENS1_32segmented_reduce_config_selectorIN3c104HalfEEEZNS1_21segmented_reduce_implIS3_PKS6_PS6_PKiS6_N6hipcub16HIPCUB_304000_NS6detail27convert_result_type_wrapperISA_SB_N2at6native12_GLOBAL__N_110CustomProdEEEEE10hipError_tPvRmT0_T1_jT2_SS_T4_T3_P12ihipStream_tbEUlT_E_NS1_11comp_targetILNS1_3genE10ELNS1_11target_archE1201ELNS1_3gpuE5ELNS1_3repE0EEENS1_30default_config_static_selectorELNS0_4arch9wavefront6targetE0EEEvSR_
; %bb.0:
	.section	.rodata,"a",@progbits
	.p2align	6, 0x0
	.amdhsa_kernel _ZN7rocprim17ROCPRIM_400000_NS6detail17trampoline_kernelINS0_14default_configENS1_32segmented_reduce_config_selectorIN3c104HalfEEEZNS1_21segmented_reduce_implIS3_PKS6_PS6_PKiS6_N6hipcub16HIPCUB_304000_NS6detail27convert_result_type_wrapperISA_SB_N2at6native12_GLOBAL__N_110CustomProdEEEEE10hipError_tPvRmT0_T1_jT2_SS_T4_T3_P12ihipStream_tbEUlT_E_NS1_11comp_targetILNS1_3genE10ELNS1_11target_archE1201ELNS1_3gpuE5ELNS1_3repE0EEENS1_30default_config_static_selectorELNS0_4arch9wavefront6targetE0EEEvSR_
		.amdhsa_group_segment_fixed_size 0
		.amdhsa_private_segment_fixed_size 0
		.amdhsa_kernarg_size 48
		.amdhsa_user_sgpr_count 15
		.amdhsa_user_sgpr_dispatch_ptr 0
		.amdhsa_user_sgpr_queue_ptr 0
		.amdhsa_user_sgpr_kernarg_segment_ptr 1
		.amdhsa_user_sgpr_dispatch_id 0
		.amdhsa_user_sgpr_private_segment_size 0
		.amdhsa_wavefront_size32 1
		.amdhsa_uses_dynamic_stack 0
		.amdhsa_enable_private_segment 0
		.amdhsa_system_sgpr_workgroup_id_x 1
		.amdhsa_system_sgpr_workgroup_id_y 0
		.amdhsa_system_sgpr_workgroup_id_z 0
		.amdhsa_system_sgpr_workgroup_info 0
		.amdhsa_system_vgpr_workitem_id 0
		.amdhsa_next_free_vgpr 1
		.amdhsa_next_free_sgpr 1
		.amdhsa_reserve_vcc 0
		.amdhsa_float_round_mode_32 0
		.amdhsa_float_round_mode_16_64 0
		.amdhsa_float_denorm_mode_32 3
		.amdhsa_float_denorm_mode_16_64 3
		.amdhsa_dx10_clamp 1
		.amdhsa_ieee_mode 1
		.amdhsa_fp16_overflow 0
		.amdhsa_workgroup_processor_mode 1
		.amdhsa_memory_ordered 1
		.amdhsa_forward_progress 0
		.amdhsa_shared_vgpr_count 0
		.amdhsa_exception_fp_ieee_invalid_op 0
		.amdhsa_exception_fp_denorm_src 0
		.amdhsa_exception_fp_ieee_div_zero 0
		.amdhsa_exception_fp_ieee_overflow 0
		.amdhsa_exception_fp_ieee_underflow 0
		.amdhsa_exception_fp_ieee_inexact 0
		.amdhsa_exception_int_div_zero 0
	.end_amdhsa_kernel
	.section	.text._ZN7rocprim17ROCPRIM_400000_NS6detail17trampoline_kernelINS0_14default_configENS1_32segmented_reduce_config_selectorIN3c104HalfEEEZNS1_21segmented_reduce_implIS3_PKS6_PS6_PKiS6_N6hipcub16HIPCUB_304000_NS6detail27convert_result_type_wrapperISA_SB_N2at6native12_GLOBAL__N_110CustomProdEEEEE10hipError_tPvRmT0_T1_jT2_SS_T4_T3_P12ihipStream_tbEUlT_E_NS1_11comp_targetILNS1_3genE10ELNS1_11target_archE1201ELNS1_3gpuE5ELNS1_3repE0EEENS1_30default_config_static_selectorELNS0_4arch9wavefront6targetE0EEEvSR_,"axG",@progbits,_ZN7rocprim17ROCPRIM_400000_NS6detail17trampoline_kernelINS0_14default_configENS1_32segmented_reduce_config_selectorIN3c104HalfEEEZNS1_21segmented_reduce_implIS3_PKS6_PS6_PKiS6_N6hipcub16HIPCUB_304000_NS6detail27convert_result_type_wrapperISA_SB_N2at6native12_GLOBAL__N_110CustomProdEEEEE10hipError_tPvRmT0_T1_jT2_SS_T4_T3_P12ihipStream_tbEUlT_E_NS1_11comp_targetILNS1_3genE10ELNS1_11target_archE1201ELNS1_3gpuE5ELNS1_3repE0EEENS1_30default_config_static_selectorELNS0_4arch9wavefront6targetE0EEEvSR_,comdat
.Lfunc_end104:
	.size	_ZN7rocprim17ROCPRIM_400000_NS6detail17trampoline_kernelINS0_14default_configENS1_32segmented_reduce_config_selectorIN3c104HalfEEEZNS1_21segmented_reduce_implIS3_PKS6_PS6_PKiS6_N6hipcub16HIPCUB_304000_NS6detail27convert_result_type_wrapperISA_SB_N2at6native12_GLOBAL__N_110CustomProdEEEEE10hipError_tPvRmT0_T1_jT2_SS_T4_T3_P12ihipStream_tbEUlT_E_NS1_11comp_targetILNS1_3genE10ELNS1_11target_archE1201ELNS1_3gpuE5ELNS1_3repE0EEENS1_30default_config_static_selectorELNS0_4arch9wavefront6targetE0EEEvSR_, .Lfunc_end104-_ZN7rocprim17ROCPRIM_400000_NS6detail17trampoline_kernelINS0_14default_configENS1_32segmented_reduce_config_selectorIN3c104HalfEEEZNS1_21segmented_reduce_implIS3_PKS6_PS6_PKiS6_N6hipcub16HIPCUB_304000_NS6detail27convert_result_type_wrapperISA_SB_N2at6native12_GLOBAL__N_110CustomProdEEEEE10hipError_tPvRmT0_T1_jT2_SS_T4_T3_P12ihipStream_tbEUlT_E_NS1_11comp_targetILNS1_3genE10ELNS1_11target_archE1201ELNS1_3gpuE5ELNS1_3repE0EEENS1_30default_config_static_selectorELNS0_4arch9wavefront6targetE0EEEvSR_
                                        ; -- End function
	.section	.AMDGPU.csdata,"",@progbits
; Kernel info:
; codeLenInByte = 0
; NumSgprs: 0
; NumVgprs: 0
; ScratchSize: 0
; MemoryBound: 0
; FloatMode: 240
; IeeeMode: 1
; LDSByteSize: 0 bytes/workgroup (compile time only)
; SGPRBlocks: 0
; VGPRBlocks: 0
; NumSGPRsForWavesPerEU: 1
; NumVGPRsForWavesPerEU: 1
; Occupancy: 16
; WaveLimiterHint : 0
; COMPUTE_PGM_RSRC2:SCRATCH_EN: 0
; COMPUTE_PGM_RSRC2:USER_SGPR: 15
; COMPUTE_PGM_RSRC2:TRAP_HANDLER: 0
; COMPUTE_PGM_RSRC2:TGID_X_EN: 1
; COMPUTE_PGM_RSRC2:TGID_Y_EN: 0
; COMPUTE_PGM_RSRC2:TGID_Z_EN: 0
; COMPUTE_PGM_RSRC2:TIDIG_COMP_CNT: 0
	.section	.text._ZN7rocprim17ROCPRIM_400000_NS6detail17trampoline_kernelINS0_14default_configENS1_32segmented_reduce_config_selectorIN3c104HalfEEEZNS1_21segmented_reduce_implIS3_PKS6_PS6_PKiS6_N6hipcub16HIPCUB_304000_NS6detail27convert_result_type_wrapperISA_SB_N2at6native12_GLOBAL__N_110CustomProdEEEEE10hipError_tPvRmT0_T1_jT2_SS_T4_T3_P12ihipStream_tbEUlT_E_NS1_11comp_targetILNS1_3genE4ELNS1_11target_archE910ELNS1_3gpuE8ELNS1_3repE0EEENS1_30default_config_static_selectorELNS0_4arch9wavefront6targetE0EEEvSR_,"axG",@progbits,_ZN7rocprim17ROCPRIM_400000_NS6detail17trampoline_kernelINS0_14default_configENS1_32segmented_reduce_config_selectorIN3c104HalfEEEZNS1_21segmented_reduce_implIS3_PKS6_PS6_PKiS6_N6hipcub16HIPCUB_304000_NS6detail27convert_result_type_wrapperISA_SB_N2at6native12_GLOBAL__N_110CustomProdEEEEE10hipError_tPvRmT0_T1_jT2_SS_T4_T3_P12ihipStream_tbEUlT_E_NS1_11comp_targetILNS1_3genE4ELNS1_11target_archE910ELNS1_3gpuE8ELNS1_3repE0EEENS1_30default_config_static_selectorELNS0_4arch9wavefront6targetE0EEEvSR_,comdat
	.globl	_ZN7rocprim17ROCPRIM_400000_NS6detail17trampoline_kernelINS0_14default_configENS1_32segmented_reduce_config_selectorIN3c104HalfEEEZNS1_21segmented_reduce_implIS3_PKS6_PS6_PKiS6_N6hipcub16HIPCUB_304000_NS6detail27convert_result_type_wrapperISA_SB_N2at6native12_GLOBAL__N_110CustomProdEEEEE10hipError_tPvRmT0_T1_jT2_SS_T4_T3_P12ihipStream_tbEUlT_E_NS1_11comp_targetILNS1_3genE4ELNS1_11target_archE910ELNS1_3gpuE8ELNS1_3repE0EEENS1_30default_config_static_selectorELNS0_4arch9wavefront6targetE0EEEvSR_ ; -- Begin function _ZN7rocprim17ROCPRIM_400000_NS6detail17trampoline_kernelINS0_14default_configENS1_32segmented_reduce_config_selectorIN3c104HalfEEEZNS1_21segmented_reduce_implIS3_PKS6_PS6_PKiS6_N6hipcub16HIPCUB_304000_NS6detail27convert_result_type_wrapperISA_SB_N2at6native12_GLOBAL__N_110CustomProdEEEEE10hipError_tPvRmT0_T1_jT2_SS_T4_T3_P12ihipStream_tbEUlT_E_NS1_11comp_targetILNS1_3genE4ELNS1_11target_archE910ELNS1_3gpuE8ELNS1_3repE0EEENS1_30default_config_static_selectorELNS0_4arch9wavefront6targetE0EEEvSR_
	.p2align	8
	.type	_ZN7rocprim17ROCPRIM_400000_NS6detail17trampoline_kernelINS0_14default_configENS1_32segmented_reduce_config_selectorIN3c104HalfEEEZNS1_21segmented_reduce_implIS3_PKS6_PS6_PKiS6_N6hipcub16HIPCUB_304000_NS6detail27convert_result_type_wrapperISA_SB_N2at6native12_GLOBAL__N_110CustomProdEEEEE10hipError_tPvRmT0_T1_jT2_SS_T4_T3_P12ihipStream_tbEUlT_E_NS1_11comp_targetILNS1_3genE4ELNS1_11target_archE910ELNS1_3gpuE8ELNS1_3repE0EEENS1_30default_config_static_selectorELNS0_4arch9wavefront6targetE0EEEvSR_,@function
_ZN7rocprim17ROCPRIM_400000_NS6detail17trampoline_kernelINS0_14default_configENS1_32segmented_reduce_config_selectorIN3c104HalfEEEZNS1_21segmented_reduce_implIS3_PKS6_PS6_PKiS6_N6hipcub16HIPCUB_304000_NS6detail27convert_result_type_wrapperISA_SB_N2at6native12_GLOBAL__N_110CustomProdEEEEE10hipError_tPvRmT0_T1_jT2_SS_T4_T3_P12ihipStream_tbEUlT_E_NS1_11comp_targetILNS1_3genE4ELNS1_11target_archE910ELNS1_3gpuE8ELNS1_3repE0EEENS1_30default_config_static_selectorELNS0_4arch9wavefront6targetE0EEEvSR_: ; @_ZN7rocprim17ROCPRIM_400000_NS6detail17trampoline_kernelINS0_14default_configENS1_32segmented_reduce_config_selectorIN3c104HalfEEEZNS1_21segmented_reduce_implIS3_PKS6_PS6_PKiS6_N6hipcub16HIPCUB_304000_NS6detail27convert_result_type_wrapperISA_SB_N2at6native12_GLOBAL__N_110CustomProdEEEEE10hipError_tPvRmT0_T1_jT2_SS_T4_T3_P12ihipStream_tbEUlT_E_NS1_11comp_targetILNS1_3genE4ELNS1_11target_archE910ELNS1_3gpuE8ELNS1_3repE0EEENS1_30default_config_static_selectorELNS0_4arch9wavefront6targetE0EEEvSR_
; %bb.0:
	.section	.rodata,"a",@progbits
	.p2align	6, 0x0
	.amdhsa_kernel _ZN7rocprim17ROCPRIM_400000_NS6detail17trampoline_kernelINS0_14default_configENS1_32segmented_reduce_config_selectorIN3c104HalfEEEZNS1_21segmented_reduce_implIS3_PKS6_PS6_PKiS6_N6hipcub16HIPCUB_304000_NS6detail27convert_result_type_wrapperISA_SB_N2at6native12_GLOBAL__N_110CustomProdEEEEE10hipError_tPvRmT0_T1_jT2_SS_T4_T3_P12ihipStream_tbEUlT_E_NS1_11comp_targetILNS1_3genE4ELNS1_11target_archE910ELNS1_3gpuE8ELNS1_3repE0EEENS1_30default_config_static_selectorELNS0_4arch9wavefront6targetE0EEEvSR_
		.amdhsa_group_segment_fixed_size 0
		.amdhsa_private_segment_fixed_size 0
		.amdhsa_kernarg_size 48
		.amdhsa_user_sgpr_count 15
		.amdhsa_user_sgpr_dispatch_ptr 0
		.amdhsa_user_sgpr_queue_ptr 0
		.amdhsa_user_sgpr_kernarg_segment_ptr 1
		.amdhsa_user_sgpr_dispatch_id 0
		.amdhsa_user_sgpr_private_segment_size 0
		.amdhsa_wavefront_size32 1
		.amdhsa_uses_dynamic_stack 0
		.amdhsa_enable_private_segment 0
		.amdhsa_system_sgpr_workgroup_id_x 1
		.amdhsa_system_sgpr_workgroup_id_y 0
		.amdhsa_system_sgpr_workgroup_id_z 0
		.amdhsa_system_sgpr_workgroup_info 0
		.amdhsa_system_vgpr_workitem_id 0
		.amdhsa_next_free_vgpr 1
		.amdhsa_next_free_sgpr 1
		.amdhsa_reserve_vcc 0
		.amdhsa_float_round_mode_32 0
		.amdhsa_float_round_mode_16_64 0
		.amdhsa_float_denorm_mode_32 3
		.amdhsa_float_denorm_mode_16_64 3
		.amdhsa_dx10_clamp 1
		.amdhsa_ieee_mode 1
		.amdhsa_fp16_overflow 0
		.amdhsa_workgroup_processor_mode 1
		.amdhsa_memory_ordered 1
		.amdhsa_forward_progress 0
		.amdhsa_shared_vgpr_count 0
		.amdhsa_exception_fp_ieee_invalid_op 0
		.amdhsa_exception_fp_denorm_src 0
		.amdhsa_exception_fp_ieee_div_zero 0
		.amdhsa_exception_fp_ieee_overflow 0
		.amdhsa_exception_fp_ieee_underflow 0
		.amdhsa_exception_fp_ieee_inexact 0
		.amdhsa_exception_int_div_zero 0
	.end_amdhsa_kernel
	.section	.text._ZN7rocprim17ROCPRIM_400000_NS6detail17trampoline_kernelINS0_14default_configENS1_32segmented_reduce_config_selectorIN3c104HalfEEEZNS1_21segmented_reduce_implIS3_PKS6_PS6_PKiS6_N6hipcub16HIPCUB_304000_NS6detail27convert_result_type_wrapperISA_SB_N2at6native12_GLOBAL__N_110CustomProdEEEEE10hipError_tPvRmT0_T1_jT2_SS_T4_T3_P12ihipStream_tbEUlT_E_NS1_11comp_targetILNS1_3genE4ELNS1_11target_archE910ELNS1_3gpuE8ELNS1_3repE0EEENS1_30default_config_static_selectorELNS0_4arch9wavefront6targetE0EEEvSR_,"axG",@progbits,_ZN7rocprim17ROCPRIM_400000_NS6detail17trampoline_kernelINS0_14default_configENS1_32segmented_reduce_config_selectorIN3c104HalfEEEZNS1_21segmented_reduce_implIS3_PKS6_PS6_PKiS6_N6hipcub16HIPCUB_304000_NS6detail27convert_result_type_wrapperISA_SB_N2at6native12_GLOBAL__N_110CustomProdEEEEE10hipError_tPvRmT0_T1_jT2_SS_T4_T3_P12ihipStream_tbEUlT_E_NS1_11comp_targetILNS1_3genE4ELNS1_11target_archE910ELNS1_3gpuE8ELNS1_3repE0EEENS1_30default_config_static_selectorELNS0_4arch9wavefront6targetE0EEEvSR_,comdat
.Lfunc_end105:
	.size	_ZN7rocprim17ROCPRIM_400000_NS6detail17trampoline_kernelINS0_14default_configENS1_32segmented_reduce_config_selectorIN3c104HalfEEEZNS1_21segmented_reduce_implIS3_PKS6_PS6_PKiS6_N6hipcub16HIPCUB_304000_NS6detail27convert_result_type_wrapperISA_SB_N2at6native12_GLOBAL__N_110CustomProdEEEEE10hipError_tPvRmT0_T1_jT2_SS_T4_T3_P12ihipStream_tbEUlT_E_NS1_11comp_targetILNS1_3genE4ELNS1_11target_archE910ELNS1_3gpuE8ELNS1_3repE0EEENS1_30default_config_static_selectorELNS0_4arch9wavefront6targetE0EEEvSR_, .Lfunc_end105-_ZN7rocprim17ROCPRIM_400000_NS6detail17trampoline_kernelINS0_14default_configENS1_32segmented_reduce_config_selectorIN3c104HalfEEEZNS1_21segmented_reduce_implIS3_PKS6_PS6_PKiS6_N6hipcub16HIPCUB_304000_NS6detail27convert_result_type_wrapperISA_SB_N2at6native12_GLOBAL__N_110CustomProdEEEEE10hipError_tPvRmT0_T1_jT2_SS_T4_T3_P12ihipStream_tbEUlT_E_NS1_11comp_targetILNS1_3genE4ELNS1_11target_archE910ELNS1_3gpuE8ELNS1_3repE0EEENS1_30default_config_static_selectorELNS0_4arch9wavefront6targetE0EEEvSR_
                                        ; -- End function
	.section	.AMDGPU.csdata,"",@progbits
; Kernel info:
; codeLenInByte = 0
; NumSgprs: 0
; NumVgprs: 0
; ScratchSize: 0
; MemoryBound: 0
; FloatMode: 240
; IeeeMode: 1
; LDSByteSize: 0 bytes/workgroup (compile time only)
; SGPRBlocks: 0
; VGPRBlocks: 0
; NumSGPRsForWavesPerEU: 1
; NumVGPRsForWavesPerEU: 1
; Occupancy: 16
; WaveLimiterHint : 0
; COMPUTE_PGM_RSRC2:SCRATCH_EN: 0
; COMPUTE_PGM_RSRC2:USER_SGPR: 15
; COMPUTE_PGM_RSRC2:TRAP_HANDLER: 0
; COMPUTE_PGM_RSRC2:TGID_X_EN: 1
; COMPUTE_PGM_RSRC2:TGID_Y_EN: 0
; COMPUTE_PGM_RSRC2:TGID_Z_EN: 0
; COMPUTE_PGM_RSRC2:TIDIG_COMP_CNT: 0
	.section	.text._ZN7rocprim17ROCPRIM_400000_NS6detail17trampoline_kernelINS0_14default_configENS1_32segmented_reduce_config_selectorIN3c104HalfEEEZNS1_21segmented_reduce_implIS3_PKS6_PS6_PKiS6_N6hipcub16HIPCUB_304000_NS6detail27convert_result_type_wrapperISA_SB_N2at6native12_GLOBAL__N_110CustomProdEEEEE10hipError_tPvRmT0_T1_jT2_SS_T4_T3_P12ihipStream_tbEUlT_E_NS1_11comp_targetILNS1_3genE3ELNS1_11target_archE908ELNS1_3gpuE7ELNS1_3repE0EEENS1_30default_config_static_selectorELNS0_4arch9wavefront6targetE0EEEvSR_,"axG",@progbits,_ZN7rocprim17ROCPRIM_400000_NS6detail17trampoline_kernelINS0_14default_configENS1_32segmented_reduce_config_selectorIN3c104HalfEEEZNS1_21segmented_reduce_implIS3_PKS6_PS6_PKiS6_N6hipcub16HIPCUB_304000_NS6detail27convert_result_type_wrapperISA_SB_N2at6native12_GLOBAL__N_110CustomProdEEEEE10hipError_tPvRmT0_T1_jT2_SS_T4_T3_P12ihipStream_tbEUlT_E_NS1_11comp_targetILNS1_3genE3ELNS1_11target_archE908ELNS1_3gpuE7ELNS1_3repE0EEENS1_30default_config_static_selectorELNS0_4arch9wavefront6targetE0EEEvSR_,comdat
	.globl	_ZN7rocprim17ROCPRIM_400000_NS6detail17trampoline_kernelINS0_14default_configENS1_32segmented_reduce_config_selectorIN3c104HalfEEEZNS1_21segmented_reduce_implIS3_PKS6_PS6_PKiS6_N6hipcub16HIPCUB_304000_NS6detail27convert_result_type_wrapperISA_SB_N2at6native12_GLOBAL__N_110CustomProdEEEEE10hipError_tPvRmT0_T1_jT2_SS_T4_T3_P12ihipStream_tbEUlT_E_NS1_11comp_targetILNS1_3genE3ELNS1_11target_archE908ELNS1_3gpuE7ELNS1_3repE0EEENS1_30default_config_static_selectorELNS0_4arch9wavefront6targetE0EEEvSR_ ; -- Begin function _ZN7rocprim17ROCPRIM_400000_NS6detail17trampoline_kernelINS0_14default_configENS1_32segmented_reduce_config_selectorIN3c104HalfEEEZNS1_21segmented_reduce_implIS3_PKS6_PS6_PKiS6_N6hipcub16HIPCUB_304000_NS6detail27convert_result_type_wrapperISA_SB_N2at6native12_GLOBAL__N_110CustomProdEEEEE10hipError_tPvRmT0_T1_jT2_SS_T4_T3_P12ihipStream_tbEUlT_E_NS1_11comp_targetILNS1_3genE3ELNS1_11target_archE908ELNS1_3gpuE7ELNS1_3repE0EEENS1_30default_config_static_selectorELNS0_4arch9wavefront6targetE0EEEvSR_
	.p2align	8
	.type	_ZN7rocprim17ROCPRIM_400000_NS6detail17trampoline_kernelINS0_14default_configENS1_32segmented_reduce_config_selectorIN3c104HalfEEEZNS1_21segmented_reduce_implIS3_PKS6_PS6_PKiS6_N6hipcub16HIPCUB_304000_NS6detail27convert_result_type_wrapperISA_SB_N2at6native12_GLOBAL__N_110CustomProdEEEEE10hipError_tPvRmT0_T1_jT2_SS_T4_T3_P12ihipStream_tbEUlT_E_NS1_11comp_targetILNS1_3genE3ELNS1_11target_archE908ELNS1_3gpuE7ELNS1_3repE0EEENS1_30default_config_static_selectorELNS0_4arch9wavefront6targetE0EEEvSR_,@function
_ZN7rocprim17ROCPRIM_400000_NS6detail17trampoline_kernelINS0_14default_configENS1_32segmented_reduce_config_selectorIN3c104HalfEEEZNS1_21segmented_reduce_implIS3_PKS6_PS6_PKiS6_N6hipcub16HIPCUB_304000_NS6detail27convert_result_type_wrapperISA_SB_N2at6native12_GLOBAL__N_110CustomProdEEEEE10hipError_tPvRmT0_T1_jT2_SS_T4_T3_P12ihipStream_tbEUlT_E_NS1_11comp_targetILNS1_3genE3ELNS1_11target_archE908ELNS1_3gpuE7ELNS1_3repE0EEENS1_30default_config_static_selectorELNS0_4arch9wavefront6targetE0EEEvSR_: ; @_ZN7rocprim17ROCPRIM_400000_NS6detail17trampoline_kernelINS0_14default_configENS1_32segmented_reduce_config_selectorIN3c104HalfEEEZNS1_21segmented_reduce_implIS3_PKS6_PS6_PKiS6_N6hipcub16HIPCUB_304000_NS6detail27convert_result_type_wrapperISA_SB_N2at6native12_GLOBAL__N_110CustomProdEEEEE10hipError_tPvRmT0_T1_jT2_SS_T4_T3_P12ihipStream_tbEUlT_E_NS1_11comp_targetILNS1_3genE3ELNS1_11target_archE908ELNS1_3gpuE7ELNS1_3repE0EEENS1_30default_config_static_selectorELNS0_4arch9wavefront6targetE0EEEvSR_
; %bb.0:
	.section	.rodata,"a",@progbits
	.p2align	6, 0x0
	.amdhsa_kernel _ZN7rocprim17ROCPRIM_400000_NS6detail17trampoline_kernelINS0_14default_configENS1_32segmented_reduce_config_selectorIN3c104HalfEEEZNS1_21segmented_reduce_implIS3_PKS6_PS6_PKiS6_N6hipcub16HIPCUB_304000_NS6detail27convert_result_type_wrapperISA_SB_N2at6native12_GLOBAL__N_110CustomProdEEEEE10hipError_tPvRmT0_T1_jT2_SS_T4_T3_P12ihipStream_tbEUlT_E_NS1_11comp_targetILNS1_3genE3ELNS1_11target_archE908ELNS1_3gpuE7ELNS1_3repE0EEENS1_30default_config_static_selectorELNS0_4arch9wavefront6targetE0EEEvSR_
		.amdhsa_group_segment_fixed_size 0
		.amdhsa_private_segment_fixed_size 0
		.amdhsa_kernarg_size 48
		.amdhsa_user_sgpr_count 15
		.amdhsa_user_sgpr_dispatch_ptr 0
		.amdhsa_user_sgpr_queue_ptr 0
		.amdhsa_user_sgpr_kernarg_segment_ptr 1
		.amdhsa_user_sgpr_dispatch_id 0
		.amdhsa_user_sgpr_private_segment_size 0
		.amdhsa_wavefront_size32 1
		.amdhsa_uses_dynamic_stack 0
		.amdhsa_enable_private_segment 0
		.amdhsa_system_sgpr_workgroup_id_x 1
		.amdhsa_system_sgpr_workgroup_id_y 0
		.amdhsa_system_sgpr_workgroup_id_z 0
		.amdhsa_system_sgpr_workgroup_info 0
		.amdhsa_system_vgpr_workitem_id 0
		.amdhsa_next_free_vgpr 1
		.amdhsa_next_free_sgpr 1
		.amdhsa_reserve_vcc 0
		.amdhsa_float_round_mode_32 0
		.amdhsa_float_round_mode_16_64 0
		.amdhsa_float_denorm_mode_32 3
		.amdhsa_float_denorm_mode_16_64 3
		.amdhsa_dx10_clamp 1
		.amdhsa_ieee_mode 1
		.amdhsa_fp16_overflow 0
		.amdhsa_workgroup_processor_mode 1
		.amdhsa_memory_ordered 1
		.amdhsa_forward_progress 0
		.amdhsa_shared_vgpr_count 0
		.amdhsa_exception_fp_ieee_invalid_op 0
		.amdhsa_exception_fp_denorm_src 0
		.amdhsa_exception_fp_ieee_div_zero 0
		.amdhsa_exception_fp_ieee_overflow 0
		.amdhsa_exception_fp_ieee_underflow 0
		.amdhsa_exception_fp_ieee_inexact 0
		.amdhsa_exception_int_div_zero 0
	.end_amdhsa_kernel
	.section	.text._ZN7rocprim17ROCPRIM_400000_NS6detail17trampoline_kernelINS0_14default_configENS1_32segmented_reduce_config_selectorIN3c104HalfEEEZNS1_21segmented_reduce_implIS3_PKS6_PS6_PKiS6_N6hipcub16HIPCUB_304000_NS6detail27convert_result_type_wrapperISA_SB_N2at6native12_GLOBAL__N_110CustomProdEEEEE10hipError_tPvRmT0_T1_jT2_SS_T4_T3_P12ihipStream_tbEUlT_E_NS1_11comp_targetILNS1_3genE3ELNS1_11target_archE908ELNS1_3gpuE7ELNS1_3repE0EEENS1_30default_config_static_selectorELNS0_4arch9wavefront6targetE0EEEvSR_,"axG",@progbits,_ZN7rocprim17ROCPRIM_400000_NS6detail17trampoline_kernelINS0_14default_configENS1_32segmented_reduce_config_selectorIN3c104HalfEEEZNS1_21segmented_reduce_implIS3_PKS6_PS6_PKiS6_N6hipcub16HIPCUB_304000_NS6detail27convert_result_type_wrapperISA_SB_N2at6native12_GLOBAL__N_110CustomProdEEEEE10hipError_tPvRmT0_T1_jT2_SS_T4_T3_P12ihipStream_tbEUlT_E_NS1_11comp_targetILNS1_3genE3ELNS1_11target_archE908ELNS1_3gpuE7ELNS1_3repE0EEENS1_30default_config_static_selectorELNS0_4arch9wavefront6targetE0EEEvSR_,comdat
.Lfunc_end106:
	.size	_ZN7rocprim17ROCPRIM_400000_NS6detail17trampoline_kernelINS0_14default_configENS1_32segmented_reduce_config_selectorIN3c104HalfEEEZNS1_21segmented_reduce_implIS3_PKS6_PS6_PKiS6_N6hipcub16HIPCUB_304000_NS6detail27convert_result_type_wrapperISA_SB_N2at6native12_GLOBAL__N_110CustomProdEEEEE10hipError_tPvRmT0_T1_jT2_SS_T4_T3_P12ihipStream_tbEUlT_E_NS1_11comp_targetILNS1_3genE3ELNS1_11target_archE908ELNS1_3gpuE7ELNS1_3repE0EEENS1_30default_config_static_selectorELNS0_4arch9wavefront6targetE0EEEvSR_, .Lfunc_end106-_ZN7rocprim17ROCPRIM_400000_NS6detail17trampoline_kernelINS0_14default_configENS1_32segmented_reduce_config_selectorIN3c104HalfEEEZNS1_21segmented_reduce_implIS3_PKS6_PS6_PKiS6_N6hipcub16HIPCUB_304000_NS6detail27convert_result_type_wrapperISA_SB_N2at6native12_GLOBAL__N_110CustomProdEEEEE10hipError_tPvRmT0_T1_jT2_SS_T4_T3_P12ihipStream_tbEUlT_E_NS1_11comp_targetILNS1_3genE3ELNS1_11target_archE908ELNS1_3gpuE7ELNS1_3repE0EEENS1_30default_config_static_selectorELNS0_4arch9wavefront6targetE0EEEvSR_
                                        ; -- End function
	.section	.AMDGPU.csdata,"",@progbits
; Kernel info:
; codeLenInByte = 0
; NumSgprs: 0
; NumVgprs: 0
; ScratchSize: 0
; MemoryBound: 0
; FloatMode: 240
; IeeeMode: 1
; LDSByteSize: 0 bytes/workgroup (compile time only)
; SGPRBlocks: 0
; VGPRBlocks: 0
; NumSGPRsForWavesPerEU: 1
; NumVGPRsForWavesPerEU: 1
; Occupancy: 16
; WaveLimiterHint : 0
; COMPUTE_PGM_RSRC2:SCRATCH_EN: 0
; COMPUTE_PGM_RSRC2:USER_SGPR: 15
; COMPUTE_PGM_RSRC2:TRAP_HANDLER: 0
; COMPUTE_PGM_RSRC2:TGID_X_EN: 1
; COMPUTE_PGM_RSRC2:TGID_Y_EN: 0
; COMPUTE_PGM_RSRC2:TGID_Z_EN: 0
; COMPUTE_PGM_RSRC2:TIDIG_COMP_CNT: 0
	.section	.text._ZN7rocprim17ROCPRIM_400000_NS6detail17trampoline_kernelINS0_14default_configENS1_32segmented_reduce_config_selectorIN3c104HalfEEEZNS1_21segmented_reduce_implIS3_PKS6_PS6_PKiS6_N6hipcub16HIPCUB_304000_NS6detail27convert_result_type_wrapperISA_SB_N2at6native12_GLOBAL__N_110CustomProdEEEEE10hipError_tPvRmT0_T1_jT2_SS_T4_T3_P12ihipStream_tbEUlT_E_NS1_11comp_targetILNS1_3genE2ELNS1_11target_archE906ELNS1_3gpuE6ELNS1_3repE0EEENS1_30default_config_static_selectorELNS0_4arch9wavefront6targetE0EEEvSR_,"axG",@progbits,_ZN7rocprim17ROCPRIM_400000_NS6detail17trampoline_kernelINS0_14default_configENS1_32segmented_reduce_config_selectorIN3c104HalfEEEZNS1_21segmented_reduce_implIS3_PKS6_PS6_PKiS6_N6hipcub16HIPCUB_304000_NS6detail27convert_result_type_wrapperISA_SB_N2at6native12_GLOBAL__N_110CustomProdEEEEE10hipError_tPvRmT0_T1_jT2_SS_T4_T3_P12ihipStream_tbEUlT_E_NS1_11comp_targetILNS1_3genE2ELNS1_11target_archE906ELNS1_3gpuE6ELNS1_3repE0EEENS1_30default_config_static_selectorELNS0_4arch9wavefront6targetE0EEEvSR_,comdat
	.globl	_ZN7rocprim17ROCPRIM_400000_NS6detail17trampoline_kernelINS0_14default_configENS1_32segmented_reduce_config_selectorIN3c104HalfEEEZNS1_21segmented_reduce_implIS3_PKS6_PS6_PKiS6_N6hipcub16HIPCUB_304000_NS6detail27convert_result_type_wrapperISA_SB_N2at6native12_GLOBAL__N_110CustomProdEEEEE10hipError_tPvRmT0_T1_jT2_SS_T4_T3_P12ihipStream_tbEUlT_E_NS1_11comp_targetILNS1_3genE2ELNS1_11target_archE906ELNS1_3gpuE6ELNS1_3repE0EEENS1_30default_config_static_selectorELNS0_4arch9wavefront6targetE0EEEvSR_ ; -- Begin function _ZN7rocprim17ROCPRIM_400000_NS6detail17trampoline_kernelINS0_14default_configENS1_32segmented_reduce_config_selectorIN3c104HalfEEEZNS1_21segmented_reduce_implIS3_PKS6_PS6_PKiS6_N6hipcub16HIPCUB_304000_NS6detail27convert_result_type_wrapperISA_SB_N2at6native12_GLOBAL__N_110CustomProdEEEEE10hipError_tPvRmT0_T1_jT2_SS_T4_T3_P12ihipStream_tbEUlT_E_NS1_11comp_targetILNS1_3genE2ELNS1_11target_archE906ELNS1_3gpuE6ELNS1_3repE0EEENS1_30default_config_static_selectorELNS0_4arch9wavefront6targetE0EEEvSR_
	.p2align	8
	.type	_ZN7rocprim17ROCPRIM_400000_NS6detail17trampoline_kernelINS0_14default_configENS1_32segmented_reduce_config_selectorIN3c104HalfEEEZNS1_21segmented_reduce_implIS3_PKS6_PS6_PKiS6_N6hipcub16HIPCUB_304000_NS6detail27convert_result_type_wrapperISA_SB_N2at6native12_GLOBAL__N_110CustomProdEEEEE10hipError_tPvRmT0_T1_jT2_SS_T4_T3_P12ihipStream_tbEUlT_E_NS1_11comp_targetILNS1_3genE2ELNS1_11target_archE906ELNS1_3gpuE6ELNS1_3repE0EEENS1_30default_config_static_selectorELNS0_4arch9wavefront6targetE0EEEvSR_,@function
_ZN7rocprim17ROCPRIM_400000_NS6detail17trampoline_kernelINS0_14default_configENS1_32segmented_reduce_config_selectorIN3c104HalfEEEZNS1_21segmented_reduce_implIS3_PKS6_PS6_PKiS6_N6hipcub16HIPCUB_304000_NS6detail27convert_result_type_wrapperISA_SB_N2at6native12_GLOBAL__N_110CustomProdEEEEE10hipError_tPvRmT0_T1_jT2_SS_T4_T3_P12ihipStream_tbEUlT_E_NS1_11comp_targetILNS1_3genE2ELNS1_11target_archE906ELNS1_3gpuE6ELNS1_3repE0EEENS1_30default_config_static_selectorELNS0_4arch9wavefront6targetE0EEEvSR_: ; @_ZN7rocprim17ROCPRIM_400000_NS6detail17trampoline_kernelINS0_14default_configENS1_32segmented_reduce_config_selectorIN3c104HalfEEEZNS1_21segmented_reduce_implIS3_PKS6_PS6_PKiS6_N6hipcub16HIPCUB_304000_NS6detail27convert_result_type_wrapperISA_SB_N2at6native12_GLOBAL__N_110CustomProdEEEEE10hipError_tPvRmT0_T1_jT2_SS_T4_T3_P12ihipStream_tbEUlT_E_NS1_11comp_targetILNS1_3genE2ELNS1_11target_archE906ELNS1_3gpuE6ELNS1_3repE0EEENS1_30default_config_static_selectorELNS0_4arch9wavefront6targetE0EEEvSR_
; %bb.0:
	.section	.rodata,"a",@progbits
	.p2align	6, 0x0
	.amdhsa_kernel _ZN7rocprim17ROCPRIM_400000_NS6detail17trampoline_kernelINS0_14default_configENS1_32segmented_reduce_config_selectorIN3c104HalfEEEZNS1_21segmented_reduce_implIS3_PKS6_PS6_PKiS6_N6hipcub16HIPCUB_304000_NS6detail27convert_result_type_wrapperISA_SB_N2at6native12_GLOBAL__N_110CustomProdEEEEE10hipError_tPvRmT0_T1_jT2_SS_T4_T3_P12ihipStream_tbEUlT_E_NS1_11comp_targetILNS1_3genE2ELNS1_11target_archE906ELNS1_3gpuE6ELNS1_3repE0EEENS1_30default_config_static_selectorELNS0_4arch9wavefront6targetE0EEEvSR_
		.amdhsa_group_segment_fixed_size 0
		.amdhsa_private_segment_fixed_size 0
		.amdhsa_kernarg_size 48
		.amdhsa_user_sgpr_count 15
		.amdhsa_user_sgpr_dispatch_ptr 0
		.amdhsa_user_sgpr_queue_ptr 0
		.amdhsa_user_sgpr_kernarg_segment_ptr 1
		.amdhsa_user_sgpr_dispatch_id 0
		.amdhsa_user_sgpr_private_segment_size 0
		.amdhsa_wavefront_size32 1
		.amdhsa_uses_dynamic_stack 0
		.amdhsa_enable_private_segment 0
		.amdhsa_system_sgpr_workgroup_id_x 1
		.amdhsa_system_sgpr_workgroup_id_y 0
		.amdhsa_system_sgpr_workgroup_id_z 0
		.amdhsa_system_sgpr_workgroup_info 0
		.amdhsa_system_vgpr_workitem_id 0
		.amdhsa_next_free_vgpr 1
		.amdhsa_next_free_sgpr 1
		.amdhsa_reserve_vcc 0
		.amdhsa_float_round_mode_32 0
		.amdhsa_float_round_mode_16_64 0
		.amdhsa_float_denorm_mode_32 3
		.amdhsa_float_denorm_mode_16_64 3
		.amdhsa_dx10_clamp 1
		.amdhsa_ieee_mode 1
		.amdhsa_fp16_overflow 0
		.amdhsa_workgroup_processor_mode 1
		.amdhsa_memory_ordered 1
		.amdhsa_forward_progress 0
		.amdhsa_shared_vgpr_count 0
		.amdhsa_exception_fp_ieee_invalid_op 0
		.amdhsa_exception_fp_denorm_src 0
		.amdhsa_exception_fp_ieee_div_zero 0
		.amdhsa_exception_fp_ieee_overflow 0
		.amdhsa_exception_fp_ieee_underflow 0
		.amdhsa_exception_fp_ieee_inexact 0
		.amdhsa_exception_int_div_zero 0
	.end_amdhsa_kernel
	.section	.text._ZN7rocprim17ROCPRIM_400000_NS6detail17trampoline_kernelINS0_14default_configENS1_32segmented_reduce_config_selectorIN3c104HalfEEEZNS1_21segmented_reduce_implIS3_PKS6_PS6_PKiS6_N6hipcub16HIPCUB_304000_NS6detail27convert_result_type_wrapperISA_SB_N2at6native12_GLOBAL__N_110CustomProdEEEEE10hipError_tPvRmT0_T1_jT2_SS_T4_T3_P12ihipStream_tbEUlT_E_NS1_11comp_targetILNS1_3genE2ELNS1_11target_archE906ELNS1_3gpuE6ELNS1_3repE0EEENS1_30default_config_static_selectorELNS0_4arch9wavefront6targetE0EEEvSR_,"axG",@progbits,_ZN7rocprim17ROCPRIM_400000_NS6detail17trampoline_kernelINS0_14default_configENS1_32segmented_reduce_config_selectorIN3c104HalfEEEZNS1_21segmented_reduce_implIS3_PKS6_PS6_PKiS6_N6hipcub16HIPCUB_304000_NS6detail27convert_result_type_wrapperISA_SB_N2at6native12_GLOBAL__N_110CustomProdEEEEE10hipError_tPvRmT0_T1_jT2_SS_T4_T3_P12ihipStream_tbEUlT_E_NS1_11comp_targetILNS1_3genE2ELNS1_11target_archE906ELNS1_3gpuE6ELNS1_3repE0EEENS1_30default_config_static_selectorELNS0_4arch9wavefront6targetE0EEEvSR_,comdat
.Lfunc_end107:
	.size	_ZN7rocprim17ROCPRIM_400000_NS6detail17trampoline_kernelINS0_14default_configENS1_32segmented_reduce_config_selectorIN3c104HalfEEEZNS1_21segmented_reduce_implIS3_PKS6_PS6_PKiS6_N6hipcub16HIPCUB_304000_NS6detail27convert_result_type_wrapperISA_SB_N2at6native12_GLOBAL__N_110CustomProdEEEEE10hipError_tPvRmT0_T1_jT2_SS_T4_T3_P12ihipStream_tbEUlT_E_NS1_11comp_targetILNS1_3genE2ELNS1_11target_archE906ELNS1_3gpuE6ELNS1_3repE0EEENS1_30default_config_static_selectorELNS0_4arch9wavefront6targetE0EEEvSR_, .Lfunc_end107-_ZN7rocprim17ROCPRIM_400000_NS6detail17trampoline_kernelINS0_14default_configENS1_32segmented_reduce_config_selectorIN3c104HalfEEEZNS1_21segmented_reduce_implIS3_PKS6_PS6_PKiS6_N6hipcub16HIPCUB_304000_NS6detail27convert_result_type_wrapperISA_SB_N2at6native12_GLOBAL__N_110CustomProdEEEEE10hipError_tPvRmT0_T1_jT2_SS_T4_T3_P12ihipStream_tbEUlT_E_NS1_11comp_targetILNS1_3genE2ELNS1_11target_archE906ELNS1_3gpuE6ELNS1_3repE0EEENS1_30default_config_static_selectorELNS0_4arch9wavefront6targetE0EEEvSR_
                                        ; -- End function
	.section	.AMDGPU.csdata,"",@progbits
; Kernel info:
; codeLenInByte = 0
; NumSgprs: 0
; NumVgprs: 0
; ScratchSize: 0
; MemoryBound: 0
; FloatMode: 240
; IeeeMode: 1
; LDSByteSize: 0 bytes/workgroup (compile time only)
; SGPRBlocks: 0
; VGPRBlocks: 0
; NumSGPRsForWavesPerEU: 1
; NumVGPRsForWavesPerEU: 1
; Occupancy: 16
; WaveLimiterHint : 0
; COMPUTE_PGM_RSRC2:SCRATCH_EN: 0
; COMPUTE_PGM_RSRC2:USER_SGPR: 15
; COMPUTE_PGM_RSRC2:TRAP_HANDLER: 0
; COMPUTE_PGM_RSRC2:TGID_X_EN: 1
; COMPUTE_PGM_RSRC2:TGID_Y_EN: 0
; COMPUTE_PGM_RSRC2:TGID_Z_EN: 0
; COMPUTE_PGM_RSRC2:TIDIG_COMP_CNT: 0
	.section	.text._ZN7rocprim17ROCPRIM_400000_NS6detail17trampoline_kernelINS0_14default_configENS1_32segmented_reduce_config_selectorIN3c104HalfEEEZNS1_21segmented_reduce_implIS3_PKS6_PS6_PKiS6_N6hipcub16HIPCUB_304000_NS6detail27convert_result_type_wrapperISA_SB_N2at6native12_GLOBAL__N_110CustomProdEEEEE10hipError_tPvRmT0_T1_jT2_SS_T4_T3_P12ihipStream_tbEUlT_E_NS1_11comp_targetILNS1_3genE9ELNS1_11target_archE1100ELNS1_3gpuE3ELNS1_3repE0EEENS1_30default_config_static_selectorELNS0_4arch9wavefront6targetE0EEEvSR_,"axG",@progbits,_ZN7rocprim17ROCPRIM_400000_NS6detail17trampoline_kernelINS0_14default_configENS1_32segmented_reduce_config_selectorIN3c104HalfEEEZNS1_21segmented_reduce_implIS3_PKS6_PS6_PKiS6_N6hipcub16HIPCUB_304000_NS6detail27convert_result_type_wrapperISA_SB_N2at6native12_GLOBAL__N_110CustomProdEEEEE10hipError_tPvRmT0_T1_jT2_SS_T4_T3_P12ihipStream_tbEUlT_E_NS1_11comp_targetILNS1_3genE9ELNS1_11target_archE1100ELNS1_3gpuE3ELNS1_3repE0EEENS1_30default_config_static_selectorELNS0_4arch9wavefront6targetE0EEEvSR_,comdat
	.globl	_ZN7rocprim17ROCPRIM_400000_NS6detail17trampoline_kernelINS0_14default_configENS1_32segmented_reduce_config_selectorIN3c104HalfEEEZNS1_21segmented_reduce_implIS3_PKS6_PS6_PKiS6_N6hipcub16HIPCUB_304000_NS6detail27convert_result_type_wrapperISA_SB_N2at6native12_GLOBAL__N_110CustomProdEEEEE10hipError_tPvRmT0_T1_jT2_SS_T4_T3_P12ihipStream_tbEUlT_E_NS1_11comp_targetILNS1_3genE9ELNS1_11target_archE1100ELNS1_3gpuE3ELNS1_3repE0EEENS1_30default_config_static_selectorELNS0_4arch9wavefront6targetE0EEEvSR_ ; -- Begin function _ZN7rocprim17ROCPRIM_400000_NS6detail17trampoline_kernelINS0_14default_configENS1_32segmented_reduce_config_selectorIN3c104HalfEEEZNS1_21segmented_reduce_implIS3_PKS6_PS6_PKiS6_N6hipcub16HIPCUB_304000_NS6detail27convert_result_type_wrapperISA_SB_N2at6native12_GLOBAL__N_110CustomProdEEEEE10hipError_tPvRmT0_T1_jT2_SS_T4_T3_P12ihipStream_tbEUlT_E_NS1_11comp_targetILNS1_3genE9ELNS1_11target_archE1100ELNS1_3gpuE3ELNS1_3repE0EEENS1_30default_config_static_selectorELNS0_4arch9wavefront6targetE0EEEvSR_
	.p2align	8
	.type	_ZN7rocprim17ROCPRIM_400000_NS6detail17trampoline_kernelINS0_14default_configENS1_32segmented_reduce_config_selectorIN3c104HalfEEEZNS1_21segmented_reduce_implIS3_PKS6_PS6_PKiS6_N6hipcub16HIPCUB_304000_NS6detail27convert_result_type_wrapperISA_SB_N2at6native12_GLOBAL__N_110CustomProdEEEEE10hipError_tPvRmT0_T1_jT2_SS_T4_T3_P12ihipStream_tbEUlT_E_NS1_11comp_targetILNS1_3genE9ELNS1_11target_archE1100ELNS1_3gpuE3ELNS1_3repE0EEENS1_30default_config_static_selectorELNS0_4arch9wavefront6targetE0EEEvSR_,@function
_ZN7rocprim17ROCPRIM_400000_NS6detail17trampoline_kernelINS0_14default_configENS1_32segmented_reduce_config_selectorIN3c104HalfEEEZNS1_21segmented_reduce_implIS3_PKS6_PS6_PKiS6_N6hipcub16HIPCUB_304000_NS6detail27convert_result_type_wrapperISA_SB_N2at6native12_GLOBAL__N_110CustomProdEEEEE10hipError_tPvRmT0_T1_jT2_SS_T4_T3_P12ihipStream_tbEUlT_E_NS1_11comp_targetILNS1_3genE9ELNS1_11target_archE1100ELNS1_3gpuE3ELNS1_3repE0EEENS1_30default_config_static_selectorELNS0_4arch9wavefront6targetE0EEEvSR_: ; @_ZN7rocprim17ROCPRIM_400000_NS6detail17trampoline_kernelINS0_14default_configENS1_32segmented_reduce_config_selectorIN3c104HalfEEEZNS1_21segmented_reduce_implIS3_PKS6_PS6_PKiS6_N6hipcub16HIPCUB_304000_NS6detail27convert_result_type_wrapperISA_SB_N2at6native12_GLOBAL__N_110CustomProdEEEEE10hipError_tPvRmT0_T1_jT2_SS_T4_T3_P12ihipStream_tbEUlT_E_NS1_11comp_targetILNS1_3genE9ELNS1_11target_archE1100ELNS1_3gpuE3ELNS1_3repE0EEENS1_30default_config_static_selectorELNS0_4arch9wavefront6targetE0EEEvSR_
; %bb.0:
	s_clause 0x2
	s_load_b256 s[16:23], s[0:1], 0x0
	s_load_b32 s4, s[0:1], 0x28
	s_load_b64 s[0:1], s[0:1], 0x20
	s_mov_b32 s24, s15
	s_mov_b32 s25, 0
	v_cmp_eq_u32_e32 vcc_lo, 0, v0
	s_waitcnt lgkmcnt(0)
	s_lshl_b64 s[2:3], s[20:21], 1
	s_lshr_b32 s15, s4, 16
	s_add_u32 s26, s18, s2
	s_addc_u32 s27, s19, s3
	s_lshl_b64 s[2:3], s[20:21], 2
	s_delay_alu instid0(SALU_CYCLE_1) | instskip(SKIP_4) | instid1(SALU_CYCLE_1)
	s_add_u32 s4, s22, s2
	s_addc_u32 s5, s23, s3
	s_add_u32 s6, s0, s2
	s_addc_u32 s7, s1, s3
	s_lshl_b64 s[0:1], s[24:25], 2
	s_add_u32 s2, s4, s0
	s_addc_u32 s3, s5, s1
	s_add_u32 s0, s6, s0
	s_addc_u32 s1, s7, s1
	s_load_b32 s18, s[2:3], 0x0
	s_load_b32 s22, s[0:1], 0x0
	s_mov_b32 s0, -1
	s_waitcnt lgkmcnt(0)
	s_cmp_gt_i32 s22, s18
	s_cbranch_scc1 .LBB108_4
; %bb.1:
	s_and_saveexec_b32 s0, vcc_lo
	s_cbranch_execz .LBB108_3
; %bb.2:
	s_lshl_b64 s[2:3], s[24:25], 1
	v_dual_mov_b32 v1, 0 :: v_dual_mov_b32 v2, s15
	s_add_u32 s2, s26, s2
	s_addc_u32 s3, s27, s3
	global_store_b16 v1, v2, s[2:3]
.LBB108_3:
	s_or_b32 exec_lo, exec_lo, s0
	s_mov_b32 s0, 0
.LBB108_4:
	s_delay_alu instid0(SALU_CYCLE_1)
	s_and_not1_b32 vcc_lo, exec_lo, s0
	s_cbranch_vccnz .LBB108_71
; %bb.5:
	s_add_i32 s0, s18, 0x1000
	s_delay_alu instid0(SALU_CYCLE_1)
	s_cmp_le_i32 s0, s22
	s_cbranch_scc0 .LBB108_46
; %bb.6:
	s_ashr_i32 s19, s18, 31
	v_lshlrev_b32_e32 v18, 1, v0
	s_lshl_b64 s[2:3], s[18:19], 1
	s_delay_alu instid0(SALU_CYCLE_1) | instskip(SKIP_1) | instid1(VALU_DEP_1)
	s_add_u32 s2, s16, s2
	s_addc_u32 s3, s17, s3
	v_add_co_u32 v9, s1, s2, v18
	s_clause 0x7
	global_load_u16 v1, v18, s[2:3]
	global_load_u16 v2, v18, s[2:3] offset:512
	global_load_u16 v3, v18, s[2:3] offset:1024
	;; [unrolled: 1-line block ×7, first 2 shown]
	v_add_co_ci_u32_e64 v10, null, s3, 0, s1
	v_add_co_u32 v16, vcc_lo, 0x1000, v9
	s_add_i32 s1, s18, 0x2000
	s_delay_alu instid0(VALU_DEP_2)
	v_add_co_ci_u32_e32 v17, vcc_lo, 0, v10, vcc_lo
	s_cmp_ge_i32 s1, s22
	s_clause 0x7
	global_load_u16 v9, v[16:17], off
	global_load_u16 v10, v[16:17], off offset:512
	global_load_u16 v11, v[16:17], off offset:1024
	;; [unrolled: 1-line block ×7, first 2 shown]
	s_waitcnt vmcnt(14)
	v_mul_f16_e32 v17, v1, v2
	s_waitcnt vmcnt(13)
	s_delay_alu instid0(VALU_DEP_1) | instskip(SKIP_1) | instid1(VALU_DEP_1)
	v_mul_f16_e32 v17, v17, v3
	s_waitcnt vmcnt(12)
	v_mul_f16_e32 v17, v17, v4
	s_waitcnt vmcnt(11)
	s_delay_alu instid0(VALU_DEP_1) | instskip(SKIP_1) | instid1(VALU_DEP_1)
	v_mul_f16_e32 v17, v17, v5
	;; [unrolled: 5-line block ×7, first 2 shown]
	s_waitcnt vmcnt(0)
	v_mul_f16_e32 v17, v17, v16
	s_cbranch_scc1 .LBB108_9
; %bb.7:
	v_add_co_u32 v19, s1, s16, v18
	s_delay_alu instid0(VALU_DEP_1)
	v_add_co_ci_u32_e64 v20, null, s17, 0, s1
.LBB108_8:                              ; =>This Inner Loop Header: Depth=1
	s_ashr_i32 s1, s0, 31
	s_delay_alu instid0(SALU_CYCLE_1) | instskip(SKIP_4) | instid1(VALU_DEP_2)
	s_lshl_b64 s[2:3], s[0:1], 1
	s_add_i32 s1, s0, 0x2000
	v_add_co_u32 v9, vcc_lo, v19, s2
	v_add_co_ci_u32_e32 v10, vcc_lo, s3, v20, vcc_lo
	s_addk_i32 s0, 0x1000
	v_add_co_u32 v21, vcc_lo, 0x1000, v9
	s_clause 0x7
	global_load_u16 v1, v[9:10], off
	global_load_u16 v2, v[9:10], off offset:512
	global_load_u16 v3, v[9:10], off offset:1024
	;; [unrolled: 1-line block ×7, first 2 shown]
	v_add_co_ci_u32_e32 v22, vcc_lo, 0, v10, vcc_lo
	s_cmp_lt_i32 s1, s22
	s_clause 0x7
	global_load_u16 v9, v[21:22], off
	global_load_u16 v10, v[21:22], off offset:512
	global_load_u16 v11, v[21:22], off offset:1024
	global_load_u16 v12, v[21:22], off offset:1536
	global_load_u16 v13, v[21:22], off offset:2048
	global_load_u16 v14, v[21:22], off offset:2560
	global_load_u16 v15, v[21:22], off offset:3072
	global_load_u16 v16, v[21:22], off offset:3584
	s_waitcnt vmcnt(15)
	v_mul_f16_e32 v17, v17, v1
	s_waitcnt vmcnt(14)
	s_delay_alu instid0(VALU_DEP_1) | instskip(SKIP_1) | instid1(VALU_DEP_1)
	v_mul_f16_e32 v17, v17, v2
	s_waitcnt vmcnt(13)
	v_mul_f16_e32 v17, v17, v3
	s_waitcnt vmcnt(12)
	s_delay_alu instid0(VALU_DEP_1) | instskip(SKIP_1) | instid1(VALU_DEP_1)
	v_mul_f16_e32 v17, v17, v4
	;; [unrolled: 5-line block ×7, first 2 shown]
	s_waitcnt vmcnt(1)
	v_mul_f16_e32 v17, v17, v15
	s_waitcnt vmcnt(0)
	s_delay_alu instid0(VALU_DEP_1)
	v_mul_f16_e32 v17, v17, v16
	s_cbranch_scc1 .LBB108_8
.LBB108_9:
	s_ashr_i32 s1, s0, 31
	s_sub_i32 s14, s22, s0
	s_lshl_b64 s[0:1], s[0:1], 1
	v_cmp_gt_u32_e32 vcc_lo, s14, v0
	s_add_u32 s20, s16, s0
	s_addc_u32 s21, s17, s1
	s_and_saveexec_b32 s0, vcc_lo
	s_cbranch_execz .LBB108_11
; %bb.10:
	global_load_u16 v1, v18, s[20:21]
.LBB108_11:
	s_or_b32 exec_lo, exec_lo, s0
	v_or_b32_e32 v19, 0x100, v0
	s_delay_alu instid0(VALU_DEP_1) | instskip(NEXT) | instid1(VALU_DEP_1)
	v_cmp_gt_u32_e64 s0, s14, v19
	s_and_saveexec_b32 s1, s0
	s_cbranch_execz .LBB108_13
; %bb.12:
	global_load_u16 v2, v18, s[20:21] offset:512
.LBB108_13:
	s_or_b32 exec_lo, exec_lo, s1
	v_or_b32_e32 v19, 0x200, v0
	s_delay_alu instid0(VALU_DEP_1) | instskip(NEXT) | instid1(VALU_DEP_1)
	v_cmp_gt_u32_e64 s1, s14, v19
	s_and_saveexec_b32 s2, s1
	s_cbranch_execz .LBB108_15
; %bb.14:
	global_load_u16 v3, v18, s[20:21] offset:1024
.LBB108_15:
	;; [unrolled: 9-line block ×7, first 2 shown]
	s_or_b32 exec_lo, exec_lo, s7
	v_or_b32_e32 v18, 0x800, v0
	s_delay_alu instid0(VALU_DEP_1) | instskip(NEXT) | instid1(VALU_DEP_1)
	v_cmp_gt_u32_e64 s7, s14, v18
	s_and_saveexec_b32 s8, s7
	s_cbranch_execz .LBB108_27
; %bb.26:
	v_lshlrev_b32_e32 v9, 1, v18
	global_load_u16 v9, v9, s[20:21]
.LBB108_27:
	s_or_b32 exec_lo, exec_lo, s8
	v_or_b32_e32 v18, 0x900, v0
	s_delay_alu instid0(VALU_DEP_1) | instskip(NEXT) | instid1(VALU_DEP_1)
	v_cmp_gt_u32_e64 s8, s14, v18
	s_and_saveexec_b32 s9, s8
	s_cbranch_execz .LBB108_29
; %bb.28:
	v_lshlrev_b32_e32 v10, 1, v18
	global_load_u16 v10, v10, s[20:21]
.LBB108_29:
	;; [unrolled: 10-line block ×8, first 2 shown]
	s_or_b32 exec_lo, exec_lo, s19
	s_waitcnt vmcnt(0)
	v_mul_f16_e32 v1, v17, v1
	s_delay_alu instid0(VALU_DEP_1) | instskip(NEXT) | instid1(VALU_DEP_1)
	v_cndmask_b32_e32 v1, v17, v1, vcc_lo
	v_mul_f16_e32 v2, v1, v2
	s_delay_alu instid0(VALU_DEP_1) | instskip(SKIP_1) | instid1(VALU_DEP_1)
	v_cndmask_b32_e64 v1, v1, v2, s0
	s_mov_b32 s0, exec_lo
	v_mul_f16_e32 v2, v1, v3
	s_delay_alu instid0(VALU_DEP_1) | instskip(NEXT) | instid1(VALU_DEP_1)
	v_cndmask_b32_e64 v1, v1, v2, s1
	v_mul_f16_e32 v2, v1, v4
	s_delay_alu instid0(VALU_DEP_1) | instskip(NEXT) | instid1(VALU_DEP_1)
	v_cndmask_b32_e64 v1, v1, v2, s2
	;; [unrolled: 3-line block ×14, first 2 shown]
	v_and_b32_e32 v2, 0xffff, v1
	s_delay_alu instid0(VALU_DEP_1) | instskip(NEXT) | instid1(VALU_DEP_1)
	v_mov_b32_dpp v2, v2 quad_perm:[1,0,3,2] row_mask:0xf bank_mask:0xf
	v_mul_f16_e32 v1, v1, v2
	s_delay_alu instid0(VALU_DEP_1) | instskip(NEXT) | instid1(VALU_DEP_1)
	v_and_b32_e32 v2, 0xffff, v1
	v_mov_b32_dpp v2, v2 quad_perm:[2,3,0,1] row_mask:0xf bank_mask:0xf
	s_delay_alu instid0(VALU_DEP_1) | instskip(NEXT) | instid1(VALU_DEP_1)
	v_mul_f16_e32 v1, v1, v2
	v_and_b32_e32 v2, 0xffff, v1
	s_delay_alu instid0(VALU_DEP_1) | instskip(NEXT) | instid1(VALU_DEP_1)
	v_mov_b32_dpp v2, v2 row_ror:4 row_mask:0xf bank_mask:0xf
	v_mul_f16_e32 v1, v1, v2
	s_delay_alu instid0(VALU_DEP_1) | instskip(NEXT) | instid1(VALU_DEP_1)
	v_and_b32_e32 v2, 0xffff, v1
	v_mov_b32_dpp v2, v2 row_ror:8 row_mask:0xf bank_mask:0xf
	s_delay_alu instid0(VALU_DEP_1) | instskip(NEXT) | instid1(VALU_DEP_1)
	v_mul_f16_e32 v1, v1, v2
	v_and_b32_e32 v2, 0xffff, v1
	ds_swizzle_b32 v2, v2 offset:swizzle(BROADCAST,32,15)
	s_waitcnt lgkmcnt(0)
	v_mul_f16_e32 v1, v1, v2
	s_delay_alu instid0(VALU_DEP_1) | instskip(SKIP_2) | instid1(VALU_DEP_1)
	v_dual_mov_b32 v2, 0 :: v_dual_and_b32 v1, 0xffff, v1
	ds_bpermute_b32 v4, v2, v1 offset:124
	v_mbcnt_lo_u32_b32 v1, -1, 0
	v_cmpx_eq_u32_e32 0, v1
	s_cbranch_execz .LBB108_43
; %bb.42:
	v_lshrrev_b32_e32 v2, 4, v0
	s_delay_alu instid0(VALU_DEP_1)
	v_and_b32_e32 v2, 14, v2
	s_waitcnt lgkmcnt(0)
	ds_store_b16 v2, v4
.LBB108_43:
	s_or_b32 exec_lo, exec_lo, s0
	s_delay_alu instid0(SALU_CYCLE_1)
	s_mov_b32 s0, exec_lo
	s_waitcnt lgkmcnt(0)
	s_waitcnt_vscnt null, 0x0
	s_barrier
	buffer_gl0_inv
	v_cmpx_gt_u32_e32 32, v0
	s_cbranch_execz .LBB108_45
; %bb.44:
	v_and_b32_e32 v2, 7, v1
	s_delay_alu instid0(VALU_DEP_1) | instskip(SKIP_4) | instid1(VALU_DEP_2)
	v_lshlrev_b32_e32 v3, 1, v2
	v_cmp_ne_u32_e32 vcc_lo, 7, v2
	ds_load_u16 v3, v3
	v_add_co_ci_u32_e32 v4, vcc_lo, 0, v1, vcc_lo
	v_cmp_gt_u32_e32 vcc_lo, 6, v2
	v_lshlrev_b32_e32 v4, 2, v4
	s_waitcnt lgkmcnt(0)
	v_and_b32_e32 v5, 0xffff, v3
	ds_bpermute_b32 v4, v4, v5
	v_cndmask_b32_e64 v5, 0, 1, vcc_lo
	v_cmp_gt_u32_e32 vcc_lo, 4, v2
	s_delay_alu instid0(VALU_DEP_2) | instskip(SKIP_1) | instid1(VALU_DEP_1)
	v_lshlrev_b32_e32 v5, 1, v5
	v_cndmask_b32_e64 v2, 0, 1, vcc_lo
	v_lshlrev_b32_e32 v2, 2, v2
	s_waitcnt lgkmcnt(0)
	v_mul_f16_e32 v3, v3, v4
	v_add_lshl_u32 v4, v5, v1, 2
	s_delay_alu instid0(VALU_DEP_3) | instskip(NEXT) | instid1(VALU_DEP_3)
	v_add_lshl_u32 v1, v2, v1, 2
	v_and_b32_e32 v5, 0xffff, v3
	ds_bpermute_b32 v4, v4, v5
	s_waitcnt lgkmcnt(0)
	v_mul_f16_e32 v3, v3, v4
	s_delay_alu instid0(VALU_DEP_1)
	v_and_b32_e32 v4, 0xffff, v3
	ds_bpermute_b32 v1, v1, v4
	s_waitcnt lgkmcnt(0)
	v_mul_f16_e32 v4, v3, v1
.LBB108_45:
	s_or_b32 exec_lo, exec_lo, s0
	s_branch .LBB108_69
.LBB108_46:
                                        ; implicit-def: $vgpr4
	s_cbranch_execz .LBB108_69
; %bb.47:
	s_sub_i32 s3, s22, s18
	s_mov_b32 s0, exec_lo
                                        ; implicit-def: $vgpr3
	v_cmpx_gt_u32_e64 s3, v0
	s_cbranch_execz .LBB108_53
; %bb.48:
	v_add_nc_u32_e32 v1, s18, v0
	s_mov_b32 s1, exec_lo
	s_delay_alu instid0(VALU_DEP_1) | instskip(NEXT) | instid1(VALU_DEP_1)
	v_ashrrev_i32_e32 v2, 31, v1
	v_lshlrev_b64 v[2:3], 1, v[1:2]
	v_add_nc_u32_e32 v1, 0x100, v1
	s_delay_alu instid0(VALU_DEP_2) | instskip(NEXT) | instid1(VALU_DEP_3)
	v_add_co_u32 v2, vcc_lo, s16, v2
	v_add_co_ci_u32_e32 v3, vcc_lo, s17, v3, vcc_lo
	global_load_u16 v3, v[2:3], off
	v_cmpx_gt_i32_e64 s22, v1
	s_cbranch_execz .LBB108_52
; %bb.49:
	s_mov_b32 s2, 0
.LBB108_50:                             ; =>This Inner Loop Header: Depth=1
	v_ashrrev_i32_e32 v2, 31, v1
	s_delay_alu instid0(VALU_DEP_1) | instskip(SKIP_1) | instid1(VALU_DEP_2)
	v_lshlrev_b64 v[4:5], 1, v[1:2]
	v_add_nc_u32_e32 v1, 0x100, v1
	v_add_co_u32 v4, vcc_lo, s16, v4
	s_delay_alu instid0(VALU_DEP_3) | instskip(NEXT) | instid1(VALU_DEP_3)
	v_add_co_ci_u32_e32 v5, vcc_lo, s17, v5, vcc_lo
	v_cmp_le_i32_e32 vcc_lo, s22, v1
	global_load_u16 v2, v[4:5], off
	s_or_b32 s2, vcc_lo, s2
	s_waitcnt vmcnt(0)
	v_mul_f16_e32 v3, v3, v2
	s_and_not1_b32 exec_lo, exec_lo, s2
	s_cbranch_execnz .LBB108_50
; %bb.51:
	s_or_b32 exec_lo, exec_lo, s2
.LBB108_52:
	s_delay_alu instid0(SALU_CYCLE_1)
	s_or_b32 exec_lo, exec_lo, s1
.LBB108_53:
	s_delay_alu instid0(SALU_CYCLE_1)
	s_or_b32 exec_lo, exec_lo, s0
	v_mbcnt_lo_u32_b32 v1, -1, 0
	s_waitcnt vmcnt(0)
	v_and_b32_e32 v2, 0xffff, v3
	s_cmpk_lt_u32 s3, 0x100
	s_cbranch_scc0 .LBB108_63
; %bb.54:
	v_cmp_ne_u32_e32 vcc_lo, 31, v1
	v_and_b32_e32 v7, 0xe0, v0
	v_add_nc_u32_e32 v10, 2, v1
	v_cmp_gt_u32_e64 s0, 24, v1
	v_cmp_gt_u32_e64 s1, 16, v1
	v_add_co_ci_u32_e32 v4, vcc_lo, 0, v1, vcc_lo
	v_cmp_gt_u32_e32 vcc_lo, 30, v1
	s_delay_alu instid0(VALU_DEP_2)
	v_lshlrev_b32_e32 v4, 2, v4
	v_cndmask_b32_e64 v5, 0, 1, vcc_lo
	v_cmp_gt_u32_e32 vcc_lo, 28, v1
	ds_bpermute_b32 v4, v4, v2
	v_lshlrev_b32_e32 v8, 1, v5
	v_sub_nc_u32_e64 v5, s3, v7 clamp
	v_cndmask_b32_e64 v9, 0, 1, vcc_lo
	s_delay_alu instid0(VALU_DEP_3) | instskip(NEXT) | instid1(VALU_DEP_3)
	v_add_lshl_u32 v8, v8, v1, 2
	v_cmp_lt_u32_e32 vcc_lo, v10, v5
	s_waitcnt lgkmcnt(0)
	v_mul_f16_e32 v6, v3, v4
	v_add_nc_u32_e32 v4, 1, v1
	s_delay_alu instid0(VALU_DEP_2) | instskip(NEXT) | instid1(VALU_DEP_2)
	v_and_b32_e32 v7, 0xffff, v6
	v_cmp_lt_u32_e64 s2, v4, v5
	s_delay_alu instid0(VALU_DEP_1) | instskip(SKIP_3) | instid1(VALU_DEP_1)
	v_cndmask_b32_e64 v4, v2, v7, s2
	ds_bpermute_b32 v7, v8, v4
	v_cndmask_b32_e64 v8, v3, v6, s2
	s_waitcnt lgkmcnt(0)
	v_mul_f16_e32 v7, v7, v8
	s_delay_alu instid0(VALU_DEP_1) | instskip(SKIP_1) | instid1(VALU_DEP_2)
	v_dual_cndmask_b32 v10, v8, v7 :: v_dual_lshlrev_b32 v9, 2, v9
	v_and_b32_e32 v11, 0xffff, v7
	v_add_lshl_u32 v9, v9, v1, 2
	s_delay_alu instid0(VALU_DEP_2)
	v_cndmask_b32_e32 v4, v4, v11, vcc_lo
	v_cndmask_b32_e64 v11, 0, 1, s0
	ds_bpermute_b32 v9, v9, v4
	s_waitcnt lgkmcnt(0)
	v_mul_f16_e32 v8, v9, v10
	v_lshlrev_b32_e32 v9, 3, v11
	v_add_nc_u32_e32 v11, 4, v1
	s_delay_alu instid0(VALU_DEP_3) | instskip(NEXT) | instid1(VALU_DEP_3)
	v_and_b32_e32 v12, 0xffff, v8
	v_add_lshl_u32 v9, v9, v1, 2
	s_delay_alu instid0(VALU_DEP_3) | instskip(SKIP_1) | instid1(VALU_DEP_2)
	v_cmp_lt_u32_e64 s0, v11, v5
	v_cndmask_b32_e64 v11, 0, 1, s1
	v_cndmask_b32_e64 v4, v4, v12, s0
	;; [unrolled: 1-line block ×3, first 2 shown]
	v_add_nc_u32_e32 v12, 8, v1
	s_delay_alu instid0(VALU_DEP_4)
	v_lshlrev_b32_e32 v11, 4, v11
	ds_bpermute_b32 v9, v9, v4
	v_cmp_lt_u32_e64 s1, v12, v5
	v_add_lshl_u32 v11, v11, v1, 2
	s_waitcnt lgkmcnt(0)
	v_mul_f16_e32 v9, v9, v10
	s_delay_alu instid0(VALU_DEP_1) | instskip(NEXT) | instid1(VALU_DEP_1)
	v_and_b32_e32 v13, 0xffff, v9
	v_cndmask_b32_e64 v4, v4, v13, s1
	ds_bpermute_b32 v11, v11, v4
	v_mov_b32_e32 v4, v3
	s_and_saveexec_b32 s4, s2
	s_cbranch_execz .LBB108_56
; %bb.55:
	v_dual_cndmask_b32 v4, v6, v7 :: v_dual_add_nc_u32 v7, 16, v1
	v_cndmask_b32_e64 v6, v10, v9, s1
	s_delay_alu instid0(VALU_DEP_2) | instskip(NEXT) | instid1(VALU_DEP_3)
	v_cndmask_b32_e64 v4, v4, v8, s0
	v_cmp_lt_u32_e32 vcc_lo, v7, v5
	s_waitcnt lgkmcnt(0)
	s_delay_alu instid0(VALU_DEP_3) | instskip(NEXT) | instid1(VALU_DEP_3)
	v_mul_f16_e32 v6, v11, v6
	v_cndmask_b32_e64 v4, v4, v9, s1
	s_delay_alu instid0(VALU_DEP_1)
	v_cndmask_b32_e32 v4, v4, v6, vcc_lo
.LBB108_56:
	s_or_b32 exec_lo, exec_lo, s4
	s_delay_alu instid0(SALU_CYCLE_1)
	s_mov_b32 s0, exec_lo
	v_cmpx_eq_u32_e32 0, v1
	s_cbranch_execz .LBB108_58
; %bb.57:
	v_lshrrev_b32_e32 v5, 4, v0
	s_delay_alu instid0(VALU_DEP_1)
	v_and_b32_e32 v5, 14, v5
	ds_store_b16 v5, v4
.LBB108_58:
	s_or_b32 exec_lo, exec_lo, s0
	s_delay_alu instid0(SALU_CYCLE_1)
	s_mov_b32 s1, exec_lo
	s_waitcnt lgkmcnt(0)
	s_waitcnt_vscnt null, 0x0
	s_barrier
	buffer_gl0_inv
	v_cmpx_gt_u32_e32 8, v0
	s_cbranch_execz .LBB108_62
; %bb.59:
	v_lshlrev_b32_e32 v4, 1, v1
	v_and_b32_e32 v5, 7, v1
	s_add_i32 s3, s3, 31
	s_delay_alu instid0(SALU_CYCLE_1)
	s_lshr_b32 s2, s3, 5
	ds_load_u16 v4, v4
	v_cmp_ne_u32_e32 vcc_lo, 7, v5
	v_add_nc_u32_e32 v9, 1, v5
	v_add_co_ci_u32_e32 v6, vcc_lo, 0, v1, vcc_lo
	v_cmp_gt_u32_e32 vcc_lo, 6, v5
	s_delay_alu instid0(VALU_DEP_3) | instskip(NEXT) | instid1(VALU_DEP_3)
	v_cmp_gt_u32_e64 s0, s2, v9
	v_lshlrev_b32_e32 v6, 2, v6
	v_cndmask_b32_e64 v8, 0, 1, vcc_lo
	v_cmp_gt_u32_e32 vcc_lo, 4, v5
	s_delay_alu instid0(VALU_DEP_2) | instskip(SKIP_2) | instid1(VALU_DEP_2)
	v_lshlrev_b32_e32 v8, 1, v8
	s_waitcnt lgkmcnt(0)
	v_and_b32_e32 v7, 0xffff, v4
	v_add_lshl_u32 v8, v8, v1, 2
	ds_bpermute_b32 v6, v6, v7
	s_waitcnt lgkmcnt(0)
	v_mul_f16_e32 v6, v4, v6
	s_delay_alu instid0(VALU_DEP_1) | instskip(NEXT) | instid1(VALU_DEP_1)
	v_and_b32_e32 v10, 0xffff, v6
	v_cndmask_b32_e64 v9, v7, v10, s0
	v_add_nc_u32_e32 v10, 2, v5
	ds_bpermute_b32 v7, v8, v9
	v_cndmask_b32_e64 v8, v4, v6, s0
	s_waitcnt lgkmcnt(0)
	s_delay_alu instid0(VALU_DEP_1) | instskip(SKIP_2) | instid1(VALU_DEP_3)
	v_mul_f16_e32 v7, v7, v8
	v_cndmask_b32_e64 v8, 0, 1, vcc_lo
	v_cmp_gt_u32_e32 vcc_lo, s2, v10
	v_and_b32_e32 v11, 0xffff, v7
	s_delay_alu instid0(VALU_DEP_1) | instskip(NEXT) | instid1(VALU_DEP_1)
	v_dual_cndmask_b32 v9, v9, v11 :: v_dual_lshlrev_b32 v8, 2, v8
	v_add_lshl_u32 v8, v8, v1, 2
	ds_bpermute_b32 v8, v8, v9
	s_and_saveexec_b32 s3, s0
	s_cbranch_execz .LBB108_61
; %bb.60:
	v_dual_cndmask_b32 v4, v6, v7 :: v_dual_add_nc_u32 v5, 4, v5
	s_waitcnt lgkmcnt(0)
	s_delay_alu instid0(VALU_DEP_1) | instskip(NEXT) | instid1(VALU_DEP_2)
	v_mul_f16_e32 v6, v8, v4
	v_cmp_gt_u32_e32 vcc_lo, s2, v5
	s_delay_alu instid0(VALU_DEP_2)
	v_cndmask_b32_e32 v4, v4, v6, vcc_lo
.LBB108_61:
	s_or_b32 exec_lo, exec_lo, s3
.LBB108_62:
	s_delay_alu instid0(SALU_CYCLE_1)
	s_or_b32 exec_lo, exec_lo, s1
	s_branch .LBB108_69
.LBB108_63:
                                        ; implicit-def: $vgpr4
	s_cbranch_execz .LBB108_69
; %bb.64:
	s_delay_alu instid0(VALU_DEP_1) | instskip(SKIP_1) | instid1(VALU_DEP_1)
	v_mov_b32_dpp v2, v2 quad_perm:[1,0,3,2] row_mask:0xf bank_mask:0xf
	s_mov_b32 s0, exec_lo
	v_mul_f16_e32 v2, v3, v2
	s_delay_alu instid0(VALU_DEP_1) | instskip(NEXT) | instid1(VALU_DEP_1)
	v_and_b32_e32 v3, 0xffff, v2
	v_mov_b32_dpp v3, v3 quad_perm:[2,3,0,1] row_mask:0xf bank_mask:0xf
	s_delay_alu instid0(VALU_DEP_1) | instskip(NEXT) | instid1(VALU_DEP_1)
	v_mul_f16_e32 v2, v2, v3
	v_and_b32_e32 v3, 0xffff, v2
	s_delay_alu instid0(VALU_DEP_1) | instskip(NEXT) | instid1(VALU_DEP_1)
	v_mov_b32_dpp v3, v3 row_ror:4 row_mask:0xf bank_mask:0xf
	v_mul_f16_e32 v2, v2, v3
	s_delay_alu instid0(VALU_DEP_1) | instskip(NEXT) | instid1(VALU_DEP_1)
	v_and_b32_e32 v3, 0xffff, v2
	v_mov_b32_dpp v3, v3 row_ror:8 row_mask:0xf bank_mask:0xf
	s_delay_alu instid0(VALU_DEP_1) | instskip(NEXT) | instid1(VALU_DEP_1)
	v_mul_f16_e32 v2, v2, v3
	v_and_b32_e32 v3, 0xffff, v2
	ds_swizzle_b32 v3, v3 offset:swizzle(BROADCAST,32,15)
	s_waitcnt lgkmcnt(0)
	v_mul_f16_e32 v2, v2, v3
	s_delay_alu instid0(VALU_DEP_1)
	v_dual_mov_b32 v3, 0 :: v_dual_and_b32 v2, 0xffff, v2
	ds_bpermute_b32 v4, v3, v2 offset:124
	v_cmpx_eq_u32_e32 0, v1
	s_cbranch_execz .LBB108_66
; %bb.65:
	v_lshrrev_b32_e32 v2, 4, v0
	s_delay_alu instid0(VALU_DEP_1)
	v_and_b32_e32 v2, 14, v2
	s_waitcnt lgkmcnt(0)
	ds_store_b16 v2, v4
.LBB108_66:
	s_or_b32 exec_lo, exec_lo, s0
	s_delay_alu instid0(SALU_CYCLE_1)
	s_mov_b32 s0, exec_lo
	s_waitcnt lgkmcnt(0)
	s_waitcnt_vscnt null, 0x0
	s_barrier
	buffer_gl0_inv
	v_cmpx_gt_u32_e32 32, v0
	s_cbranch_execz .LBB108_68
; %bb.67:
	v_and_b32_e32 v2, 7, v1
	s_delay_alu instid0(VALU_DEP_1) | instskip(SKIP_4) | instid1(VALU_DEP_2)
	v_lshlrev_b32_e32 v3, 1, v2
	v_cmp_ne_u32_e32 vcc_lo, 7, v2
	ds_load_u16 v3, v3
	v_add_co_ci_u32_e32 v4, vcc_lo, 0, v1, vcc_lo
	v_cmp_gt_u32_e32 vcc_lo, 6, v2
	v_lshlrev_b32_e32 v4, 2, v4
	s_waitcnt lgkmcnt(0)
	v_and_b32_e32 v5, 0xffff, v3
	ds_bpermute_b32 v4, v4, v5
	v_cndmask_b32_e64 v5, 0, 1, vcc_lo
	v_cmp_gt_u32_e32 vcc_lo, 4, v2
	s_delay_alu instid0(VALU_DEP_2) | instskip(SKIP_1) | instid1(VALU_DEP_1)
	v_lshlrev_b32_e32 v5, 1, v5
	v_cndmask_b32_e64 v2, 0, 1, vcc_lo
	v_lshlrev_b32_e32 v2, 2, v2
	s_waitcnt lgkmcnt(0)
	v_mul_f16_e32 v3, v3, v4
	v_add_lshl_u32 v4, v5, v1, 2
	s_delay_alu instid0(VALU_DEP_3) | instskip(NEXT) | instid1(VALU_DEP_3)
	v_add_lshl_u32 v1, v2, v1, 2
	v_and_b32_e32 v5, 0xffff, v3
	ds_bpermute_b32 v4, v4, v5
	s_waitcnt lgkmcnt(0)
	v_mul_f16_e32 v3, v3, v4
	s_delay_alu instid0(VALU_DEP_1)
	v_and_b32_e32 v4, 0xffff, v3
	ds_bpermute_b32 v1, v1, v4
	s_waitcnt lgkmcnt(0)
	v_mul_f16_e32 v4, v3, v1
.LBB108_68:
	s_or_b32 exec_lo, exec_lo, s0
.LBB108_69:
	s_delay_alu instid0(SALU_CYCLE_1)
	s_mov_b32 s0, exec_lo
	v_cmpx_eq_u32_e32 0, v0
	s_cbranch_execz .LBB108_71
; %bb.70:
	s_lshl_b64 s[0:1], s[24:25], 1
	v_mov_b32_e32 v0, 0
	v_mul_f16_e32 v1, s15, v4
	s_add_u32 s0, s26, s0
	s_addc_u32 s1, s27, s1
	global_store_b16 v0, v1, s[0:1]
.LBB108_71:
	s_nop 0
	s_sendmsg sendmsg(MSG_DEALLOC_VGPRS)
	s_endpgm
	.section	.rodata,"a",@progbits
	.p2align	6, 0x0
	.amdhsa_kernel _ZN7rocprim17ROCPRIM_400000_NS6detail17trampoline_kernelINS0_14default_configENS1_32segmented_reduce_config_selectorIN3c104HalfEEEZNS1_21segmented_reduce_implIS3_PKS6_PS6_PKiS6_N6hipcub16HIPCUB_304000_NS6detail27convert_result_type_wrapperISA_SB_N2at6native12_GLOBAL__N_110CustomProdEEEEE10hipError_tPvRmT0_T1_jT2_SS_T4_T3_P12ihipStream_tbEUlT_E_NS1_11comp_targetILNS1_3genE9ELNS1_11target_archE1100ELNS1_3gpuE3ELNS1_3repE0EEENS1_30default_config_static_selectorELNS0_4arch9wavefront6targetE0EEEvSR_
		.amdhsa_group_segment_fixed_size 16
		.amdhsa_private_segment_fixed_size 0
		.amdhsa_kernarg_size 48
		.amdhsa_user_sgpr_count 15
		.amdhsa_user_sgpr_dispatch_ptr 0
		.amdhsa_user_sgpr_queue_ptr 0
		.amdhsa_user_sgpr_kernarg_segment_ptr 1
		.amdhsa_user_sgpr_dispatch_id 0
		.amdhsa_user_sgpr_private_segment_size 0
		.amdhsa_wavefront_size32 1
		.amdhsa_uses_dynamic_stack 0
		.amdhsa_enable_private_segment 0
		.amdhsa_system_sgpr_workgroup_id_x 1
		.amdhsa_system_sgpr_workgroup_id_y 0
		.amdhsa_system_sgpr_workgroup_id_z 0
		.amdhsa_system_sgpr_workgroup_info 0
		.amdhsa_system_vgpr_workitem_id 0
		.amdhsa_next_free_vgpr 23
		.amdhsa_next_free_sgpr 28
		.amdhsa_reserve_vcc 1
		.amdhsa_float_round_mode_32 0
		.amdhsa_float_round_mode_16_64 0
		.amdhsa_float_denorm_mode_32 3
		.amdhsa_float_denorm_mode_16_64 3
		.amdhsa_dx10_clamp 1
		.amdhsa_ieee_mode 1
		.amdhsa_fp16_overflow 0
		.amdhsa_workgroup_processor_mode 1
		.amdhsa_memory_ordered 1
		.amdhsa_forward_progress 0
		.amdhsa_shared_vgpr_count 0
		.amdhsa_exception_fp_ieee_invalid_op 0
		.amdhsa_exception_fp_denorm_src 0
		.amdhsa_exception_fp_ieee_div_zero 0
		.amdhsa_exception_fp_ieee_overflow 0
		.amdhsa_exception_fp_ieee_underflow 0
		.amdhsa_exception_fp_ieee_inexact 0
		.amdhsa_exception_int_div_zero 0
	.end_amdhsa_kernel
	.section	.text._ZN7rocprim17ROCPRIM_400000_NS6detail17trampoline_kernelINS0_14default_configENS1_32segmented_reduce_config_selectorIN3c104HalfEEEZNS1_21segmented_reduce_implIS3_PKS6_PS6_PKiS6_N6hipcub16HIPCUB_304000_NS6detail27convert_result_type_wrapperISA_SB_N2at6native12_GLOBAL__N_110CustomProdEEEEE10hipError_tPvRmT0_T1_jT2_SS_T4_T3_P12ihipStream_tbEUlT_E_NS1_11comp_targetILNS1_3genE9ELNS1_11target_archE1100ELNS1_3gpuE3ELNS1_3repE0EEENS1_30default_config_static_selectorELNS0_4arch9wavefront6targetE0EEEvSR_,"axG",@progbits,_ZN7rocprim17ROCPRIM_400000_NS6detail17trampoline_kernelINS0_14default_configENS1_32segmented_reduce_config_selectorIN3c104HalfEEEZNS1_21segmented_reduce_implIS3_PKS6_PS6_PKiS6_N6hipcub16HIPCUB_304000_NS6detail27convert_result_type_wrapperISA_SB_N2at6native12_GLOBAL__N_110CustomProdEEEEE10hipError_tPvRmT0_T1_jT2_SS_T4_T3_P12ihipStream_tbEUlT_E_NS1_11comp_targetILNS1_3genE9ELNS1_11target_archE1100ELNS1_3gpuE3ELNS1_3repE0EEENS1_30default_config_static_selectorELNS0_4arch9wavefront6targetE0EEEvSR_,comdat
.Lfunc_end108:
	.size	_ZN7rocprim17ROCPRIM_400000_NS6detail17trampoline_kernelINS0_14default_configENS1_32segmented_reduce_config_selectorIN3c104HalfEEEZNS1_21segmented_reduce_implIS3_PKS6_PS6_PKiS6_N6hipcub16HIPCUB_304000_NS6detail27convert_result_type_wrapperISA_SB_N2at6native12_GLOBAL__N_110CustomProdEEEEE10hipError_tPvRmT0_T1_jT2_SS_T4_T3_P12ihipStream_tbEUlT_E_NS1_11comp_targetILNS1_3genE9ELNS1_11target_archE1100ELNS1_3gpuE3ELNS1_3repE0EEENS1_30default_config_static_selectorELNS0_4arch9wavefront6targetE0EEEvSR_, .Lfunc_end108-_ZN7rocprim17ROCPRIM_400000_NS6detail17trampoline_kernelINS0_14default_configENS1_32segmented_reduce_config_selectorIN3c104HalfEEEZNS1_21segmented_reduce_implIS3_PKS6_PS6_PKiS6_N6hipcub16HIPCUB_304000_NS6detail27convert_result_type_wrapperISA_SB_N2at6native12_GLOBAL__N_110CustomProdEEEEE10hipError_tPvRmT0_T1_jT2_SS_T4_T3_P12ihipStream_tbEUlT_E_NS1_11comp_targetILNS1_3genE9ELNS1_11target_archE1100ELNS1_3gpuE3ELNS1_3repE0EEENS1_30default_config_static_selectorELNS0_4arch9wavefront6targetE0EEEvSR_
                                        ; -- End function
	.section	.AMDGPU.csdata,"",@progbits
; Kernel info:
; codeLenInByte = 3752
; NumSgprs: 30
; NumVgprs: 23
; ScratchSize: 0
; MemoryBound: 0
; FloatMode: 240
; IeeeMode: 1
; LDSByteSize: 16 bytes/workgroup (compile time only)
; SGPRBlocks: 3
; VGPRBlocks: 2
; NumSGPRsForWavesPerEU: 30
; NumVGPRsForWavesPerEU: 23
; Occupancy: 16
; WaveLimiterHint : 1
; COMPUTE_PGM_RSRC2:SCRATCH_EN: 0
; COMPUTE_PGM_RSRC2:USER_SGPR: 15
; COMPUTE_PGM_RSRC2:TRAP_HANDLER: 0
; COMPUTE_PGM_RSRC2:TGID_X_EN: 1
; COMPUTE_PGM_RSRC2:TGID_Y_EN: 0
; COMPUTE_PGM_RSRC2:TGID_Z_EN: 0
; COMPUTE_PGM_RSRC2:TIDIG_COMP_CNT: 0
	.section	.text._ZN7rocprim17ROCPRIM_400000_NS6detail17trampoline_kernelINS0_14default_configENS1_32segmented_reduce_config_selectorIN3c104HalfEEEZNS1_21segmented_reduce_implIS3_PKS6_PS6_PKiS6_N6hipcub16HIPCUB_304000_NS6detail27convert_result_type_wrapperISA_SB_N2at6native12_GLOBAL__N_110CustomProdEEEEE10hipError_tPvRmT0_T1_jT2_SS_T4_T3_P12ihipStream_tbEUlT_E_NS1_11comp_targetILNS1_3genE8ELNS1_11target_archE1030ELNS1_3gpuE2ELNS1_3repE0EEENS1_30default_config_static_selectorELNS0_4arch9wavefront6targetE0EEEvSR_,"axG",@progbits,_ZN7rocprim17ROCPRIM_400000_NS6detail17trampoline_kernelINS0_14default_configENS1_32segmented_reduce_config_selectorIN3c104HalfEEEZNS1_21segmented_reduce_implIS3_PKS6_PS6_PKiS6_N6hipcub16HIPCUB_304000_NS6detail27convert_result_type_wrapperISA_SB_N2at6native12_GLOBAL__N_110CustomProdEEEEE10hipError_tPvRmT0_T1_jT2_SS_T4_T3_P12ihipStream_tbEUlT_E_NS1_11comp_targetILNS1_3genE8ELNS1_11target_archE1030ELNS1_3gpuE2ELNS1_3repE0EEENS1_30default_config_static_selectorELNS0_4arch9wavefront6targetE0EEEvSR_,comdat
	.globl	_ZN7rocprim17ROCPRIM_400000_NS6detail17trampoline_kernelINS0_14default_configENS1_32segmented_reduce_config_selectorIN3c104HalfEEEZNS1_21segmented_reduce_implIS3_PKS6_PS6_PKiS6_N6hipcub16HIPCUB_304000_NS6detail27convert_result_type_wrapperISA_SB_N2at6native12_GLOBAL__N_110CustomProdEEEEE10hipError_tPvRmT0_T1_jT2_SS_T4_T3_P12ihipStream_tbEUlT_E_NS1_11comp_targetILNS1_3genE8ELNS1_11target_archE1030ELNS1_3gpuE2ELNS1_3repE0EEENS1_30default_config_static_selectorELNS0_4arch9wavefront6targetE0EEEvSR_ ; -- Begin function _ZN7rocprim17ROCPRIM_400000_NS6detail17trampoline_kernelINS0_14default_configENS1_32segmented_reduce_config_selectorIN3c104HalfEEEZNS1_21segmented_reduce_implIS3_PKS6_PS6_PKiS6_N6hipcub16HIPCUB_304000_NS6detail27convert_result_type_wrapperISA_SB_N2at6native12_GLOBAL__N_110CustomProdEEEEE10hipError_tPvRmT0_T1_jT2_SS_T4_T3_P12ihipStream_tbEUlT_E_NS1_11comp_targetILNS1_3genE8ELNS1_11target_archE1030ELNS1_3gpuE2ELNS1_3repE0EEENS1_30default_config_static_selectorELNS0_4arch9wavefront6targetE0EEEvSR_
	.p2align	8
	.type	_ZN7rocprim17ROCPRIM_400000_NS6detail17trampoline_kernelINS0_14default_configENS1_32segmented_reduce_config_selectorIN3c104HalfEEEZNS1_21segmented_reduce_implIS3_PKS6_PS6_PKiS6_N6hipcub16HIPCUB_304000_NS6detail27convert_result_type_wrapperISA_SB_N2at6native12_GLOBAL__N_110CustomProdEEEEE10hipError_tPvRmT0_T1_jT2_SS_T4_T3_P12ihipStream_tbEUlT_E_NS1_11comp_targetILNS1_3genE8ELNS1_11target_archE1030ELNS1_3gpuE2ELNS1_3repE0EEENS1_30default_config_static_selectorELNS0_4arch9wavefront6targetE0EEEvSR_,@function
_ZN7rocprim17ROCPRIM_400000_NS6detail17trampoline_kernelINS0_14default_configENS1_32segmented_reduce_config_selectorIN3c104HalfEEEZNS1_21segmented_reduce_implIS3_PKS6_PS6_PKiS6_N6hipcub16HIPCUB_304000_NS6detail27convert_result_type_wrapperISA_SB_N2at6native12_GLOBAL__N_110CustomProdEEEEE10hipError_tPvRmT0_T1_jT2_SS_T4_T3_P12ihipStream_tbEUlT_E_NS1_11comp_targetILNS1_3genE8ELNS1_11target_archE1030ELNS1_3gpuE2ELNS1_3repE0EEENS1_30default_config_static_selectorELNS0_4arch9wavefront6targetE0EEEvSR_: ; @_ZN7rocprim17ROCPRIM_400000_NS6detail17trampoline_kernelINS0_14default_configENS1_32segmented_reduce_config_selectorIN3c104HalfEEEZNS1_21segmented_reduce_implIS3_PKS6_PS6_PKiS6_N6hipcub16HIPCUB_304000_NS6detail27convert_result_type_wrapperISA_SB_N2at6native12_GLOBAL__N_110CustomProdEEEEE10hipError_tPvRmT0_T1_jT2_SS_T4_T3_P12ihipStream_tbEUlT_E_NS1_11comp_targetILNS1_3genE8ELNS1_11target_archE1030ELNS1_3gpuE2ELNS1_3repE0EEENS1_30default_config_static_selectorELNS0_4arch9wavefront6targetE0EEEvSR_
; %bb.0:
	.section	.rodata,"a",@progbits
	.p2align	6, 0x0
	.amdhsa_kernel _ZN7rocprim17ROCPRIM_400000_NS6detail17trampoline_kernelINS0_14default_configENS1_32segmented_reduce_config_selectorIN3c104HalfEEEZNS1_21segmented_reduce_implIS3_PKS6_PS6_PKiS6_N6hipcub16HIPCUB_304000_NS6detail27convert_result_type_wrapperISA_SB_N2at6native12_GLOBAL__N_110CustomProdEEEEE10hipError_tPvRmT0_T1_jT2_SS_T4_T3_P12ihipStream_tbEUlT_E_NS1_11comp_targetILNS1_3genE8ELNS1_11target_archE1030ELNS1_3gpuE2ELNS1_3repE0EEENS1_30default_config_static_selectorELNS0_4arch9wavefront6targetE0EEEvSR_
		.amdhsa_group_segment_fixed_size 0
		.amdhsa_private_segment_fixed_size 0
		.amdhsa_kernarg_size 48
		.amdhsa_user_sgpr_count 15
		.amdhsa_user_sgpr_dispatch_ptr 0
		.amdhsa_user_sgpr_queue_ptr 0
		.amdhsa_user_sgpr_kernarg_segment_ptr 1
		.amdhsa_user_sgpr_dispatch_id 0
		.amdhsa_user_sgpr_private_segment_size 0
		.amdhsa_wavefront_size32 1
		.amdhsa_uses_dynamic_stack 0
		.amdhsa_enable_private_segment 0
		.amdhsa_system_sgpr_workgroup_id_x 1
		.amdhsa_system_sgpr_workgroup_id_y 0
		.amdhsa_system_sgpr_workgroup_id_z 0
		.amdhsa_system_sgpr_workgroup_info 0
		.amdhsa_system_vgpr_workitem_id 0
		.amdhsa_next_free_vgpr 1
		.amdhsa_next_free_sgpr 1
		.amdhsa_reserve_vcc 0
		.amdhsa_float_round_mode_32 0
		.amdhsa_float_round_mode_16_64 0
		.amdhsa_float_denorm_mode_32 3
		.amdhsa_float_denorm_mode_16_64 3
		.amdhsa_dx10_clamp 1
		.amdhsa_ieee_mode 1
		.amdhsa_fp16_overflow 0
		.amdhsa_workgroup_processor_mode 1
		.amdhsa_memory_ordered 1
		.amdhsa_forward_progress 0
		.amdhsa_shared_vgpr_count 0
		.amdhsa_exception_fp_ieee_invalid_op 0
		.amdhsa_exception_fp_denorm_src 0
		.amdhsa_exception_fp_ieee_div_zero 0
		.amdhsa_exception_fp_ieee_overflow 0
		.amdhsa_exception_fp_ieee_underflow 0
		.amdhsa_exception_fp_ieee_inexact 0
		.amdhsa_exception_int_div_zero 0
	.end_amdhsa_kernel
	.section	.text._ZN7rocprim17ROCPRIM_400000_NS6detail17trampoline_kernelINS0_14default_configENS1_32segmented_reduce_config_selectorIN3c104HalfEEEZNS1_21segmented_reduce_implIS3_PKS6_PS6_PKiS6_N6hipcub16HIPCUB_304000_NS6detail27convert_result_type_wrapperISA_SB_N2at6native12_GLOBAL__N_110CustomProdEEEEE10hipError_tPvRmT0_T1_jT2_SS_T4_T3_P12ihipStream_tbEUlT_E_NS1_11comp_targetILNS1_3genE8ELNS1_11target_archE1030ELNS1_3gpuE2ELNS1_3repE0EEENS1_30default_config_static_selectorELNS0_4arch9wavefront6targetE0EEEvSR_,"axG",@progbits,_ZN7rocprim17ROCPRIM_400000_NS6detail17trampoline_kernelINS0_14default_configENS1_32segmented_reduce_config_selectorIN3c104HalfEEEZNS1_21segmented_reduce_implIS3_PKS6_PS6_PKiS6_N6hipcub16HIPCUB_304000_NS6detail27convert_result_type_wrapperISA_SB_N2at6native12_GLOBAL__N_110CustomProdEEEEE10hipError_tPvRmT0_T1_jT2_SS_T4_T3_P12ihipStream_tbEUlT_E_NS1_11comp_targetILNS1_3genE8ELNS1_11target_archE1030ELNS1_3gpuE2ELNS1_3repE0EEENS1_30default_config_static_selectorELNS0_4arch9wavefront6targetE0EEEvSR_,comdat
.Lfunc_end109:
	.size	_ZN7rocprim17ROCPRIM_400000_NS6detail17trampoline_kernelINS0_14default_configENS1_32segmented_reduce_config_selectorIN3c104HalfEEEZNS1_21segmented_reduce_implIS3_PKS6_PS6_PKiS6_N6hipcub16HIPCUB_304000_NS6detail27convert_result_type_wrapperISA_SB_N2at6native12_GLOBAL__N_110CustomProdEEEEE10hipError_tPvRmT0_T1_jT2_SS_T4_T3_P12ihipStream_tbEUlT_E_NS1_11comp_targetILNS1_3genE8ELNS1_11target_archE1030ELNS1_3gpuE2ELNS1_3repE0EEENS1_30default_config_static_selectorELNS0_4arch9wavefront6targetE0EEEvSR_, .Lfunc_end109-_ZN7rocprim17ROCPRIM_400000_NS6detail17trampoline_kernelINS0_14default_configENS1_32segmented_reduce_config_selectorIN3c104HalfEEEZNS1_21segmented_reduce_implIS3_PKS6_PS6_PKiS6_N6hipcub16HIPCUB_304000_NS6detail27convert_result_type_wrapperISA_SB_N2at6native12_GLOBAL__N_110CustomProdEEEEE10hipError_tPvRmT0_T1_jT2_SS_T4_T3_P12ihipStream_tbEUlT_E_NS1_11comp_targetILNS1_3genE8ELNS1_11target_archE1030ELNS1_3gpuE2ELNS1_3repE0EEENS1_30default_config_static_selectorELNS0_4arch9wavefront6targetE0EEEvSR_
                                        ; -- End function
	.section	.AMDGPU.csdata,"",@progbits
; Kernel info:
; codeLenInByte = 0
; NumSgprs: 0
; NumVgprs: 0
; ScratchSize: 0
; MemoryBound: 0
; FloatMode: 240
; IeeeMode: 1
; LDSByteSize: 0 bytes/workgroup (compile time only)
; SGPRBlocks: 0
; VGPRBlocks: 0
; NumSGPRsForWavesPerEU: 1
; NumVGPRsForWavesPerEU: 1
; Occupancy: 16
; WaveLimiterHint : 0
; COMPUTE_PGM_RSRC2:SCRATCH_EN: 0
; COMPUTE_PGM_RSRC2:USER_SGPR: 15
; COMPUTE_PGM_RSRC2:TRAP_HANDLER: 0
; COMPUTE_PGM_RSRC2:TGID_X_EN: 1
; COMPUTE_PGM_RSRC2:TGID_Y_EN: 0
; COMPUTE_PGM_RSRC2:TGID_Z_EN: 0
; COMPUTE_PGM_RSRC2:TIDIG_COMP_CNT: 0
	.section	.text._ZN2at6native12_GLOBAL__N_129segment_reduce_forward_kernelIN3c108BFloat16EiEEvNS0_13ReductionTypeEPT_PKS6_PKT0_SC_llbS6_lllllll,"axG",@progbits,_ZN2at6native12_GLOBAL__N_129segment_reduce_forward_kernelIN3c108BFloat16EiEEvNS0_13ReductionTypeEPT_PKS6_PKT0_SC_llbS6_lllllll,comdat
	.globl	_ZN2at6native12_GLOBAL__N_129segment_reduce_forward_kernelIN3c108BFloat16EiEEvNS0_13ReductionTypeEPT_PKS6_PKT0_SC_llbS6_lllllll ; -- Begin function _ZN2at6native12_GLOBAL__N_129segment_reduce_forward_kernelIN3c108BFloat16EiEEvNS0_13ReductionTypeEPT_PKS6_PKT0_SC_llbS6_lllllll
	.p2align	8
	.type	_ZN2at6native12_GLOBAL__N_129segment_reduce_forward_kernelIN3c108BFloat16EiEEvNS0_13ReductionTypeEPT_PKS6_PKT0_SC_llbS6_lllllll,@function
_ZN2at6native12_GLOBAL__N_129segment_reduce_forward_kernelIN3c108BFloat16EiEEvNS0_13ReductionTypeEPT_PKS6_PKT0_SC_llbS6_lllllll: ; @_ZN2at6native12_GLOBAL__N_129segment_reduce_forward_kernelIN3c108BFloat16EiEEvNS0_13ReductionTypeEPT_PKS6_PKT0_SC_llbS6_lllllll
; %bb.0:
	s_clause 0x2
	s_load_b128 s[28:31], s[0:1], 0x28
	s_load_b32 s2, s[0:1], 0x84
	s_load_b256 s[20:27], s[0:1], 0x40
	v_mov_b32_e32 v4, 0
	s_delay_alu instid0(VALU_DEP_1)
	v_mov_b32_e32 v1, v4
	s_waitcnt lgkmcnt(0)
	s_and_b32 s2, s2, 0xffff
	s_mul_i32 s3, s20, s29
	s_mul_hi_u32 s4, s20, s28
	s_mul_i32 s5, s21, s28
	s_mul_i32 s6, s20, s28
	v_mad_u64_u32 v[2:3], null, s2, s15, v[0:1]
	s_add_i32 s2, s4, s3
	s_mul_i32 s3, s6, s23
	s_mul_hi_u32 s4, s6, s22
	s_add_i32 s2, s2, s5
	s_add_i32 s3, s4, s3
	s_mul_i32 s2, s2, s22
	s_delay_alu instid0(SALU_CYCLE_1) | instskip(SKIP_1) | instid1(SALU_CYCLE_1)
	s_add_i32 s3, s3, s2
	s_mul_i32 s2, s6, s22
	v_cmp_gt_i64_e32 vcc_lo, s[2:3], v[2:3]
	s_and_saveexec_b32 s2, vcc_lo
	s_cbranch_execz .LBB110_37
; %bb.1:
	v_or_b32_e32 v5, s23, v3
                                        ; implicit-def: $vgpr8_vgpr9
	s_mov_b32 s2, exec_lo
	s_delay_alu instid0(VALU_DEP_1)
	v_cmpx_ne_u64_e32 0, v[4:5]
	s_xor_b32 s3, exec_lo, s2
	s_cbranch_execz .LBB110_3
; %bb.2:
	s_ashr_i32 s4, s23, 31
	s_delay_alu instid0(SALU_CYCLE_1) | instskip(SKIP_2) | instid1(SALU_CYCLE_1)
	s_add_u32 s6, s22, s4
	s_mov_b32 s5, s4
	s_addc_u32 s7, s23, s4
	s_xor_b64 s[6:7], s[6:7], s[4:5]
	s_delay_alu instid0(SALU_CYCLE_1) | instskip(SKIP_3) | instid1(VALU_DEP_1)
	v_cvt_f32_u32_e32 v0, s6
	v_cvt_f32_u32_e32 v1, s7
	s_sub_u32 s2, 0, s6
	s_subb_u32 s5, 0, s7
	v_fmamk_f32 v0, v1, 0x4f800000, v0
	s_delay_alu instid0(VALU_DEP_1) | instskip(SKIP_2) | instid1(VALU_DEP_1)
	v_rcp_f32_e32 v0, v0
	s_waitcnt_depctr 0xfff
	v_mul_f32_e32 v0, 0x5f7ffffc, v0
	v_mul_f32_e32 v1, 0x2f800000, v0
	s_delay_alu instid0(VALU_DEP_1) | instskip(NEXT) | instid1(VALU_DEP_1)
	v_trunc_f32_e32 v1, v1
	v_fmamk_f32 v0, v1, 0xcf800000, v0
	v_cvt_u32_f32_e32 v1, v1
	s_delay_alu instid0(VALU_DEP_2) | instskip(NEXT) | instid1(VALU_DEP_2)
	v_cvt_u32_f32_e32 v0, v0
	v_mul_lo_u32 v4, s2, v1
	s_delay_alu instid0(VALU_DEP_2) | instskip(SKIP_1) | instid1(VALU_DEP_2)
	v_mul_hi_u32 v5, s2, v0
	v_mul_lo_u32 v6, s5, v0
	v_add_nc_u32_e32 v4, v5, v4
	v_mul_lo_u32 v5, s2, v0
	s_delay_alu instid0(VALU_DEP_2) | instskip(NEXT) | instid1(VALU_DEP_2)
	v_add_nc_u32_e32 v4, v4, v6
	v_mul_hi_u32 v6, v0, v5
	s_delay_alu instid0(VALU_DEP_2)
	v_mul_lo_u32 v7, v0, v4
	v_mul_hi_u32 v8, v0, v4
	v_mul_hi_u32 v9, v1, v5
	v_mul_lo_u32 v5, v1, v5
	v_mul_hi_u32 v10, v1, v4
	v_mul_lo_u32 v4, v1, v4
	v_add_co_u32 v6, vcc_lo, v6, v7
	v_add_co_ci_u32_e32 v7, vcc_lo, 0, v8, vcc_lo
	s_delay_alu instid0(VALU_DEP_2) | instskip(NEXT) | instid1(VALU_DEP_2)
	v_add_co_u32 v5, vcc_lo, v6, v5
	v_add_co_ci_u32_e32 v5, vcc_lo, v7, v9, vcc_lo
	v_add_co_ci_u32_e32 v6, vcc_lo, 0, v10, vcc_lo
	v_ashrrev_i32_e32 v9, 31, v3
	s_delay_alu instid0(VALU_DEP_3) | instskip(NEXT) | instid1(VALU_DEP_3)
	v_add_co_u32 v4, vcc_lo, v5, v4
	v_add_co_ci_u32_e32 v5, vcc_lo, 0, v6, vcc_lo
	s_delay_alu instid0(VALU_DEP_2) | instskip(NEXT) | instid1(VALU_DEP_2)
	v_add_co_u32 v0, vcc_lo, v0, v4
	v_add_co_ci_u32_e32 v1, vcc_lo, v1, v5, vcc_lo
	s_delay_alu instid0(VALU_DEP_2) | instskip(SKIP_1) | instid1(VALU_DEP_3)
	v_mul_hi_u32 v4, s2, v0
	v_mul_lo_u32 v6, s5, v0
	v_mul_lo_u32 v5, s2, v1
	s_delay_alu instid0(VALU_DEP_1) | instskip(SKIP_1) | instid1(VALU_DEP_2)
	v_add_nc_u32_e32 v4, v4, v5
	v_mul_lo_u32 v5, s2, v0
	v_add_nc_u32_e32 v4, v4, v6
	s_delay_alu instid0(VALU_DEP_2) | instskip(NEXT) | instid1(VALU_DEP_2)
	v_mul_hi_u32 v6, v0, v5
	v_mul_lo_u32 v7, v0, v4
	v_mul_hi_u32 v8, v0, v4
	v_mul_hi_u32 v10, v1, v5
	v_mul_lo_u32 v5, v1, v5
	v_mul_hi_u32 v11, v1, v4
	v_mul_lo_u32 v4, v1, v4
	v_add_co_u32 v6, vcc_lo, v6, v7
	v_add_co_ci_u32_e32 v7, vcc_lo, 0, v8, vcc_lo
	s_delay_alu instid0(VALU_DEP_2) | instskip(NEXT) | instid1(VALU_DEP_2)
	v_add_co_u32 v5, vcc_lo, v6, v5
	v_add_co_ci_u32_e32 v5, vcc_lo, v7, v10, vcc_lo
	v_add_co_ci_u32_e32 v6, vcc_lo, 0, v11, vcc_lo
	v_add_co_u32 v7, vcc_lo, v2, v9
	v_add_co_ci_u32_e32 v8, vcc_lo, v3, v9, vcc_lo
	s_delay_alu instid0(VALU_DEP_4) | instskip(NEXT) | instid1(VALU_DEP_4)
	v_add_co_u32 v4, vcc_lo, v5, v4
	v_add_co_ci_u32_e32 v5, vcc_lo, 0, v6, vcc_lo
	s_delay_alu instid0(VALU_DEP_4) | instskip(NEXT) | instid1(VALU_DEP_3)
	v_xor_b32_e32 v10, v7, v9
	v_add_co_u32 v6, vcc_lo, v0, v4
	s_delay_alu instid0(VALU_DEP_3) | instskip(SKIP_1) | instid1(VALU_DEP_3)
	v_add_co_ci_u32_e32 v11, vcc_lo, v1, v5, vcc_lo
	v_xor_b32_e32 v8, v8, v9
	v_mul_hi_u32 v12, v10, v6
	s_delay_alu instid0(VALU_DEP_3) | instskip(NEXT) | instid1(VALU_DEP_3)
	v_mad_u64_u32 v[0:1], null, v10, v11, 0
	v_mad_u64_u32 v[4:5], null, v8, v6, 0
	;; [unrolled: 1-line block ×3, first 2 shown]
	s_delay_alu instid0(VALU_DEP_3) | instskip(NEXT) | instid1(VALU_DEP_4)
	v_add_co_u32 v0, vcc_lo, v12, v0
	v_add_co_ci_u32_e32 v1, vcc_lo, 0, v1, vcc_lo
	s_delay_alu instid0(VALU_DEP_2) | instskip(NEXT) | instid1(VALU_DEP_2)
	v_add_co_u32 v0, vcc_lo, v0, v4
	v_add_co_ci_u32_e32 v0, vcc_lo, v1, v5, vcc_lo
	v_add_co_ci_u32_e32 v1, vcc_lo, 0, v7, vcc_lo
	s_delay_alu instid0(VALU_DEP_2) | instskip(NEXT) | instid1(VALU_DEP_2)
	v_add_co_u32 v4, vcc_lo, v0, v6
	v_add_co_ci_u32_e32 v5, vcc_lo, 0, v1, vcc_lo
	s_delay_alu instid0(VALU_DEP_2) | instskip(SKIP_1) | instid1(VALU_DEP_3)
	v_mul_lo_u32 v6, s7, v4
	v_mad_u64_u32 v[0:1], null, s6, v4, 0
	v_mul_lo_u32 v7, s6, v5
	s_delay_alu instid0(VALU_DEP_2) | instskip(NEXT) | instid1(VALU_DEP_2)
	v_sub_co_u32 v0, vcc_lo, v10, v0
	v_add3_u32 v1, v1, v7, v6
	s_delay_alu instid0(VALU_DEP_1) | instskip(NEXT) | instid1(VALU_DEP_1)
	v_sub_nc_u32_e32 v6, v8, v1
	v_subrev_co_ci_u32_e64 v6, s2, s7, v6, vcc_lo
	v_add_co_u32 v7, s2, v4, 2
	s_delay_alu instid0(VALU_DEP_1) | instskip(SKIP_3) | instid1(VALU_DEP_3)
	v_add_co_ci_u32_e64 v10, s2, 0, v5, s2
	v_sub_co_u32 v11, s2, v0, s6
	v_sub_co_ci_u32_e32 v1, vcc_lo, v8, v1, vcc_lo
	v_subrev_co_ci_u32_e64 v6, s2, 0, v6, s2
	v_cmp_le_u32_e32 vcc_lo, s6, v11
	s_delay_alu instid0(VALU_DEP_3) | instskip(SKIP_1) | instid1(VALU_DEP_4)
	v_cmp_eq_u32_e64 s2, s7, v1
	v_cndmask_b32_e64 v8, 0, -1, vcc_lo
	v_cmp_le_u32_e32 vcc_lo, s7, v6
	v_cndmask_b32_e64 v11, 0, -1, vcc_lo
	v_cmp_le_u32_e32 vcc_lo, s6, v0
	;; [unrolled: 2-line block ×3, first 2 shown]
	v_cndmask_b32_e64 v12, 0, -1, vcc_lo
	v_cmp_eq_u32_e32 vcc_lo, s7, v6
	s_delay_alu instid0(VALU_DEP_2) | instskip(SKIP_3) | instid1(VALU_DEP_3)
	v_cndmask_b32_e64 v0, v12, v0, s2
	v_cndmask_b32_e32 v6, v11, v8, vcc_lo
	v_add_co_u32 v8, vcc_lo, v4, 1
	v_add_co_ci_u32_e32 v11, vcc_lo, 0, v5, vcc_lo
	v_cmp_ne_u32_e32 vcc_lo, 0, v6
	s_delay_alu instid0(VALU_DEP_2) | instskip(SKIP_2) | instid1(VALU_DEP_3)
	v_dual_cndmask_b32 v1, v11, v10 :: v_dual_cndmask_b32 v6, v8, v7
	v_cmp_ne_u32_e32 vcc_lo, 0, v0
	v_xor_b32_e32 v0, s4, v9
	v_dual_cndmask_b32 v4, v4, v6 :: v_dual_cndmask_b32 v1, v5, v1
	s_delay_alu instid0(VALU_DEP_1) | instskip(NEXT) | instid1(VALU_DEP_2)
	v_xor_b32_e32 v4, v4, v0
	v_xor_b32_e32 v1, v1, v0
	s_delay_alu instid0(VALU_DEP_2) | instskip(NEXT) | instid1(VALU_DEP_2)
	v_sub_co_u32 v8, vcc_lo, v4, v0
	v_sub_co_ci_u32_e32 v9, vcc_lo, v1, v0, vcc_lo
.LBB110_3:
	s_or_saveexec_b32 s2, s3
	s_clause 0x1
	s_load_b256 s[4:11], s[0:1], 0x8
	s_load_b256 s[12:19], s[0:1], 0x60
	s_xor_b32 exec_lo, exec_lo, s2
	s_cbranch_execz .LBB110_5
; %bb.4:
	v_cvt_f32_u32_e32 v0, s22
	s_sub_i32 s3, 0, s22
	v_mov_b32_e32 v9, 0
	s_delay_alu instid0(VALU_DEP_2) | instskip(SKIP_2) | instid1(VALU_DEP_1)
	v_rcp_iflag_f32_e32 v0, v0
	s_waitcnt_depctr 0xfff
	v_mul_f32_e32 v0, 0x4f7ffffe, v0
	v_cvt_u32_f32_e32 v0, v0
	s_delay_alu instid0(VALU_DEP_1) | instskip(NEXT) | instid1(VALU_DEP_1)
	v_mul_lo_u32 v1, s3, v0
	v_mul_hi_u32 v1, v0, v1
	s_delay_alu instid0(VALU_DEP_1) | instskip(NEXT) | instid1(VALU_DEP_1)
	v_add_nc_u32_e32 v0, v0, v1
	v_mul_hi_u32 v0, v2, v0
	s_delay_alu instid0(VALU_DEP_1) | instskip(SKIP_1) | instid1(VALU_DEP_2)
	v_mul_lo_u32 v1, v0, s22
	v_add_nc_u32_e32 v4, 1, v0
	v_sub_nc_u32_e32 v1, v2, v1
	s_delay_alu instid0(VALU_DEP_1) | instskip(SKIP_1) | instid1(VALU_DEP_2)
	v_subrev_nc_u32_e32 v5, s22, v1
	v_cmp_le_u32_e32 vcc_lo, s22, v1
	v_dual_cndmask_b32 v1, v1, v5 :: v_dual_cndmask_b32 v0, v0, v4
	s_delay_alu instid0(VALU_DEP_1) | instskip(NEXT) | instid1(VALU_DEP_2)
	v_cmp_le_u32_e32 vcc_lo, s22, v1
	v_add_nc_u32_e32 v4, 1, v0
	s_delay_alu instid0(VALU_DEP_1)
	v_cndmask_b32_e32 v8, v0, v4, vcc_lo
.LBB110_5:
	s_or_b32 exec_lo, exec_lo, s2
	v_or_b32_e32 v1, s29, v9
	v_mov_b32_e32 v0, 0
	s_delay_alu instid0(VALU_DEP_1) | instskip(SKIP_1) | instid1(SALU_CYCLE_1)
	v_cmp_ne_u64_e32 vcc_lo, 0, v[0:1]
                                        ; implicit-def: $vgpr0_vgpr1
	s_and_saveexec_b32 s2, vcc_lo
	s_xor_b32 s3, exec_lo, s2
	s_cbranch_execz .LBB110_7
; %bb.6:
	s_waitcnt lgkmcnt(0)
	s_ashr_i32 s18, s29, 31
	s_delay_alu instid0(SALU_CYCLE_1) | instskip(SKIP_2) | instid1(SALU_CYCLE_1)
	s_add_u32 s20, s28, s18
	s_mov_b32 s19, s18
	s_addc_u32 s21, s29, s18
	s_xor_b64 s[20:21], s[20:21], s[18:19]
	s_delay_alu instid0(SALU_CYCLE_1) | instskip(SKIP_3) | instid1(VALU_DEP_1)
	v_cvt_f32_u32_e32 v0, s20
	v_cvt_f32_u32_e32 v1, s21
	s_sub_u32 s2, 0, s20
	s_subb_u32 s19, 0, s21
	v_fmamk_f32 v0, v1, 0x4f800000, v0
	s_delay_alu instid0(VALU_DEP_1) | instskip(SKIP_2) | instid1(VALU_DEP_1)
	v_rcp_f32_e32 v0, v0
	s_waitcnt_depctr 0xfff
	v_mul_f32_e32 v0, 0x5f7ffffc, v0
	v_mul_f32_e32 v1, 0x2f800000, v0
	s_delay_alu instid0(VALU_DEP_1) | instskip(NEXT) | instid1(VALU_DEP_1)
	v_trunc_f32_e32 v1, v1
	v_fmamk_f32 v0, v1, 0xcf800000, v0
	v_cvt_u32_f32_e32 v1, v1
	s_delay_alu instid0(VALU_DEP_2) | instskip(NEXT) | instid1(VALU_DEP_2)
	v_cvt_u32_f32_e32 v0, v0
	v_mul_lo_u32 v4, s2, v1
	s_delay_alu instid0(VALU_DEP_2) | instskip(SKIP_1) | instid1(VALU_DEP_2)
	v_mul_hi_u32 v5, s2, v0
	v_mul_lo_u32 v6, s19, v0
	v_add_nc_u32_e32 v4, v5, v4
	v_mul_lo_u32 v5, s2, v0
	s_delay_alu instid0(VALU_DEP_2) | instskip(NEXT) | instid1(VALU_DEP_2)
	v_add_nc_u32_e32 v4, v4, v6
	v_mul_hi_u32 v6, v0, v5
	s_delay_alu instid0(VALU_DEP_2)
	v_mul_lo_u32 v7, v0, v4
	v_mul_hi_u32 v10, v0, v4
	v_mul_hi_u32 v11, v1, v5
	v_mul_lo_u32 v5, v1, v5
	v_mul_hi_u32 v12, v1, v4
	v_mul_lo_u32 v4, v1, v4
	v_add_co_u32 v6, vcc_lo, v6, v7
	v_add_co_ci_u32_e32 v7, vcc_lo, 0, v10, vcc_lo
	s_delay_alu instid0(VALU_DEP_2) | instskip(NEXT) | instid1(VALU_DEP_2)
	v_add_co_u32 v5, vcc_lo, v6, v5
	v_add_co_ci_u32_e32 v5, vcc_lo, v7, v11, vcc_lo
	v_add_co_ci_u32_e32 v6, vcc_lo, 0, v12, vcc_lo
	v_ashrrev_i32_e32 v11, 31, v9
	s_delay_alu instid0(VALU_DEP_3) | instskip(NEXT) | instid1(VALU_DEP_3)
	v_add_co_u32 v4, vcc_lo, v5, v4
	v_add_co_ci_u32_e32 v5, vcc_lo, 0, v6, vcc_lo
	s_delay_alu instid0(VALU_DEP_2) | instskip(NEXT) | instid1(VALU_DEP_2)
	v_add_co_u32 v0, vcc_lo, v0, v4
	v_add_co_ci_u32_e32 v1, vcc_lo, v1, v5, vcc_lo
	s_delay_alu instid0(VALU_DEP_2) | instskip(SKIP_1) | instid1(VALU_DEP_3)
	v_mul_hi_u32 v4, s2, v0
	v_mul_lo_u32 v6, s19, v0
	v_mul_lo_u32 v5, s2, v1
	s_delay_alu instid0(VALU_DEP_1) | instskip(SKIP_1) | instid1(VALU_DEP_2)
	v_add_nc_u32_e32 v4, v4, v5
	v_mul_lo_u32 v5, s2, v0
	v_add_nc_u32_e32 v4, v4, v6
	s_delay_alu instid0(VALU_DEP_2) | instskip(NEXT) | instid1(VALU_DEP_2)
	v_mul_hi_u32 v6, v0, v5
	v_mul_lo_u32 v7, v0, v4
	v_mul_hi_u32 v10, v0, v4
	v_mul_hi_u32 v12, v1, v5
	v_mul_lo_u32 v5, v1, v5
	v_mul_hi_u32 v13, v1, v4
	v_mul_lo_u32 v4, v1, v4
	v_add_co_u32 v6, vcc_lo, v6, v7
	v_add_co_ci_u32_e32 v7, vcc_lo, 0, v10, vcc_lo
	s_delay_alu instid0(VALU_DEP_2) | instskip(NEXT) | instid1(VALU_DEP_2)
	v_add_co_u32 v5, vcc_lo, v6, v5
	v_add_co_ci_u32_e32 v5, vcc_lo, v7, v12, vcc_lo
	v_add_co_ci_u32_e32 v6, vcc_lo, 0, v13, vcc_lo
	v_add_co_u32 v7, vcc_lo, v8, v11
	v_add_co_ci_u32_e32 v10, vcc_lo, v9, v11, vcc_lo
	s_delay_alu instid0(VALU_DEP_4) | instskip(NEXT) | instid1(VALU_DEP_4)
	v_add_co_u32 v4, vcc_lo, v5, v4
	v_add_co_ci_u32_e32 v5, vcc_lo, 0, v6, vcc_lo
	s_delay_alu instid0(VALU_DEP_4) | instskip(NEXT) | instid1(VALU_DEP_3)
	v_xor_b32_e32 v12, v7, v11
	v_add_co_u32 v6, vcc_lo, v0, v4
	s_delay_alu instid0(VALU_DEP_3) | instskip(SKIP_1) | instid1(VALU_DEP_3)
	v_add_co_ci_u32_e32 v13, vcc_lo, v1, v5, vcc_lo
	v_xor_b32_e32 v10, v10, v11
	v_mul_hi_u32 v14, v12, v6
	s_delay_alu instid0(VALU_DEP_3) | instskip(NEXT) | instid1(VALU_DEP_3)
	v_mad_u64_u32 v[0:1], null, v12, v13, 0
	v_mad_u64_u32 v[4:5], null, v10, v6, 0
	;; [unrolled: 1-line block ×3, first 2 shown]
	s_delay_alu instid0(VALU_DEP_3) | instskip(NEXT) | instid1(VALU_DEP_4)
	v_add_co_u32 v0, vcc_lo, v14, v0
	v_add_co_ci_u32_e32 v1, vcc_lo, 0, v1, vcc_lo
	s_delay_alu instid0(VALU_DEP_2) | instskip(NEXT) | instid1(VALU_DEP_2)
	v_add_co_u32 v0, vcc_lo, v0, v4
	v_add_co_ci_u32_e32 v0, vcc_lo, v1, v5, vcc_lo
	v_add_co_ci_u32_e32 v1, vcc_lo, 0, v7, vcc_lo
	s_delay_alu instid0(VALU_DEP_2) | instskip(NEXT) | instid1(VALU_DEP_2)
	v_add_co_u32 v4, vcc_lo, v0, v6
	v_add_co_ci_u32_e32 v5, vcc_lo, 0, v1, vcc_lo
	s_delay_alu instid0(VALU_DEP_2) | instskip(SKIP_1) | instid1(VALU_DEP_3)
	v_mul_lo_u32 v6, s21, v4
	v_mad_u64_u32 v[0:1], null, s20, v4, 0
	v_mul_lo_u32 v7, s20, v5
	s_delay_alu instid0(VALU_DEP_2) | instskip(NEXT) | instid1(VALU_DEP_2)
	v_sub_co_u32 v0, vcc_lo, v12, v0
	v_add3_u32 v1, v1, v7, v6
	s_delay_alu instid0(VALU_DEP_1) | instskip(NEXT) | instid1(VALU_DEP_1)
	v_sub_nc_u32_e32 v6, v10, v1
	v_subrev_co_ci_u32_e64 v6, s2, s21, v6, vcc_lo
	v_add_co_u32 v7, s2, v4, 2
	s_delay_alu instid0(VALU_DEP_1) | instskip(SKIP_3) | instid1(VALU_DEP_3)
	v_add_co_ci_u32_e64 v12, s2, 0, v5, s2
	v_sub_co_u32 v13, s2, v0, s20
	v_sub_co_ci_u32_e32 v1, vcc_lo, v10, v1, vcc_lo
	v_subrev_co_ci_u32_e64 v6, s2, 0, v6, s2
	v_cmp_le_u32_e32 vcc_lo, s20, v13
	s_delay_alu instid0(VALU_DEP_3) | instskip(SKIP_1) | instid1(VALU_DEP_4)
	v_cmp_eq_u32_e64 s2, s21, v1
	v_cndmask_b32_e64 v10, 0, -1, vcc_lo
	v_cmp_le_u32_e32 vcc_lo, s21, v6
	v_cndmask_b32_e64 v13, 0, -1, vcc_lo
	v_cmp_le_u32_e32 vcc_lo, s20, v0
	v_cndmask_b32_e64 v0, 0, -1, vcc_lo
	v_cmp_le_u32_e32 vcc_lo, s21, v1
	v_cndmask_b32_e64 v14, 0, -1, vcc_lo
	v_cmp_eq_u32_e32 vcc_lo, s21, v6
	s_delay_alu instid0(VALU_DEP_2) | instskip(SKIP_3) | instid1(VALU_DEP_3)
	v_cndmask_b32_e64 v0, v14, v0, s2
	v_cndmask_b32_e32 v6, v13, v10, vcc_lo
	v_add_co_u32 v10, vcc_lo, v4, 1
	v_add_co_ci_u32_e32 v13, vcc_lo, 0, v5, vcc_lo
	v_cmp_ne_u32_e32 vcc_lo, 0, v6
	s_delay_alu instid0(VALU_DEP_2) | instskip(SKIP_2) | instid1(VALU_DEP_3)
	v_dual_cndmask_b32 v1, v13, v12 :: v_dual_cndmask_b32 v6, v10, v7
	v_cmp_ne_u32_e32 vcc_lo, 0, v0
	v_xor_b32_e32 v7, s18, v11
	v_dual_cndmask_b32 v0, v5, v1 :: v_dual_cndmask_b32 v1, v4, v6
	s_delay_alu instid0(VALU_DEP_1) | instskip(NEXT) | instid1(VALU_DEP_2)
	v_xor_b32_e32 v4, v0, v7
	v_xor_b32_e32 v1, v1, v7
	s_delay_alu instid0(VALU_DEP_1) | instskip(NEXT) | instid1(VALU_DEP_3)
	v_sub_co_u32 v0, vcc_lo, v1, v7
	v_sub_co_ci_u32_e32 v1, vcc_lo, v4, v7, vcc_lo
.LBB110_7:
	s_and_not1_saveexec_b32 s2, s3
	s_cbranch_execz .LBB110_9
; %bb.8:
	v_cvt_f32_u32_e32 v0, s28
	s_sub_i32 s3, 0, s28
	s_delay_alu instid0(VALU_DEP_1) | instskip(SKIP_2) | instid1(VALU_DEP_1)
	v_rcp_iflag_f32_e32 v0, v0
	s_waitcnt_depctr 0xfff
	v_mul_f32_e32 v0, 0x4f7ffffe, v0
	v_cvt_u32_f32_e32 v0, v0
	s_delay_alu instid0(VALU_DEP_1) | instskip(NEXT) | instid1(VALU_DEP_1)
	v_mul_lo_u32 v1, s3, v0
	v_mul_hi_u32 v1, v0, v1
	s_delay_alu instid0(VALU_DEP_1) | instskip(NEXT) | instid1(VALU_DEP_1)
	v_add_nc_u32_e32 v0, v0, v1
	v_mul_hi_u32 v0, v8, v0
	s_delay_alu instid0(VALU_DEP_1) | instskip(SKIP_1) | instid1(VALU_DEP_2)
	v_mul_lo_u32 v1, v0, s28
	v_add_nc_u32_e32 v4, 1, v0
	v_sub_nc_u32_e32 v1, v8, v1
	s_delay_alu instid0(VALU_DEP_1) | instskip(SKIP_1) | instid1(VALU_DEP_2)
	v_subrev_nc_u32_e32 v5, s28, v1
	v_cmp_le_u32_e32 vcc_lo, s28, v1
	v_dual_cndmask_b32 v1, v1, v5 :: v_dual_cndmask_b32 v0, v0, v4
	s_delay_alu instid0(VALU_DEP_1) | instskip(NEXT) | instid1(VALU_DEP_2)
	v_cmp_le_u32_e32 vcc_lo, s28, v1
	v_dual_mov_b32 v1, 0 :: v_dual_add_nc_u32 v4, 1, v0
	s_delay_alu instid0(VALU_DEP_1)
	v_cndmask_b32_e32 v0, v0, v4, vcc_lo
.LBB110_9:
	s_or_b32 exec_lo, exec_lo, s2
	s_waitcnt lgkmcnt(0)
	s_load_b32 s18, s[0:1], 0x38
	v_mul_lo_u32 v4, v1, s28
	v_mul_lo_u32 v5, v0, s29
	v_mad_u64_u32 v[10:11], null, v0, s28, 0
	s_load_b32 s1, s[0:1], 0x0
	v_mul_lo_u32 v16, v8, s23
	s_delay_alu instid0(VALU_DEP_2) | instskip(NEXT) | instid1(VALU_DEP_3)
	v_add3_u32 v11, v11, v5, v4
	v_sub_co_u32 v4, vcc_lo, v8, v10
	s_delay_alu instid0(VALU_DEP_2)
	v_sub_co_ci_u32_e32 v5, vcc_lo, v9, v11, vcc_lo
	v_mul_lo_u32 v9, v9, s22
	s_waitcnt lgkmcnt(0)
	s_lshr_b32 s2, s18, 16
	s_add_u32 s3, s28, 1
	s_addc_u32 s19, s29, 0
	s_mul_i32 s17, s3, s17
	s_mul_hi_u32 s20, s3, s16
	s_mul_i32 s3, s3, s16
	s_mul_i32 s19, s19, s16
	s_add_i32 s16, s20, s17
	v_mul_lo_u32 v12, s3, v1
	s_add_i32 s16, s16, s19
	v_mad_u64_u32 v[6:7], null, s3, v0, 0
	v_mul_lo_u32 v13, s16, v0
	s_delay_alu instid0(VALU_DEP_1) | instskip(SKIP_1) | instid1(VALU_DEP_2)
	v_add3_u32 v7, v7, v12, v13
	v_lshlrev_b64 v[12:13], 2, v[4:5]
	v_lshlrev_b64 v[6:7], 2, v[6:7]
	s_delay_alu instid0(VALU_DEP_1) | instskip(NEXT) | instid1(VALU_DEP_2)
	v_add_co_u32 v6, vcc_lo, s10, v6
	v_add_co_ci_u32_e32 v7, vcc_lo, s11, v7, vcc_lo
	s_mov_b32 s10, exec_lo
	s_delay_alu instid0(VALU_DEP_2) | instskip(NEXT) | instid1(VALU_DEP_2)
	v_add_co_u32 v6, vcc_lo, v6, v12
	v_add_co_ci_u32_e32 v7, vcc_lo, v7, v13, vcc_lo
	global_load_b64 v[14:15], v[6:7], off
	v_mad_u64_u32 v[6:7], null, v8, s22, 0
	s_delay_alu instid0(VALU_DEP_1)
	v_add3_u32 v7, v7, v16, v9
	v_mov_b32_e32 v16, s2
	s_waitcnt vmcnt(0)
	v_cmpx_lt_i32_e64 v14, v15
	s_cbranch_execz .LBB110_28
; %bb.10:
	v_mul_lo_u32 v18, v1, s26
	v_mul_lo_u32 v19, v0, s27
	v_mad_u64_u32 v[8:9], null, v0, s26, 0
	v_ashrrev_i32_e32 v17, 31, v14
	v_mov_b32_e32 v16, v14
	s_cmp_lg_u32 s1, 0
	s_cselect_b32 s11, -1, 0
	s_and_b32 s0, s1, -3
	s_delay_alu instid0(VALU_DEP_3) | instskip(SKIP_2) | instid1(VALU_DEP_2)
	v_add3_u32 v9, v9, v19, v18
	v_lshlrev_b64 v[16:17], 1, v[16:17]
	s_cmp_lg_u32 s0, 1
	v_lshlrev_b64 v[8:9], 1, v[8:9]
	s_delay_alu instid0(VALU_DEP_1) | instskip(NEXT) | instid1(VALU_DEP_2)
	v_add_co_u32 v16, vcc_lo, v8, v16
	v_add_co_ci_u32_e32 v17, vcc_lo, v9, v17, vcc_lo
	v_lshlrev_b64 v[8:9], 1, v[2:3]
	s_delay_alu instid0(VALU_DEP_3) | instskip(NEXT) | instid1(VALU_DEP_3)
	v_mul_lo_u32 v21, s25, v16
	v_mul_lo_u32 v20, s24, v17
	v_mov_b32_e32 v17, s2
	s_delay_alu instid0(VALU_DEP_4) | instskip(SKIP_1) | instid1(VALU_DEP_2)
	v_mad_u64_u32 v[18:19], null, s24, v16, v[8:9]
	v_lshlrev_b64 v[8:9], 1, v[6:7]
	v_add3_u32 v16, v21, v19, v20
	s_delay_alu instid0(VALU_DEP_2) | instskip(SKIP_1) | instid1(VALU_DEP_3)
	v_sub_co_u32 v8, vcc_lo, v18, v8
	v_mov_b32_e32 v18, s2
	v_sub_co_ci_u32_e32 v9, vcc_lo, v16, v9, vcc_lo
	s_delay_alu instid0(VALU_DEP_3) | instskip(SKIP_1) | instid1(VALU_DEP_2)
	v_add_co_u32 v8, vcc_lo, s6, v8
	s_mov_b32 s6, 0
	v_add_co_ci_u32_e32 v9, vcc_lo, s7, v9, vcc_lo
	s_cselect_b32 s7, -1, 0
	s_lshl_b64 s[2:3], s[24:25], 1
	s_branch .LBB110_12
.LBB110_11:                             ;   in Loop: Header=BB110_12 Depth=1
	s_delay_alu instid0(VALU_DEP_1) | instskip(SKIP_1) | instid1(VALU_DEP_1)
	v_dual_mov_b32 v17, v16 :: v_dual_add_nc_u32 v14, 1, v14
	v_add_co_u32 v8, s0, v8, s2
	v_add_co_ci_u32_e64 v9, s0, s3, v9, s0
	s_delay_alu instid0(VALU_DEP_3) | instskip(SKIP_2) | instid1(SALU_CYCLE_1)
	v_cmp_ge_i32_e32 vcc_lo, v14, v15
	v_mov_b32_e32 v18, v20
	s_or_b32 s6, vcc_lo, s6
	s_and_not1_b32 exec_lo, exec_lo, s6
	s_cbranch_execz .LBB110_27
.LBB110_12:                             ; =>This Inner Loop Header: Depth=1
	global_load_u16 v16, v[8:9], off
	s_and_b32 vcc_lo, exec_lo, s11
	s_waitcnt vmcnt(0)
	v_and_b32_e32 v19, 0xffff, v16
	s_cbranch_vccz .LBB110_18
; %bb.13:                               ;   in Loop: Header=BB110_12 Depth=1
	s_and_b32 vcc_lo, exec_lo, s7
	s_cbranch_vccz .LBB110_19
; %bb.14:                               ;   in Loop: Header=BB110_12 Depth=1
	s_cmp_lt_i32 s1, 4
	s_cbranch_scc1 .LBB110_20
; %bb.15:                               ;   in Loop: Header=BB110_12 Depth=1
	v_mov_b32_e32 v20, v18
	v_mov_b32_e32 v16, v17
	s_cmp_eq_u32 s1, 4
	s_cbranch_scc0 .LBB110_17
; %bb.16:                               ;   in Loop: Header=BB110_12 Depth=1
	v_lshlrev_b32_e32 v16, 16, v18
	v_lshlrev_b32_e32 v20, 16, v19
	s_delay_alu instid0(VALU_DEP_1) | instskip(NEXT) | instid1(VALU_DEP_1)
	v_mul_f32_e32 v16, v20, v16
	v_bfe_u32 v20, v16, 16, 1
	v_cmp_o_f32_e32 vcc_lo, v16, v16
	s_delay_alu instid0(VALU_DEP_2) | instskip(NEXT) | instid1(VALU_DEP_1)
	v_add3_u32 v20, v16, v20, 0x7fff
	v_lshrrev_b32_e32 v20, 16, v20
	s_delay_alu instid0(VALU_DEP_1) | instskip(NEXT) | instid1(VALU_DEP_1)
	v_cndmask_b32_e32 v20, 0x7fc0, v20, vcc_lo
	v_mov_b32_e32 v16, v20
.LBB110_17:                             ;   in Loop: Header=BB110_12 Depth=1
	s_cbranch_execz .LBB110_21
	s_branch .LBB110_23
.LBB110_18:                             ;   in Loop: Header=BB110_12 Depth=1
                                        ; implicit-def: $vgpr20
                                        ; implicit-def: $vgpr16
	s_branch .LBB110_26
.LBB110_19:                             ;   in Loop: Header=BB110_12 Depth=1
                                        ; implicit-def: $vgpr20
                                        ; implicit-def: $vgpr16
	s_cbranch_execnz .LBB110_24
	s_branch .LBB110_25
.LBB110_20:                             ;   in Loop: Header=BB110_12 Depth=1
                                        ; implicit-def: $vgpr20
                                        ; implicit-def: $vgpr16
.LBB110_21:                             ;   in Loop: Header=BB110_12 Depth=1
	v_mov_b32_e32 v20, v18
	v_mov_b32_e32 v16, v17
	s_cmp_lg_u32 s1, 2
	s_cbranch_scc1 .LBB110_23
; %bb.22:                               ;   in Loop: Header=BB110_12 Depth=1
	v_lshlrev_b32_e32 v16, 16, v19
	v_lshlrev_b32_e32 v20, 16, v18
	s_delay_alu instid0(VALU_DEP_2) | instskip(NEXT) | instid1(VALU_DEP_2)
	v_cmp_u_f32_e32 vcc_lo, v16, v16
	v_cmp_lt_f32_e64 s0, v16, v20
	s_delay_alu instid0(VALU_DEP_1) | instskip(SKIP_1) | instid1(VALU_DEP_1)
	s_or_b32 vcc_lo, vcc_lo, s0
	v_cndmask_b32_e32 v20, v17, v19, vcc_lo
	v_mov_b32_e32 v16, v20
.LBB110_23:                             ;   in Loop: Header=BB110_12 Depth=1
	s_branch .LBB110_25
.LBB110_24:                             ;   in Loop: Header=BB110_12 Depth=1
	v_lshlrev_b32_e32 v16, 16, v18
	v_lshlrev_b32_e32 v20, 16, v19
	s_delay_alu instid0(VALU_DEP_1) | instskip(NEXT) | instid1(VALU_DEP_1)
	v_add_f32_e32 v16, v20, v16
	v_bfe_u32 v20, v16, 16, 1
	v_cmp_o_f32_e32 vcc_lo, v16, v16
	s_delay_alu instid0(VALU_DEP_2) | instskip(NEXT) | instid1(VALU_DEP_1)
	v_add3_u32 v20, v16, v20, 0x7fff
	v_lshrrev_b32_e32 v20, 16, v20
	s_delay_alu instid0(VALU_DEP_1) | instskip(NEXT) | instid1(VALU_DEP_1)
	v_cndmask_b32_e32 v20, 0x7fc0, v20, vcc_lo
	v_mov_b32_e32 v16, v20
.LBB110_25:                             ;   in Loop: Header=BB110_12 Depth=1
	s_cbranch_execnz .LBB110_11
.LBB110_26:                             ;   in Loop: Header=BB110_12 Depth=1
	s_delay_alu instid0(VALU_DEP_1) | instskip(SKIP_1) | instid1(VALU_DEP_2)
	v_lshlrev_b32_e32 v16, 16, v19
	v_lshlrev_b32_e32 v18, 16, v18
	v_cmp_u_f32_e32 vcc_lo, v16, v16
	s_delay_alu instid0(VALU_DEP_2) | instskip(NEXT) | instid1(VALU_DEP_1)
	v_cmp_lt_f32_e64 s0, v18, v16
	s_or_b32 vcc_lo, vcc_lo, s0
	v_cndmask_b32_e32 v16, v17, v19, vcc_lo
	s_delay_alu instid0(VALU_DEP_1)
	v_mov_b32_e32 v20, v16
	s_branch .LBB110_11
.LBB110_27:
	s_or_b32 exec_lo, exec_lo, s6
.LBB110_28:
	s_delay_alu instid0(SALU_CYCLE_1) | instskip(SKIP_4) | instid1(VALU_DEP_1)
	s_or_b32 exec_lo, exec_lo, s10
	v_mul_lo_u32 v11, v11, s30
	v_mul_lo_u32 v14, v10, s31
	v_mad_u64_u32 v[8:9], null, v10, s30, 0
	s_mov_b32 s0, exec_lo
	v_add3_u32 v9, v9, v14, v11
	s_delay_alu instid0(VALU_DEP_1) | instskip(NEXT) | instid1(VALU_DEP_1)
	v_lshlrev_b64 v[8:9], 2, v[8:9]
	v_add_co_u32 v8, vcc_lo, s8, v8
	s_delay_alu instid0(VALU_DEP_2) | instskip(NEXT) | instid1(VALU_DEP_2)
	v_add_co_ci_u32_e32 v9, vcc_lo, s9, v9, vcc_lo
	v_add_co_u32 v8, vcc_lo, v8, v12
	s_delay_alu instid0(VALU_DEP_2)
	v_add_co_ci_u32_e32 v9, vcc_lo, v9, v13, vcc_lo
	global_load_b32 v9, v[8:9], off
	s_waitcnt vmcnt(0)
	v_cmpx_lt_i32_e32 -1, v9
	s_xor_b32 s0, exec_lo, s0
	s_cbranch_execz .LBB110_36
; %bb.29:
	s_bitcmp1_b32 s18, 0
	v_cmp_ne_u32_e32 vcc_lo, 0, v9
	s_cselect_b32 s2, -1, 0
	s_cmp_lg_u32 s1, 1
	v_mov_b32_e32 v8, 0x7fc0
	s_cselect_b32 s3, -1, 0
	s_delay_alu instid0(SALU_CYCLE_1) | instskip(NEXT) | instid1(SALU_CYCLE_1)
	s_or_b32 s2, s3, s2
	s_or_b32 s3, s2, vcc_lo
	s_delay_alu instid0(SALU_CYCLE_1)
	s_and_saveexec_b32 s2, s3
	s_cbranch_execz .LBB110_35
; %bb.30:
	s_cmp_eq_u32 s1, 1
	s_cselect_b32 s1, -1, 0
	s_delay_alu instid0(SALU_CYCLE_1) | instskip(NEXT) | instid1(SALU_CYCLE_1)
	s_and_b32 s3, s1, vcc_lo
	s_and_saveexec_b32 s1, s3
	s_cbranch_execz .LBB110_34
; %bb.31:
	v_lshlrev_b32_e32 v8, 16, v16
	s_mov_b32 s3, exec_lo
	s_delay_alu instid0(VALU_DEP_1)
	v_cmpx_o_f32_e32 v8, v8
	s_cbranch_execz .LBB110_33
; %bb.32:
	v_cvt_f32_u32_e32 v9, v9
	s_delay_alu instid0(VALU_DEP_1) | instskip(NEXT) | instid1(VALU_DEP_1)
	v_bfe_u32 v10, v9, 16, 1
	v_add3_u32 v9, v9, v10, 0x7fff
	s_delay_alu instid0(VALU_DEP_1) | instskip(NEXT) | instid1(VALU_DEP_1)
	v_and_b32_e32 v9, 0xffff0000, v9
	v_div_scale_f32 v10, null, v9, v9, v8
	s_delay_alu instid0(VALU_DEP_1) | instskip(SKIP_2) | instid1(VALU_DEP_1)
	v_rcp_f32_e32 v11, v10
	s_waitcnt_depctr 0xfff
	v_fma_f32 v12, -v10, v11, 1.0
	v_fmac_f32_e32 v11, v12, v11
	v_div_scale_f32 v12, vcc_lo, v8, v9, v8
	s_delay_alu instid0(VALU_DEP_1) | instskip(NEXT) | instid1(VALU_DEP_1)
	v_mul_f32_e32 v13, v12, v11
	v_fma_f32 v14, -v10, v13, v12
	s_delay_alu instid0(VALU_DEP_1) | instskip(NEXT) | instid1(VALU_DEP_1)
	v_fmac_f32_e32 v13, v14, v11
	v_fma_f32 v10, -v10, v13, v12
	s_delay_alu instid0(VALU_DEP_1) | instskip(NEXT) | instid1(VALU_DEP_1)
	v_div_fmas_f32 v10, v10, v11, v13
	v_div_fixup_f32 v8, v10, v9, v8
	s_delay_alu instid0(VALU_DEP_1) | instskip(SKIP_1) | instid1(VALU_DEP_2)
	v_bfe_u32 v9, v8, 16, 1
	v_cmp_o_f32_e32 vcc_lo, v8, v8
	v_add3_u32 v9, v8, v9, 0x7fff
	s_delay_alu instid0(VALU_DEP_1) | instskip(NEXT) | instid1(VALU_DEP_1)
	v_lshrrev_b32_e32 v9, 16, v9
	v_cndmask_b32_e32 v16, 0x7fc0, v9, vcc_lo
.LBB110_33:
	s_or_b32 exec_lo, exec_lo, s3
.LBB110_34:
	s_delay_alu instid0(SALU_CYCLE_1) | instskip(NEXT) | instid1(VALU_DEP_1)
	s_or_b32 exec_lo, exec_lo, s1
	v_mov_b32_e32 v8, v16
.LBB110_35:
	s_or_b32 exec_lo, exec_lo, s2
	s_mul_i32 s1, s14, s13
	s_mul_hi_u32 s2, s14, s12
	s_mul_i32 s3, s15, s12
	s_add_i32 s1, s2, s1
	s_mul_i32 s2, s14, s12
	s_add_i32 s1, s1, s3
	v_mul_lo_u32 v12, s2, v1
	v_mul_lo_u32 v11, s1, v0
	v_mad_u64_u32 v[9:10], null, s2, v0, 0
	v_mul_lo_u32 v5, v5, s12
	v_mul_lo_u32 v13, v4, s13
	v_mad_u64_u32 v[0:1], null, v4, s12, 0
	v_sub_co_u32 v2, vcc_lo, v2, v6
	v_add3_u32 v10, v10, v12, v11
	v_sub_co_ci_u32_e32 v3, vcc_lo, v3, v7, vcc_lo
	s_delay_alu instid0(VALU_DEP_4) | instskip(NEXT) | instid1(VALU_DEP_3)
	v_add3_u32 v1, v1, v13, v5
	v_lshlrev_b64 v[4:5], 1, v[9:10]
	s_delay_alu instid0(VALU_DEP_3) | instskip(NEXT) | instid1(VALU_DEP_3)
	v_lshlrev_b64 v[2:3], 1, v[2:3]
	v_lshlrev_b64 v[0:1], 1, v[0:1]
	s_delay_alu instid0(VALU_DEP_3) | instskip(NEXT) | instid1(VALU_DEP_4)
	v_add_co_u32 v4, vcc_lo, s4, v4
	v_add_co_ci_u32_e32 v5, vcc_lo, s5, v5, vcc_lo
	s_delay_alu instid0(VALU_DEP_2) | instskip(NEXT) | instid1(VALU_DEP_2)
	v_add_co_u32 v0, vcc_lo, v4, v0
	v_add_co_ci_u32_e32 v1, vcc_lo, v5, v1, vcc_lo
	s_delay_alu instid0(VALU_DEP_2) | instskip(NEXT) | instid1(VALU_DEP_2)
	v_add_co_u32 v0, vcc_lo, v0, v2
	v_add_co_ci_u32_e32 v1, vcc_lo, v1, v3, vcc_lo
	global_store_b16 v[0:1], v8, off
.LBB110_36:
	s_and_not1_saveexec_b32 s0, s0
	s_cbranch_execnz .LBB110_38
.LBB110_37:
	s_nop 0
	s_sendmsg sendmsg(MSG_DEALLOC_VGPRS)
	s_endpgm
.LBB110_38:
	s_cbranch_execnz .LBB110_40
; %bb.39:
	; divergent unreachable
	s_nop 0
	s_sendmsg sendmsg(MSG_DEALLOC_VGPRS)
	s_endpgm
.LBB110_40:
	s_trap 2
	s_sendmsg_rtn_b32 s0, sendmsg(MSG_RTN_GET_DOORBELL)
	s_mov_b32 ttmp2, m0
	s_waitcnt lgkmcnt(0)
	s_and_b32 s0, s0, 0x3ff
	s_delay_alu instid0(SALU_CYCLE_1) | instskip(NEXT) | instid1(SALU_CYCLE_1)
	s_bitset1_b32 s0, 10
	s_mov_b32 m0, s0
	s_sendmsg sendmsg(MSG_INTERRUPT)
	s_mov_b32 m0, ttmp2
.LBB110_41:                             ; =>This Inner Loop Header: Depth=1
	s_sethalt 5
	s_branch .LBB110_41
	.section	.rodata,"a",@progbits
	.p2align	6, 0x0
	.amdhsa_kernel _ZN2at6native12_GLOBAL__N_129segment_reduce_forward_kernelIN3c108BFloat16EiEEvNS0_13ReductionTypeEPT_PKS6_PKT0_SC_llbS6_lllllll
		.amdhsa_group_segment_fixed_size 0
		.amdhsa_private_segment_fixed_size 0
		.amdhsa_kernarg_size 376
		.amdhsa_user_sgpr_count 15
		.amdhsa_user_sgpr_dispatch_ptr 0
		.amdhsa_user_sgpr_queue_ptr 0
		.amdhsa_user_sgpr_kernarg_segment_ptr 1
		.amdhsa_user_sgpr_dispatch_id 0
		.amdhsa_user_sgpr_private_segment_size 0
		.amdhsa_wavefront_size32 1
		.amdhsa_uses_dynamic_stack 0
		.amdhsa_enable_private_segment 0
		.amdhsa_system_sgpr_workgroup_id_x 1
		.amdhsa_system_sgpr_workgroup_id_y 0
		.amdhsa_system_sgpr_workgroup_id_z 0
		.amdhsa_system_sgpr_workgroup_info 0
		.amdhsa_system_vgpr_workitem_id 0
		.amdhsa_next_free_vgpr 22
		.amdhsa_next_free_sgpr 32
		.amdhsa_reserve_vcc 1
		.amdhsa_float_round_mode_32 0
		.amdhsa_float_round_mode_16_64 0
		.amdhsa_float_denorm_mode_32 3
		.amdhsa_float_denorm_mode_16_64 3
		.amdhsa_dx10_clamp 1
		.amdhsa_ieee_mode 1
		.amdhsa_fp16_overflow 0
		.amdhsa_workgroup_processor_mode 1
		.amdhsa_memory_ordered 1
		.amdhsa_forward_progress 0
		.amdhsa_shared_vgpr_count 0
		.amdhsa_exception_fp_ieee_invalid_op 0
		.amdhsa_exception_fp_denorm_src 0
		.amdhsa_exception_fp_ieee_div_zero 0
		.amdhsa_exception_fp_ieee_overflow 0
		.amdhsa_exception_fp_ieee_underflow 0
		.amdhsa_exception_fp_ieee_inexact 0
		.amdhsa_exception_int_div_zero 0
	.end_amdhsa_kernel
	.section	.text._ZN2at6native12_GLOBAL__N_129segment_reduce_forward_kernelIN3c108BFloat16EiEEvNS0_13ReductionTypeEPT_PKS6_PKT0_SC_llbS6_lllllll,"axG",@progbits,_ZN2at6native12_GLOBAL__N_129segment_reduce_forward_kernelIN3c108BFloat16EiEEvNS0_13ReductionTypeEPT_PKS6_PKT0_SC_llbS6_lllllll,comdat
.Lfunc_end110:
	.size	_ZN2at6native12_GLOBAL__N_129segment_reduce_forward_kernelIN3c108BFloat16EiEEvNS0_13ReductionTypeEPT_PKS6_PKT0_SC_llbS6_lllllll, .Lfunc_end110-_ZN2at6native12_GLOBAL__N_129segment_reduce_forward_kernelIN3c108BFloat16EiEEvNS0_13ReductionTypeEPT_PKS6_PKT0_SC_llbS6_lllllll
                                        ; -- End function
	.section	.AMDGPU.csdata,"",@progbits
; Kernel info:
; codeLenInByte = 3664
; NumSgprs: 34
; NumVgprs: 22
; ScratchSize: 0
; MemoryBound: 0
; FloatMode: 240
; IeeeMode: 1
; LDSByteSize: 0 bytes/workgroup (compile time only)
; SGPRBlocks: 4
; VGPRBlocks: 2
; NumSGPRsForWavesPerEU: 34
; NumVGPRsForWavesPerEU: 22
; Occupancy: 16
; WaveLimiterHint : 0
; COMPUTE_PGM_RSRC2:SCRATCH_EN: 0
; COMPUTE_PGM_RSRC2:USER_SGPR: 15
; COMPUTE_PGM_RSRC2:TRAP_HANDLER: 0
; COMPUTE_PGM_RSRC2:TGID_X_EN: 1
; COMPUTE_PGM_RSRC2:TGID_Y_EN: 0
; COMPUTE_PGM_RSRC2:TGID_Z_EN: 0
; COMPUTE_PGM_RSRC2:TIDIG_COMP_CNT: 0
	.section	.text._ZN7rocprim17ROCPRIM_400000_NS6detail17trampoline_kernelINS0_14default_configENS1_32segmented_reduce_config_selectorIN3c108BFloat16EEEZNS1_21segmented_reduce_implIS3_PKS6_PS6_PKiS6_N6hipcub16HIPCUB_304000_NS6detail27convert_result_type_wrapperISA_SB_N2at6native12_GLOBAL__N_19CustomMaxEEEEE10hipError_tPvRmT0_T1_jT2_SS_T4_T3_P12ihipStream_tbEUlT_E_NS1_11comp_targetILNS1_3genE0ELNS1_11target_archE4294967295ELNS1_3gpuE0ELNS1_3repE0EEENS1_30default_config_static_selectorELNS0_4arch9wavefront6targetE0EEEvSR_,"axG",@progbits,_ZN7rocprim17ROCPRIM_400000_NS6detail17trampoline_kernelINS0_14default_configENS1_32segmented_reduce_config_selectorIN3c108BFloat16EEEZNS1_21segmented_reduce_implIS3_PKS6_PS6_PKiS6_N6hipcub16HIPCUB_304000_NS6detail27convert_result_type_wrapperISA_SB_N2at6native12_GLOBAL__N_19CustomMaxEEEEE10hipError_tPvRmT0_T1_jT2_SS_T4_T3_P12ihipStream_tbEUlT_E_NS1_11comp_targetILNS1_3genE0ELNS1_11target_archE4294967295ELNS1_3gpuE0ELNS1_3repE0EEENS1_30default_config_static_selectorELNS0_4arch9wavefront6targetE0EEEvSR_,comdat
	.globl	_ZN7rocprim17ROCPRIM_400000_NS6detail17trampoline_kernelINS0_14default_configENS1_32segmented_reduce_config_selectorIN3c108BFloat16EEEZNS1_21segmented_reduce_implIS3_PKS6_PS6_PKiS6_N6hipcub16HIPCUB_304000_NS6detail27convert_result_type_wrapperISA_SB_N2at6native12_GLOBAL__N_19CustomMaxEEEEE10hipError_tPvRmT0_T1_jT2_SS_T4_T3_P12ihipStream_tbEUlT_E_NS1_11comp_targetILNS1_3genE0ELNS1_11target_archE4294967295ELNS1_3gpuE0ELNS1_3repE0EEENS1_30default_config_static_selectorELNS0_4arch9wavefront6targetE0EEEvSR_ ; -- Begin function _ZN7rocprim17ROCPRIM_400000_NS6detail17trampoline_kernelINS0_14default_configENS1_32segmented_reduce_config_selectorIN3c108BFloat16EEEZNS1_21segmented_reduce_implIS3_PKS6_PS6_PKiS6_N6hipcub16HIPCUB_304000_NS6detail27convert_result_type_wrapperISA_SB_N2at6native12_GLOBAL__N_19CustomMaxEEEEE10hipError_tPvRmT0_T1_jT2_SS_T4_T3_P12ihipStream_tbEUlT_E_NS1_11comp_targetILNS1_3genE0ELNS1_11target_archE4294967295ELNS1_3gpuE0ELNS1_3repE0EEENS1_30default_config_static_selectorELNS0_4arch9wavefront6targetE0EEEvSR_
	.p2align	8
	.type	_ZN7rocprim17ROCPRIM_400000_NS6detail17trampoline_kernelINS0_14default_configENS1_32segmented_reduce_config_selectorIN3c108BFloat16EEEZNS1_21segmented_reduce_implIS3_PKS6_PS6_PKiS6_N6hipcub16HIPCUB_304000_NS6detail27convert_result_type_wrapperISA_SB_N2at6native12_GLOBAL__N_19CustomMaxEEEEE10hipError_tPvRmT0_T1_jT2_SS_T4_T3_P12ihipStream_tbEUlT_E_NS1_11comp_targetILNS1_3genE0ELNS1_11target_archE4294967295ELNS1_3gpuE0ELNS1_3repE0EEENS1_30default_config_static_selectorELNS0_4arch9wavefront6targetE0EEEvSR_,@function
_ZN7rocprim17ROCPRIM_400000_NS6detail17trampoline_kernelINS0_14default_configENS1_32segmented_reduce_config_selectorIN3c108BFloat16EEEZNS1_21segmented_reduce_implIS3_PKS6_PS6_PKiS6_N6hipcub16HIPCUB_304000_NS6detail27convert_result_type_wrapperISA_SB_N2at6native12_GLOBAL__N_19CustomMaxEEEEE10hipError_tPvRmT0_T1_jT2_SS_T4_T3_P12ihipStream_tbEUlT_E_NS1_11comp_targetILNS1_3genE0ELNS1_11target_archE4294967295ELNS1_3gpuE0ELNS1_3repE0EEENS1_30default_config_static_selectorELNS0_4arch9wavefront6targetE0EEEvSR_: ; @_ZN7rocprim17ROCPRIM_400000_NS6detail17trampoline_kernelINS0_14default_configENS1_32segmented_reduce_config_selectorIN3c108BFloat16EEEZNS1_21segmented_reduce_implIS3_PKS6_PS6_PKiS6_N6hipcub16HIPCUB_304000_NS6detail27convert_result_type_wrapperISA_SB_N2at6native12_GLOBAL__N_19CustomMaxEEEEE10hipError_tPvRmT0_T1_jT2_SS_T4_T3_P12ihipStream_tbEUlT_E_NS1_11comp_targetILNS1_3genE0ELNS1_11target_archE4294967295ELNS1_3gpuE0ELNS1_3repE0EEENS1_30default_config_static_selectorELNS0_4arch9wavefront6targetE0EEEvSR_
; %bb.0:
	.section	.rodata,"a",@progbits
	.p2align	6, 0x0
	.amdhsa_kernel _ZN7rocprim17ROCPRIM_400000_NS6detail17trampoline_kernelINS0_14default_configENS1_32segmented_reduce_config_selectorIN3c108BFloat16EEEZNS1_21segmented_reduce_implIS3_PKS6_PS6_PKiS6_N6hipcub16HIPCUB_304000_NS6detail27convert_result_type_wrapperISA_SB_N2at6native12_GLOBAL__N_19CustomMaxEEEEE10hipError_tPvRmT0_T1_jT2_SS_T4_T3_P12ihipStream_tbEUlT_E_NS1_11comp_targetILNS1_3genE0ELNS1_11target_archE4294967295ELNS1_3gpuE0ELNS1_3repE0EEENS1_30default_config_static_selectorELNS0_4arch9wavefront6targetE0EEEvSR_
		.amdhsa_group_segment_fixed_size 0
		.amdhsa_private_segment_fixed_size 0
		.amdhsa_kernarg_size 48
		.amdhsa_user_sgpr_count 15
		.amdhsa_user_sgpr_dispatch_ptr 0
		.amdhsa_user_sgpr_queue_ptr 0
		.amdhsa_user_sgpr_kernarg_segment_ptr 1
		.amdhsa_user_sgpr_dispatch_id 0
		.amdhsa_user_sgpr_private_segment_size 0
		.amdhsa_wavefront_size32 1
		.amdhsa_uses_dynamic_stack 0
		.amdhsa_enable_private_segment 0
		.amdhsa_system_sgpr_workgroup_id_x 1
		.amdhsa_system_sgpr_workgroup_id_y 0
		.amdhsa_system_sgpr_workgroup_id_z 0
		.amdhsa_system_sgpr_workgroup_info 0
		.amdhsa_system_vgpr_workitem_id 0
		.amdhsa_next_free_vgpr 1
		.amdhsa_next_free_sgpr 1
		.amdhsa_reserve_vcc 0
		.amdhsa_float_round_mode_32 0
		.amdhsa_float_round_mode_16_64 0
		.amdhsa_float_denorm_mode_32 3
		.amdhsa_float_denorm_mode_16_64 3
		.amdhsa_dx10_clamp 1
		.amdhsa_ieee_mode 1
		.amdhsa_fp16_overflow 0
		.amdhsa_workgroup_processor_mode 1
		.amdhsa_memory_ordered 1
		.amdhsa_forward_progress 0
		.amdhsa_shared_vgpr_count 0
		.amdhsa_exception_fp_ieee_invalid_op 0
		.amdhsa_exception_fp_denorm_src 0
		.amdhsa_exception_fp_ieee_div_zero 0
		.amdhsa_exception_fp_ieee_overflow 0
		.amdhsa_exception_fp_ieee_underflow 0
		.amdhsa_exception_fp_ieee_inexact 0
		.amdhsa_exception_int_div_zero 0
	.end_amdhsa_kernel
	.section	.text._ZN7rocprim17ROCPRIM_400000_NS6detail17trampoline_kernelINS0_14default_configENS1_32segmented_reduce_config_selectorIN3c108BFloat16EEEZNS1_21segmented_reduce_implIS3_PKS6_PS6_PKiS6_N6hipcub16HIPCUB_304000_NS6detail27convert_result_type_wrapperISA_SB_N2at6native12_GLOBAL__N_19CustomMaxEEEEE10hipError_tPvRmT0_T1_jT2_SS_T4_T3_P12ihipStream_tbEUlT_E_NS1_11comp_targetILNS1_3genE0ELNS1_11target_archE4294967295ELNS1_3gpuE0ELNS1_3repE0EEENS1_30default_config_static_selectorELNS0_4arch9wavefront6targetE0EEEvSR_,"axG",@progbits,_ZN7rocprim17ROCPRIM_400000_NS6detail17trampoline_kernelINS0_14default_configENS1_32segmented_reduce_config_selectorIN3c108BFloat16EEEZNS1_21segmented_reduce_implIS3_PKS6_PS6_PKiS6_N6hipcub16HIPCUB_304000_NS6detail27convert_result_type_wrapperISA_SB_N2at6native12_GLOBAL__N_19CustomMaxEEEEE10hipError_tPvRmT0_T1_jT2_SS_T4_T3_P12ihipStream_tbEUlT_E_NS1_11comp_targetILNS1_3genE0ELNS1_11target_archE4294967295ELNS1_3gpuE0ELNS1_3repE0EEENS1_30default_config_static_selectorELNS0_4arch9wavefront6targetE0EEEvSR_,comdat
.Lfunc_end111:
	.size	_ZN7rocprim17ROCPRIM_400000_NS6detail17trampoline_kernelINS0_14default_configENS1_32segmented_reduce_config_selectorIN3c108BFloat16EEEZNS1_21segmented_reduce_implIS3_PKS6_PS6_PKiS6_N6hipcub16HIPCUB_304000_NS6detail27convert_result_type_wrapperISA_SB_N2at6native12_GLOBAL__N_19CustomMaxEEEEE10hipError_tPvRmT0_T1_jT2_SS_T4_T3_P12ihipStream_tbEUlT_E_NS1_11comp_targetILNS1_3genE0ELNS1_11target_archE4294967295ELNS1_3gpuE0ELNS1_3repE0EEENS1_30default_config_static_selectorELNS0_4arch9wavefront6targetE0EEEvSR_, .Lfunc_end111-_ZN7rocprim17ROCPRIM_400000_NS6detail17trampoline_kernelINS0_14default_configENS1_32segmented_reduce_config_selectorIN3c108BFloat16EEEZNS1_21segmented_reduce_implIS3_PKS6_PS6_PKiS6_N6hipcub16HIPCUB_304000_NS6detail27convert_result_type_wrapperISA_SB_N2at6native12_GLOBAL__N_19CustomMaxEEEEE10hipError_tPvRmT0_T1_jT2_SS_T4_T3_P12ihipStream_tbEUlT_E_NS1_11comp_targetILNS1_3genE0ELNS1_11target_archE4294967295ELNS1_3gpuE0ELNS1_3repE0EEENS1_30default_config_static_selectorELNS0_4arch9wavefront6targetE0EEEvSR_
                                        ; -- End function
	.section	.AMDGPU.csdata,"",@progbits
; Kernel info:
; codeLenInByte = 0
; NumSgprs: 0
; NumVgprs: 0
; ScratchSize: 0
; MemoryBound: 0
; FloatMode: 240
; IeeeMode: 1
; LDSByteSize: 0 bytes/workgroup (compile time only)
; SGPRBlocks: 0
; VGPRBlocks: 0
; NumSGPRsForWavesPerEU: 1
; NumVGPRsForWavesPerEU: 1
; Occupancy: 16
; WaveLimiterHint : 0
; COMPUTE_PGM_RSRC2:SCRATCH_EN: 0
; COMPUTE_PGM_RSRC2:USER_SGPR: 15
; COMPUTE_PGM_RSRC2:TRAP_HANDLER: 0
; COMPUTE_PGM_RSRC2:TGID_X_EN: 1
; COMPUTE_PGM_RSRC2:TGID_Y_EN: 0
; COMPUTE_PGM_RSRC2:TGID_Z_EN: 0
; COMPUTE_PGM_RSRC2:TIDIG_COMP_CNT: 0
	.section	.text._ZN7rocprim17ROCPRIM_400000_NS6detail17trampoline_kernelINS0_14default_configENS1_32segmented_reduce_config_selectorIN3c108BFloat16EEEZNS1_21segmented_reduce_implIS3_PKS6_PS6_PKiS6_N6hipcub16HIPCUB_304000_NS6detail27convert_result_type_wrapperISA_SB_N2at6native12_GLOBAL__N_19CustomMaxEEEEE10hipError_tPvRmT0_T1_jT2_SS_T4_T3_P12ihipStream_tbEUlT_E_NS1_11comp_targetILNS1_3genE5ELNS1_11target_archE942ELNS1_3gpuE9ELNS1_3repE0EEENS1_30default_config_static_selectorELNS0_4arch9wavefront6targetE0EEEvSR_,"axG",@progbits,_ZN7rocprim17ROCPRIM_400000_NS6detail17trampoline_kernelINS0_14default_configENS1_32segmented_reduce_config_selectorIN3c108BFloat16EEEZNS1_21segmented_reduce_implIS3_PKS6_PS6_PKiS6_N6hipcub16HIPCUB_304000_NS6detail27convert_result_type_wrapperISA_SB_N2at6native12_GLOBAL__N_19CustomMaxEEEEE10hipError_tPvRmT0_T1_jT2_SS_T4_T3_P12ihipStream_tbEUlT_E_NS1_11comp_targetILNS1_3genE5ELNS1_11target_archE942ELNS1_3gpuE9ELNS1_3repE0EEENS1_30default_config_static_selectorELNS0_4arch9wavefront6targetE0EEEvSR_,comdat
	.globl	_ZN7rocprim17ROCPRIM_400000_NS6detail17trampoline_kernelINS0_14default_configENS1_32segmented_reduce_config_selectorIN3c108BFloat16EEEZNS1_21segmented_reduce_implIS3_PKS6_PS6_PKiS6_N6hipcub16HIPCUB_304000_NS6detail27convert_result_type_wrapperISA_SB_N2at6native12_GLOBAL__N_19CustomMaxEEEEE10hipError_tPvRmT0_T1_jT2_SS_T4_T3_P12ihipStream_tbEUlT_E_NS1_11comp_targetILNS1_3genE5ELNS1_11target_archE942ELNS1_3gpuE9ELNS1_3repE0EEENS1_30default_config_static_selectorELNS0_4arch9wavefront6targetE0EEEvSR_ ; -- Begin function _ZN7rocprim17ROCPRIM_400000_NS6detail17trampoline_kernelINS0_14default_configENS1_32segmented_reduce_config_selectorIN3c108BFloat16EEEZNS1_21segmented_reduce_implIS3_PKS6_PS6_PKiS6_N6hipcub16HIPCUB_304000_NS6detail27convert_result_type_wrapperISA_SB_N2at6native12_GLOBAL__N_19CustomMaxEEEEE10hipError_tPvRmT0_T1_jT2_SS_T4_T3_P12ihipStream_tbEUlT_E_NS1_11comp_targetILNS1_3genE5ELNS1_11target_archE942ELNS1_3gpuE9ELNS1_3repE0EEENS1_30default_config_static_selectorELNS0_4arch9wavefront6targetE0EEEvSR_
	.p2align	8
	.type	_ZN7rocprim17ROCPRIM_400000_NS6detail17trampoline_kernelINS0_14default_configENS1_32segmented_reduce_config_selectorIN3c108BFloat16EEEZNS1_21segmented_reduce_implIS3_PKS6_PS6_PKiS6_N6hipcub16HIPCUB_304000_NS6detail27convert_result_type_wrapperISA_SB_N2at6native12_GLOBAL__N_19CustomMaxEEEEE10hipError_tPvRmT0_T1_jT2_SS_T4_T3_P12ihipStream_tbEUlT_E_NS1_11comp_targetILNS1_3genE5ELNS1_11target_archE942ELNS1_3gpuE9ELNS1_3repE0EEENS1_30default_config_static_selectorELNS0_4arch9wavefront6targetE0EEEvSR_,@function
_ZN7rocprim17ROCPRIM_400000_NS6detail17trampoline_kernelINS0_14default_configENS1_32segmented_reduce_config_selectorIN3c108BFloat16EEEZNS1_21segmented_reduce_implIS3_PKS6_PS6_PKiS6_N6hipcub16HIPCUB_304000_NS6detail27convert_result_type_wrapperISA_SB_N2at6native12_GLOBAL__N_19CustomMaxEEEEE10hipError_tPvRmT0_T1_jT2_SS_T4_T3_P12ihipStream_tbEUlT_E_NS1_11comp_targetILNS1_3genE5ELNS1_11target_archE942ELNS1_3gpuE9ELNS1_3repE0EEENS1_30default_config_static_selectorELNS0_4arch9wavefront6targetE0EEEvSR_: ; @_ZN7rocprim17ROCPRIM_400000_NS6detail17trampoline_kernelINS0_14default_configENS1_32segmented_reduce_config_selectorIN3c108BFloat16EEEZNS1_21segmented_reduce_implIS3_PKS6_PS6_PKiS6_N6hipcub16HIPCUB_304000_NS6detail27convert_result_type_wrapperISA_SB_N2at6native12_GLOBAL__N_19CustomMaxEEEEE10hipError_tPvRmT0_T1_jT2_SS_T4_T3_P12ihipStream_tbEUlT_E_NS1_11comp_targetILNS1_3genE5ELNS1_11target_archE942ELNS1_3gpuE9ELNS1_3repE0EEENS1_30default_config_static_selectorELNS0_4arch9wavefront6targetE0EEEvSR_
; %bb.0:
	.section	.rodata,"a",@progbits
	.p2align	6, 0x0
	.amdhsa_kernel _ZN7rocprim17ROCPRIM_400000_NS6detail17trampoline_kernelINS0_14default_configENS1_32segmented_reduce_config_selectorIN3c108BFloat16EEEZNS1_21segmented_reduce_implIS3_PKS6_PS6_PKiS6_N6hipcub16HIPCUB_304000_NS6detail27convert_result_type_wrapperISA_SB_N2at6native12_GLOBAL__N_19CustomMaxEEEEE10hipError_tPvRmT0_T1_jT2_SS_T4_T3_P12ihipStream_tbEUlT_E_NS1_11comp_targetILNS1_3genE5ELNS1_11target_archE942ELNS1_3gpuE9ELNS1_3repE0EEENS1_30default_config_static_selectorELNS0_4arch9wavefront6targetE0EEEvSR_
		.amdhsa_group_segment_fixed_size 0
		.amdhsa_private_segment_fixed_size 0
		.amdhsa_kernarg_size 48
		.amdhsa_user_sgpr_count 15
		.amdhsa_user_sgpr_dispatch_ptr 0
		.amdhsa_user_sgpr_queue_ptr 0
		.amdhsa_user_sgpr_kernarg_segment_ptr 1
		.amdhsa_user_sgpr_dispatch_id 0
		.amdhsa_user_sgpr_private_segment_size 0
		.amdhsa_wavefront_size32 1
		.amdhsa_uses_dynamic_stack 0
		.amdhsa_enable_private_segment 0
		.amdhsa_system_sgpr_workgroup_id_x 1
		.amdhsa_system_sgpr_workgroup_id_y 0
		.amdhsa_system_sgpr_workgroup_id_z 0
		.amdhsa_system_sgpr_workgroup_info 0
		.amdhsa_system_vgpr_workitem_id 0
		.amdhsa_next_free_vgpr 1
		.amdhsa_next_free_sgpr 1
		.amdhsa_reserve_vcc 0
		.amdhsa_float_round_mode_32 0
		.amdhsa_float_round_mode_16_64 0
		.amdhsa_float_denorm_mode_32 3
		.amdhsa_float_denorm_mode_16_64 3
		.amdhsa_dx10_clamp 1
		.amdhsa_ieee_mode 1
		.amdhsa_fp16_overflow 0
		.amdhsa_workgroup_processor_mode 1
		.amdhsa_memory_ordered 1
		.amdhsa_forward_progress 0
		.amdhsa_shared_vgpr_count 0
		.amdhsa_exception_fp_ieee_invalid_op 0
		.amdhsa_exception_fp_denorm_src 0
		.amdhsa_exception_fp_ieee_div_zero 0
		.amdhsa_exception_fp_ieee_overflow 0
		.amdhsa_exception_fp_ieee_underflow 0
		.amdhsa_exception_fp_ieee_inexact 0
		.amdhsa_exception_int_div_zero 0
	.end_amdhsa_kernel
	.section	.text._ZN7rocprim17ROCPRIM_400000_NS6detail17trampoline_kernelINS0_14default_configENS1_32segmented_reduce_config_selectorIN3c108BFloat16EEEZNS1_21segmented_reduce_implIS3_PKS6_PS6_PKiS6_N6hipcub16HIPCUB_304000_NS6detail27convert_result_type_wrapperISA_SB_N2at6native12_GLOBAL__N_19CustomMaxEEEEE10hipError_tPvRmT0_T1_jT2_SS_T4_T3_P12ihipStream_tbEUlT_E_NS1_11comp_targetILNS1_3genE5ELNS1_11target_archE942ELNS1_3gpuE9ELNS1_3repE0EEENS1_30default_config_static_selectorELNS0_4arch9wavefront6targetE0EEEvSR_,"axG",@progbits,_ZN7rocprim17ROCPRIM_400000_NS6detail17trampoline_kernelINS0_14default_configENS1_32segmented_reduce_config_selectorIN3c108BFloat16EEEZNS1_21segmented_reduce_implIS3_PKS6_PS6_PKiS6_N6hipcub16HIPCUB_304000_NS6detail27convert_result_type_wrapperISA_SB_N2at6native12_GLOBAL__N_19CustomMaxEEEEE10hipError_tPvRmT0_T1_jT2_SS_T4_T3_P12ihipStream_tbEUlT_E_NS1_11comp_targetILNS1_3genE5ELNS1_11target_archE942ELNS1_3gpuE9ELNS1_3repE0EEENS1_30default_config_static_selectorELNS0_4arch9wavefront6targetE0EEEvSR_,comdat
.Lfunc_end112:
	.size	_ZN7rocprim17ROCPRIM_400000_NS6detail17trampoline_kernelINS0_14default_configENS1_32segmented_reduce_config_selectorIN3c108BFloat16EEEZNS1_21segmented_reduce_implIS3_PKS6_PS6_PKiS6_N6hipcub16HIPCUB_304000_NS6detail27convert_result_type_wrapperISA_SB_N2at6native12_GLOBAL__N_19CustomMaxEEEEE10hipError_tPvRmT0_T1_jT2_SS_T4_T3_P12ihipStream_tbEUlT_E_NS1_11comp_targetILNS1_3genE5ELNS1_11target_archE942ELNS1_3gpuE9ELNS1_3repE0EEENS1_30default_config_static_selectorELNS0_4arch9wavefront6targetE0EEEvSR_, .Lfunc_end112-_ZN7rocprim17ROCPRIM_400000_NS6detail17trampoline_kernelINS0_14default_configENS1_32segmented_reduce_config_selectorIN3c108BFloat16EEEZNS1_21segmented_reduce_implIS3_PKS6_PS6_PKiS6_N6hipcub16HIPCUB_304000_NS6detail27convert_result_type_wrapperISA_SB_N2at6native12_GLOBAL__N_19CustomMaxEEEEE10hipError_tPvRmT0_T1_jT2_SS_T4_T3_P12ihipStream_tbEUlT_E_NS1_11comp_targetILNS1_3genE5ELNS1_11target_archE942ELNS1_3gpuE9ELNS1_3repE0EEENS1_30default_config_static_selectorELNS0_4arch9wavefront6targetE0EEEvSR_
                                        ; -- End function
	.section	.AMDGPU.csdata,"",@progbits
; Kernel info:
; codeLenInByte = 0
; NumSgprs: 0
; NumVgprs: 0
; ScratchSize: 0
; MemoryBound: 0
; FloatMode: 240
; IeeeMode: 1
; LDSByteSize: 0 bytes/workgroup (compile time only)
; SGPRBlocks: 0
; VGPRBlocks: 0
; NumSGPRsForWavesPerEU: 1
; NumVGPRsForWavesPerEU: 1
; Occupancy: 16
; WaveLimiterHint : 0
; COMPUTE_PGM_RSRC2:SCRATCH_EN: 0
; COMPUTE_PGM_RSRC2:USER_SGPR: 15
; COMPUTE_PGM_RSRC2:TRAP_HANDLER: 0
; COMPUTE_PGM_RSRC2:TGID_X_EN: 1
; COMPUTE_PGM_RSRC2:TGID_Y_EN: 0
; COMPUTE_PGM_RSRC2:TGID_Z_EN: 0
; COMPUTE_PGM_RSRC2:TIDIG_COMP_CNT: 0
	.section	.text._ZN7rocprim17ROCPRIM_400000_NS6detail17trampoline_kernelINS0_14default_configENS1_32segmented_reduce_config_selectorIN3c108BFloat16EEEZNS1_21segmented_reduce_implIS3_PKS6_PS6_PKiS6_N6hipcub16HIPCUB_304000_NS6detail27convert_result_type_wrapperISA_SB_N2at6native12_GLOBAL__N_19CustomMaxEEEEE10hipError_tPvRmT0_T1_jT2_SS_T4_T3_P12ihipStream_tbEUlT_E_NS1_11comp_targetILNS1_3genE10ELNS1_11target_archE1201ELNS1_3gpuE5ELNS1_3repE0EEENS1_30default_config_static_selectorELNS0_4arch9wavefront6targetE0EEEvSR_,"axG",@progbits,_ZN7rocprim17ROCPRIM_400000_NS6detail17trampoline_kernelINS0_14default_configENS1_32segmented_reduce_config_selectorIN3c108BFloat16EEEZNS1_21segmented_reduce_implIS3_PKS6_PS6_PKiS6_N6hipcub16HIPCUB_304000_NS6detail27convert_result_type_wrapperISA_SB_N2at6native12_GLOBAL__N_19CustomMaxEEEEE10hipError_tPvRmT0_T1_jT2_SS_T4_T3_P12ihipStream_tbEUlT_E_NS1_11comp_targetILNS1_3genE10ELNS1_11target_archE1201ELNS1_3gpuE5ELNS1_3repE0EEENS1_30default_config_static_selectorELNS0_4arch9wavefront6targetE0EEEvSR_,comdat
	.globl	_ZN7rocprim17ROCPRIM_400000_NS6detail17trampoline_kernelINS0_14default_configENS1_32segmented_reduce_config_selectorIN3c108BFloat16EEEZNS1_21segmented_reduce_implIS3_PKS6_PS6_PKiS6_N6hipcub16HIPCUB_304000_NS6detail27convert_result_type_wrapperISA_SB_N2at6native12_GLOBAL__N_19CustomMaxEEEEE10hipError_tPvRmT0_T1_jT2_SS_T4_T3_P12ihipStream_tbEUlT_E_NS1_11comp_targetILNS1_3genE10ELNS1_11target_archE1201ELNS1_3gpuE5ELNS1_3repE0EEENS1_30default_config_static_selectorELNS0_4arch9wavefront6targetE0EEEvSR_ ; -- Begin function _ZN7rocprim17ROCPRIM_400000_NS6detail17trampoline_kernelINS0_14default_configENS1_32segmented_reduce_config_selectorIN3c108BFloat16EEEZNS1_21segmented_reduce_implIS3_PKS6_PS6_PKiS6_N6hipcub16HIPCUB_304000_NS6detail27convert_result_type_wrapperISA_SB_N2at6native12_GLOBAL__N_19CustomMaxEEEEE10hipError_tPvRmT0_T1_jT2_SS_T4_T3_P12ihipStream_tbEUlT_E_NS1_11comp_targetILNS1_3genE10ELNS1_11target_archE1201ELNS1_3gpuE5ELNS1_3repE0EEENS1_30default_config_static_selectorELNS0_4arch9wavefront6targetE0EEEvSR_
	.p2align	8
	.type	_ZN7rocprim17ROCPRIM_400000_NS6detail17trampoline_kernelINS0_14default_configENS1_32segmented_reduce_config_selectorIN3c108BFloat16EEEZNS1_21segmented_reduce_implIS3_PKS6_PS6_PKiS6_N6hipcub16HIPCUB_304000_NS6detail27convert_result_type_wrapperISA_SB_N2at6native12_GLOBAL__N_19CustomMaxEEEEE10hipError_tPvRmT0_T1_jT2_SS_T4_T3_P12ihipStream_tbEUlT_E_NS1_11comp_targetILNS1_3genE10ELNS1_11target_archE1201ELNS1_3gpuE5ELNS1_3repE0EEENS1_30default_config_static_selectorELNS0_4arch9wavefront6targetE0EEEvSR_,@function
_ZN7rocprim17ROCPRIM_400000_NS6detail17trampoline_kernelINS0_14default_configENS1_32segmented_reduce_config_selectorIN3c108BFloat16EEEZNS1_21segmented_reduce_implIS3_PKS6_PS6_PKiS6_N6hipcub16HIPCUB_304000_NS6detail27convert_result_type_wrapperISA_SB_N2at6native12_GLOBAL__N_19CustomMaxEEEEE10hipError_tPvRmT0_T1_jT2_SS_T4_T3_P12ihipStream_tbEUlT_E_NS1_11comp_targetILNS1_3genE10ELNS1_11target_archE1201ELNS1_3gpuE5ELNS1_3repE0EEENS1_30default_config_static_selectorELNS0_4arch9wavefront6targetE0EEEvSR_: ; @_ZN7rocprim17ROCPRIM_400000_NS6detail17trampoline_kernelINS0_14default_configENS1_32segmented_reduce_config_selectorIN3c108BFloat16EEEZNS1_21segmented_reduce_implIS3_PKS6_PS6_PKiS6_N6hipcub16HIPCUB_304000_NS6detail27convert_result_type_wrapperISA_SB_N2at6native12_GLOBAL__N_19CustomMaxEEEEE10hipError_tPvRmT0_T1_jT2_SS_T4_T3_P12ihipStream_tbEUlT_E_NS1_11comp_targetILNS1_3genE10ELNS1_11target_archE1201ELNS1_3gpuE5ELNS1_3repE0EEENS1_30default_config_static_selectorELNS0_4arch9wavefront6targetE0EEEvSR_
; %bb.0:
	.section	.rodata,"a",@progbits
	.p2align	6, 0x0
	.amdhsa_kernel _ZN7rocprim17ROCPRIM_400000_NS6detail17trampoline_kernelINS0_14default_configENS1_32segmented_reduce_config_selectorIN3c108BFloat16EEEZNS1_21segmented_reduce_implIS3_PKS6_PS6_PKiS6_N6hipcub16HIPCUB_304000_NS6detail27convert_result_type_wrapperISA_SB_N2at6native12_GLOBAL__N_19CustomMaxEEEEE10hipError_tPvRmT0_T1_jT2_SS_T4_T3_P12ihipStream_tbEUlT_E_NS1_11comp_targetILNS1_3genE10ELNS1_11target_archE1201ELNS1_3gpuE5ELNS1_3repE0EEENS1_30default_config_static_selectorELNS0_4arch9wavefront6targetE0EEEvSR_
		.amdhsa_group_segment_fixed_size 0
		.amdhsa_private_segment_fixed_size 0
		.amdhsa_kernarg_size 48
		.amdhsa_user_sgpr_count 15
		.amdhsa_user_sgpr_dispatch_ptr 0
		.amdhsa_user_sgpr_queue_ptr 0
		.amdhsa_user_sgpr_kernarg_segment_ptr 1
		.amdhsa_user_sgpr_dispatch_id 0
		.amdhsa_user_sgpr_private_segment_size 0
		.amdhsa_wavefront_size32 1
		.amdhsa_uses_dynamic_stack 0
		.amdhsa_enable_private_segment 0
		.amdhsa_system_sgpr_workgroup_id_x 1
		.amdhsa_system_sgpr_workgroup_id_y 0
		.amdhsa_system_sgpr_workgroup_id_z 0
		.amdhsa_system_sgpr_workgroup_info 0
		.amdhsa_system_vgpr_workitem_id 0
		.amdhsa_next_free_vgpr 1
		.amdhsa_next_free_sgpr 1
		.amdhsa_reserve_vcc 0
		.amdhsa_float_round_mode_32 0
		.amdhsa_float_round_mode_16_64 0
		.amdhsa_float_denorm_mode_32 3
		.amdhsa_float_denorm_mode_16_64 3
		.amdhsa_dx10_clamp 1
		.amdhsa_ieee_mode 1
		.amdhsa_fp16_overflow 0
		.amdhsa_workgroup_processor_mode 1
		.amdhsa_memory_ordered 1
		.amdhsa_forward_progress 0
		.amdhsa_shared_vgpr_count 0
		.amdhsa_exception_fp_ieee_invalid_op 0
		.amdhsa_exception_fp_denorm_src 0
		.amdhsa_exception_fp_ieee_div_zero 0
		.amdhsa_exception_fp_ieee_overflow 0
		.amdhsa_exception_fp_ieee_underflow 0
		.amdhsa_exception_fp_ieee_inexact 0
		.amdhsa_exception_int_div_zero 0
	.end_amdhsa_kernel
	.section	.text._ZN7rocprim17ROCPRIM_400000_NS6detail17trampoline_kernelINS0_14default_configENS1_32segmented_reduce_config_selectorIN3c108BFloat16EEEZNS1_21segmented_reduce_implIS3_PKS6_PS6_PKiS6_N6hipcub16HIPCUB_304000_NS6detail27convert_result_type_wrapperISA_SB_N2at6native12_GLOBAL__N_19CustomMaxEEEEE10hipError_tPvRmT0_T1_jT2_SS_T4_T3_P12ihipStream_tbEUlT_E_NS1_11comp_targetILNS1_3genE10ELNS1_11target_archE1201ELNS1_3gpuE5ELNS1_3repE0EEENS1_30default_config_static_selectorELNS0_4arch9wavefront6targetE0EEEvSR_,"axG",@progbits,_ZN7rocprim17ROCPRIM_400000_NS6detail17trampoline_kernelINS0_14default_configENS1_32segmented_reduce_config_selectorIN3c108BFloat16EEEZNS1_21segmented_reduce_implIS3_PKS6_PS6_PKiS6_N6hipcub16HIPCUB_304000_NS6detail27convert_result_type_wrapperISA_SB_N2at6native12_GLOBAL__N_19CustomMaxEEEEE10hipError_tPvRmT0_T1_jT2_SS_T4_T3_P12ihipStream_tbEUlT_E_NS1_11comp_targetILNS1_3genE10ELNS1_11target_archE1201ELNS1_3gpuE5ELNS1_3repE0EEENS1_30default_config_static_selectorELNS0_4arch9wavefront6targetE0EEEvSR_,comdat
.Lfunc_end113:
	.size	_ZN7rocprim17ROCPRIM_400000_NS6detail17trampoline_kernelINS0_14default_configENS1_32segmented_reduce_config_selectorIN3c108BFloat16EEEZNS1_21segmented_reduce_implIS3_PKS6_PS6_PKiS6_N6hipcub16HIPCUB_304000_NS6detail27convert_result_type_wrapperISA_SB_N2at6native12_GLOBAL__N_19CustomMaxEEEEE10hipError_tPvRmT0_T1_jT2_SS_T4_T3_P12ihipStream_tbEUlT_E_NS1_11comp_targetILNS1_3genE10ELNS1_11target_archE1201ELNS1_3gpuE5ELNS1_3repE0EEENS1_30default_config_static_selectorELNS0_4arch9wavefront6targetE0EEEvSR_, .Lfunc_end113-_ZN7rocprim17ROCPRIM_400000_NS6detail17trampoline_kernelINS0_14default_configENS1_32segmented_reduce_config_selectorIN3c108BFloat16EEEZNS1_21segmented_reduce_implIS3_PKS6_PS6_PKiS6_N6hipcub16HIPCUB_304000_NS6detail27convert_result_type_wrapperISA_SB_N2at6native12_GLOBAL__N_19CustomMaxEEEEE10hipError_tPvRmT0_T1_jT2_SS_T4_T3_P12ihipStream_tbEUlT_E_NS1_11comp_targetILNS1_3genE10ELNS1_11target_archE1201ELNS1_3gpuE5ELNS1_3repE0EEENS1_30default_config_static_selectorELNS0_4arch9wavefront6targetE0EEEvSR_
                                        ; -- End function
	.section	.AMDGPU.csdata,"",@progbits
; Kernel info:
; codeLenInByte = 0
; NumSgprs: 0
; NumVgprs: 0
; ScratchSize: 0
; MemoryBound: 0
; FloatMode: 240
; IeeeMode: 1
; LDSByteSize: 0 bytes/workgroup (compile time only)
; SGPRBlocks: 0
; VGPRBlocks: 0
; NumSGPRsForWavesPerEU: 1
; NumVGPRsForWavesPerEU: 1
; Occupancy: 16
; WaveLimiterHint : 0
; COMPUTE_PGM_RSRC2:SCRATCH_EN: 0
; COMPUTE_PGM_RSRC2:USER_SGPR: 15
; COMPUTE_PGM_RSRC2:TRAP_HANDLER: 0
; COMPUTE_PGM_RSRC2:TGID_X_EN: 1
; COMPUTE_PGM_RSRC2:TGID_Y_EN: 0
; COMPUTE_PGM_RSRC2:TGID_Z_EN: 0
; COMPUTE_PGM_RSRC2:TIDIG_COMP_CNT: 0
	.section	.text._ZN7rocprim17ROCPRIM_400000_NS6detail17trampoline_kernelINS0_14default_configENS1_32segmented_reduce_config_selectorIN3c108BFloat16EEEZNS1_21segmented_reduce_implIS3_PKS6_PS6_PKiS6_N6hipcub16HIPCUB_304000_NS6detail27convert_result_type_wrapperISA_SB_N2at6native12_GLOBAL__N_19CustomMaxEEEEE10hipError_tPvRmT0_T1_jT2_SS_T4_T3_P12ihipStream_tbEUlT_E_NS1_11comp_targetILNS1_3genE4ELNS1_11target_archE910ELNS1_3gpuE8ELNS1_3repE0EEENS1_30default_config_static_selectorELNS0_4arch9wavefront6targetE0EEEvSR_,"axG",@progbits,_ZN7rocprim17ROCPRIM_400000_NS6detail17trampoline_kernelINS0_14default_configENS1_32segmented_reduce_config_selectorIN3c108BFloat16EEEZNS1_21segmented_reduce_implIS3_PKS6_PS6_PKiS6_N6hipcub16HIPCUB_304000_NS6detail27convert_result_type_wrapperISA_SB_N2at6native12_GLOBAL__N_19CustomMaxEEEEE10hipError_tPvRmT0_T1_jT2_SS_T4_T3_P12ihipStream_tbEUlT_E_NS1_11comp_targetILNS1_3genE4ELNS1_11target_archE910ELNS1_3gpuE8ELNS1_3repE0EEENS1_30default_config_static_selectorELNS0_4arch9wavefront6targetE0EEEvSR_,comdat
	.globl	_ZN7rocprim17ROCPRIM_400000_NS6detail17trampoline_kernelINS0_14default_configENS1_32segmented_reduce_config_selectorIN3c108BFloat16EEEZNS1_21segmented_reduce_implIS3_PKS6_PS6_PKiS6_N6hipcub16HIPCUB_304000_NS6detail27convert_result_type_wrapperISA_SB_N2at6native12_GLOBAL__N_19CustomMaxEEEEE10hipError_tPvRmT0_T1_jT2_SS_T4_T3_P12ihipStream_tbEUlT_E_NS1_11comp_targetILNS1_3genE4ELNS1_11target_archE910ELNS1_3gpuE8ELNS1_3repE0EEENS1_30default_config_static_selectorELNS0_4arch9wavefront6targetE0EEEvSR_ ; -- Begin function _ZN7rocprim17ROCPRIM_400000_NS6detail17trampoline_kernelINS0_14default_configENS1_32segmented_reduce_config_selectorIN3c108BFloat16EEEZNS1_21segmented_reduce_implIS3_PKS6_PS6_PKiS6_N6hipcub16HIPCUB_304000_NS6detail27convert_result_type_wrapperISA_SB_N2at6native12_GLOBAL__N_19CustomMaxEEEEE10hipError_tPvRmT0_T1_jT2_SS_T4_T3_P12ihipStream_tbEUlT_E_NS1_11comp_targetILNS1_3genE4ELNS1_11target_archE910ELNS1_3gpuE8ELNS1_3repE0EEENS1_30default_config_static_selectorELNS0_4arch9wavefront6targetE0EEEvSR_
	.p2align	8
	.type	_ZN7rocprim17ROCPRIM_400000_NS6detail17trampoline_kernelINS0_14default_configENS1_32segmented_reduce_config_selectorIN3c108BFloat16EEEZNS1_21segmented_reduce_implIS3_PKS6_PS6_PKiS6_N6hipcub16HIPCUB_304000_NS6detail27convert_result_type_wrapperISA_SB_N2at6native12_GLOBAL__N_19CustomMaxEEEEE10hipError_tPvRmT0_T1_jT2_SS_T4_T3_P12ihipStream_tbEUlT_E_NS1_11comp_targetILNS1_3genE4ELNS1_11target_archE910ELNS1_3gpuE8ELNS1_3repE0EEENS1_30default_config_static_selectorELNS0_4arch9wavefront6targetE0EEEvSR_,@function
_ZN7rocprim17ROCPRIM_400000_NS6detail17trampoline_kernelINS0_14default_configENS1_32segmented_reduce_config_selectorIN3c108BFloat16EEEZNS1_21segmented_reduce_implIS3_PKS6_PS6_PKiS6_N6hipcub16HIPCUB_304000_NS6detail27convert_result_type_wrapperISA_SB_N2at6native12_GLOBAL__N_19CustomMaxEEEEE10hipError_tPvRmT0_T1_jT2_SS_T4_T3_P12ihipStream_tbEUlT_E_NS1_11comp_targetILNS1_3genE4ELNS1_11target_archE910ELNS1_3gpuE8ELNS1_3repE0EEENS1_30default_config_static_selectorELNS0_4arch9wavefront6targetE0EEEvSR_: ; @_ZN7rocprim17ROCPRIM_400000_NS6detail17trampoline_kernelINS0_14default_configENS1_32segmented_reduce_config_selectorIN3c108BFloat16EEEZNS1_21segmented_reduce_implIS3_PKS6_PS6_PKiS6_N6hipcub16HIPCUB_304000_NS6detail27convert_result_type_wrapperISA_SB_N2at6native12_GLOBAL__N_19CustomMaxEEEEE10hipError_tPvRmT0_T1_jT2_SS_T4_T3_P12ihipStream_tbEUlT_E_NS1_11comp_targetILNS1_3genE4ELNS1_11target_archE910ELNS1_3gpuE8ELNS1_3repE0EEENS1_30default_config_static_selectorELNS0_4arch9wavefront6targetE0EEEvSR_
; %bb.0:
	.section	.rodata,"a",@progbits
	.p2align	6, 0x0
	.amdhsa_kernel _ZN7rocprim17ROCPRIM_400000_NS6detail17trampoline_kernelINS0_14default_configENS1_32segmented_reduce_config_selectorIN3c108BFloat16EEEZNS1_21segmented_reduce_implIS3_PKS6_PS6_PKiS6_N6hipcub16HIPCUB_304000_NS6detail27convert_result_type_wrapperISA_SB_N2at6native12_GLOBAL__N_19CustomMaxEEEEE10hipError_tPvRmT0_T1_jT2_SS_T4_T3_P12ihipStream_tbEUlT_E_NS1_11comp_targetILNS1_3genE4ELNS1_11target_archE910ELNS1_3gpuE8ELNS1_3repE0EEENS1_30default_config_static_selectorELNS0_4arch9wavefront6targetE0EEEvSR_
		.amdhsa_group_segment_fixed_size 0
		.amdhsa_private_segment_fixed_size 0
		.amdhsa_kernarg_size 48
		.amdhsa_user_sgpr_count 15
		.amdhsa_user_sgpr_dispatch_ptr 0
		.amdhsa_user_sgpr_queue_ptr 0
		.amdhsa_user_sgpr_kernarg_segment_ptr 1
		.amdhsa_user_sgpr_dispatch_id 0
		.amdhsa_user_sgpr_private_segment_size 0
		.amdhsa_wavefront_size32 1
		.amdhsa_uses_dynamic_stack 0
		.amdhsa_enable_private_segment 0
		.amdhsa_system_sgpr_workgroup_id_x 1
		.amdhsa_system_sgpr_workgroup_id_y 0
		.amdhsa_system_sgpr_workgroup_id_z 0
		.amdhsa_system_sgpr_workgroup_info 0
		.amdhsa_system_vgpr_workitem_id 0
		.amdhsa_next_free_vgpr 1
		.amdhsa_next_free_sgpr 1
		.amdhsa_reserve_vcc 0
		.amdhsa_float_round_mode_32 0
		.amdhsa_float_round_mode_16_64 0
		.amdhsa_float_denorm_mode_32 3
		.amdhsa_float_denorm_mode_16_64 3
		.amdhsa_dx10_clamp 1
		.amdhsa_ieee_mode 1
		.amdhsa_fp16_overflow 0
		.amdhsa_workgroup_processor_mode 1
		.amdhsa_memory_ordered 1
		.amdhsa_forward_progress 0
		.amdhsa_shared_vgpr_count 0
		.amdhsa_exception_fp_ieee_invalid_op 0
		.amdhsa_exception_fp_denorm_src 0
		.amdhsa_exception_fp_ieee_div_zero 0
		.amdhsa_exception_fp_ieee_overflow 0
		.amdhsa_exception_fp_ieee_underflow 0
		.amdhsa_exception_fp_ieee_inexact 0
		.amdhsa_exception_int_div_zero 0
	.end_amdhsa_kernel
	.section	.text._ZN7rocprim17ROCPRIM_400000_NS6detail17trampoline_kernelINS0_14default_configENS1_32segmented_reduce_config_selectorIN3c108BFloat16EEEZNS1_21segmented_reduce_implIS3_PKS6_PS6_PKiS6_N6hipcub16HIPCUB_304000_NS6detail27convert_result_type_wrapperISA_SB_N2at6native12_GLOBAL__N_19CustomMaxEEEEE10hipError_tPvRmT0_T1_jT2_SS_T4_T3_P12ihipStream_tbEUlT_E_NS1_11comp_targetILNS1_3genE4ELNS1_11target_archE910ELNS1_3gpuE8ELNS1_3repE0EEENS1_30default_config_static_selectorELNS0_4arch9wavefront6targetE0EEEvSR_,"axG",@progbits,_ZN7rocprim17ROCPRIM_400000_NS6detail17trampoline_kernelINS0_14default_configENS1_32segmented_reduce_config_selectorIN3c108BFloat16EEEZNS1_21segmented_reduce_implIS3_PKS6_PS6_PKiS6_N6hipcub16HIPCUB_304000_NS6detail27convert_result_type_wrapperISA_SB_N2at6native12_GLOBAL__N_19CustomMaxEEEEE10hipError_tPvRmT0_T1_jT2_SS_T4_T3_P12ihipStream_tbEUlT_E_NS1_11comp_targetILNS1_3genE4ELNS1_11target_archE910ELNS1_3gpuE8ELNS1_3repE0EEENS1_30default_config_static_selectorELNS0_4arch9wavefront6targetE0EEEvSR_,comdat
.Lfunc_end114:
	.size	_ZN7rocprim17ROCPRIM_400000_NS6detail17trampoline_kernelINS0_14default_configENS1_32segmented_reduce_config_selectorIN3c108BFloat16EEEZNS1_21segmented_reduce_implIS3_PKS6_PS6_PKiS6_N6hipcub16HIPCUB_304000_NS6detail27convert_result_type_wrapperISA_SB_N2at6native12_GLOBAL__N_19CustomMaxEEEEE10hipError_tPvRmT0_T1_jT2_SS_T4_T3_P12ihipStream_tbEUlT_E_NS1_11comp_targetILNS1_3genE4ELNS1_11target_archE910ELNS1_3gpuE8ELNS1_3repE0EEENS1_30default_config_static_selectorELNS0_4arch9wavefront6targetE0EEEvSR_, .Lfunc_end114-_ZN7rocprim17ROCPRIM_400000_NS6detail17trampoline_kernelINS0_14default_configENS1_32segmented_reduce_config_selectorIN3c108BFloat16EEEZNS1_21segmented_reduce_implIS3_PKS6_PS6_PKiS6_N6hipcub16HIPCUB_304000_NS6detail27convert_result_type_wrapperISA_SB_N2at6native12_GLOBAL__N_19CustomMaxEEEEE10hipError_tPvRmT0_T1_jT2_SS_T4_T3_P12ihipStream_tbEUlT_E_NS1_11comp_targetILNS1_3genE4ELNS1_11target_archE910ELNS1_3gpuE8ELNS1_3repE0EEENS1_30default_config_static_selectorELNS0_4arch9wavefront6targetE0EEEvSR_
                                        ; -- End function
	.section	.AMDGPU.csdata,"",@progbits
; Kernel info:
; codeLenInByte = 0
; NumSgprs: 0
; NumVgprs: 0
; ScratchSize: 0
; MemoryBound: 0
; FloatMode: 240
; IeeeMode: 1
; LDSByteSize: 0 bytes/workgroup (compile time only)
; SGPRBlocks: 0
; VGPRBlocks: 0
; NumSGPRsForWavesPerEU: 1
; NumVGPRsForWavesPerEU: 1
; Occupancy: 16
; WaveLimiterHint : 0
; COMPUTE_PGM_RSRC2:SCRATCH_EN: 0
; COMPUTE_PGM_RSRC2:USER_SGPR: 15
; COMPUTE_PGM_RSRC2:TRAP_HANDLER: 0
; COMPUTE_PGM_RSRC2:TGID_X_EN: 1
; COMPUTE_PGM_RSRC2:TGID_Y_EN: 0
; COMPUTE_PGM_RSRC2:TGID_Z_EN: 0
; COMPUTE_PGM_RSRC2:TIDIG_COMP_CNT: 0
	.section	.text._ZN7rocprim17ROCPRIM_400000_NS6detail17trampoline_kernelINS0_14default_configENS1_32segmented_reduce_config_selectorIN3c108BFloat16EEEZNS1_21segmented_reduce_implIS3_PKS6_PS6_PKiS6_N6hipcub16HIPCUB_304000_NS6detail27convert_result_type_wrapperISA_SB_N2at6native12_GLOBAL__N_19CustomMaxEEEEE10hipError_tPvRmT0_T1_jT2_SS_T4_T3_P12ihipStream_tbEUlT_E_NS1_11comp_targetILNS1_3genE3ELNS1_11target_archE908ELNS1_3gpuE7ELNS1_3repE0EEENS1_30default_config_static_selectorELNS0_4arch9wavefront6targetE0EEEvSR_,"axG",@progbits,_ZN7rocprim17ROCPRIM_400000_NS6detail17trampoline_kernelINS0_14default_configENS1_32segmented_reduce_config_selectorIN3c108BFloat16EEEZNS1_21segmented_reduce_implIS3_PKS6_PS6_PKiS6_N6hipcub16HIPCUB_304000_NS6detail27convert_result_type_wrapperISA_SB_N2at6native12_GLOBAL__N_19CustomMaxEEEEE10hipError_tPvRmT0_T1_jT2_SS_T4_T3_P12ihipStream_tbEUlT_E_NS1_11comp_targetILNS1_3genE3ELNS1_11target_archE908ELNS1_3gpuE7ELNS1_3repE0EEENS1_30default_config_static_selectorELNS0_4arch9wavefront6targetE0EEEvSR_,comdat
	.globl	_ZN7rocprim17ROCPRIM_400000_NS6detail17trampoline_kernelINS0_14default_configENS1_32segmented_reduce_config_selectorIN3c108BFloat16EEEZNS1_21segmented_reduce_implIS3_PKS6_PS6_PKiS6_N6hipcub16HIPCUB_304000_NS6detail27convert_result_type_wrapperISA_SB_N2at6native12_GLOBAL__N_19CustomMaxEEEEE10hipError_tPvRmT0_T1_jT2_SS_T4_T3_P12ihipStream_tbEUlT_E_NS1_11comp_targetILNS1_3genE3ELNS1_11target_archE908ELNS1_3gpuE7ELNS1_3repE0EEENS1_30default_config_static_selectorELNS0_4arch9wavefront6targetE0EEEvSR_ ; -- Begin function _ZN7rocprim17ROCPRIM_400000_NS6detail17trampoline_kernelINS0_14default_configENS1_32segmented_reduce_config_selectorIN3c108BFloat16EEEZNS1_21segmented_reduce_implIS3_PKS6_PS6_PKiS6_N6hipcub16HIPCUB_304000_NS6detail27convert_result_type_wrapperISA_SB_N2at6native12_GLOBAL__N_19CustomMaxEEEEE10hipError_tPvRmT0_T1_jT2_SS_T4_T3_P12ihipStream_tbEUlT_E_NS1_11comp_targetILNS1_3genE3ELNS1_11target_archE908ELNS1_3gpuE7ELNS1_3repE0EEENS1_30default_config_static_selectorELNS0_4arch9wavefront6targetE0EEEvSR_
	.p2align	8
	.type	_ZN7rocprim17ROCPRIM_400000_NS6detail17trampoline_kernelINS0_14default_configENS1_32segmented_reduce_config_selectorIN3c108BFloat16EEEZNS1_21segmented_reduce_implIS3_PKS6_PS6_PKiS6_N6hipcub16HIPCUB_304000_NS6detail27convert_result_type_wrapperISA_SB_N2at6native12_GLOBAL__N_19CustomMaxEEEEE10hipError_tPvRmT0_T1_jT2_SS_T4_T3_P12ihipStream_tbEUlT_E_NS1_11comp_targetILNS1_3genE3ELNS1_11target_archE908ELNS1_3gpuE7ELNS1_3repE0EEENS1_30default_config_static_selectorELNS0_4arch9wavefront6targetE0EEEvSR_,@function
_ZN7rocprim17ROCPRIM_400000_NS6detail17trampoline_kernelINS0_14default_configENS1_32segmented_reduce_config_selectorIN3c108BFloat16EEEZNS1_21segmented_reduce_implIS3_PKS6_PS6_PKiS6_N6hipcub16HIPCUB_304000_NS6detail27convert_result_type_wrapperISA_SB_N2at6native12_GLOBAL__N_19CustomMaxEEEEE10hipError_tPvRmT0_T1_jT2_SS_T4_T3_P12ihipStream_tbEUlT_E_NS1_11comp_targetILNS1_3genE3ELNS1_11target_archE908ELNS1_3gpuE7ELNS1_3repE0EEENS1_30default_config_static_selectorELNS0_4arch9wavefront6targetE0EEEvSR_: ; @_ZN7rocprim17ROCPRIM_400000_NS6detail17trampoline_kernelINS0_14default_configENS1_32segmented_reduce_config_selectorIN3c108BFloat16EEEZNS1_21segmented_reduce_implIS3_PKS6_PS6_PKiS6_N6hipcub16HIPCUB_304000_NS6detail27convert_result_type_wrapperISA_SB_N2at6native12_GLOBAL__N_19CustomMaxEEEEE10hipError_tPvRmT0_T1_jT2_SS_T4_T3_P12ihipStream_tbEUlT_E_NS1_11comp_targetILNS1_3genE3ELNS1_11target_archE908ELNS1_3gpuE7ELNS1_3repE0EEENS1_30default_config_static_selectorELNS0_4arch9wavefront6targetE0EEEvSR_
; %bb.0:
	.section	.rodata,"a",@progbits
	.p2align	6, 0x0
	.amdhsa_kernel _ZN7rocprim17ROCPRIM_400000_NS6detail17trampoline_kernelINS0_14default_configENS1_32segmented_reduce_config_selectorIN3c108BFloat16EEEZNS1_21segmented_reduce_implIS3_PKS6_PS6_PKiS6_N6hipcub16HIPCUB_304000_NS6detail27convert_result_type_wrapperISA_SB_N2at6native12_GLOBAL__N_19CustomMaxEEEEE10hipError_tPvRmT0_T1_jT2_SS_T4_T3_P12ihipStream_tbEUlT_E_NS1_11comp_targetILNS1_3genE3ELNS1_11target_archE908ELNS1_3gpuE7ELNS1_3repE0EEENS1_30default_config_static_selectorELNS0_4arch9wavefront6targetE0EEEvSR_
		.amdhsa_group_segment_fixed_size 0
		.amdhsa_private_segment_fixed_size 0
		.amdhsa_kernarg_size 48
		.amdhsa_user_sgpr_count 15
		.amdhsa_user_sgpr_dispatch_ptr 0
		.amdhsa_user_sgpr_queue_ptr 0
		.amdhsa_user_sgpr_kernarg_segment_ptr 1
		.amdhsa_user_sgpr_dispatch_id 0
		.amdhsa_user_sgpr_private_segment_size 0
		.amdhsa_wavefront_size32 1
		.amdhsa_uses_dynamic_stack 0
		.amdhsa_enable_private_segment 0
		.amdhsa_system_sgpr_workgroup_id_x 1
		.amdhsa_system_sgpr_workgroup_id_y 0
		.amdhsa_system_sgpr_workgroup_id_z 0
		.amdhsa_system_sgpr_workgroup_info 0
		.amdhsa_system_vgpr_workitem_id 0
		.amdhsa_next_free_vgpr 1
		.amdhsa_next_free_sgpr 1
		.amdhsa_reserve_vcc 0
		.amdhsa_float_round_mode_32 0
		.amdhsa_float_round_mode_16_64 0
		.amdhsa_float_denorm_mode_32 3
		.amdhsa_float_denorm_mode_16_64 3
		.amdhsa_dx10_clamp 1
		.amdhsa_ieee_mode 1
		.amdhsa_fp16_overflow 0
		.amdhsa_workgroup_processor_mode 1
		.amdhsa_memory_ordered 1
		.amdhsa_forward_progress 0
		.amdhsa_shared_vgpr_count 0
		.amdhsa_exception_fp_ieee_invalid_op 0
		.amdhsa_exception_fp_denorm_src 0
		.amdhsa_exception_fp_ieee_div_zero 0
		.amdhsa_exception_fp_ieee_overflow 0
		.amdhsa_exception_fp_ieee_underflow 0
		.amdhsa_exception_fp_ieee_inexact 0
		.amdhsa_exception_int_div_zero 0
	.end_amdhsa_kernel
	.section	.text._ZN7rocprim17ROCPRIM_400000_NS6detail17trampoline_kernelINS0_14default_configENS1_32segmented_reduce_config_selectorIN3c108BFloat16EEEZNS1_21segmented_reduce_implIS3_PKS6_PS6_PKiS6_N6hipcub16HIPCUB_304000_NS6detail27convert_result_type_wrapperISA_SB_N2at6native12_GLOBAL__N_19CustomMaxEEEEE10hipError_tPvRmT0_T1_jT2_SS_T4_T3_P12ihipStream_tbEUlT_E_NS1_11comp_targetILNS1_3genE3ELNS1_11target_archE908ELNS1_3gpuE7ELNS1_3repE0EEENS1_30default_config_static_selectorELNS0_4arch9wavefront6targetE0EEEvSR_,"axG",@progbits,_ZN7rocprim17ROCPRIM_400000_NS6detail17trampoline_kernelINS0_14default_configENS1_32segmented_reduce_config_selectorIN3c108BFloat16EEEZNS1_21segmented_reduce_implIS3_PKS6_PS6_PKiS6_N6hipcub16HIPCUB_304000_NS6detail27convert_result_type_wrapperISA_SB_N2at6native12_GLOBAL__N_19CustomMaxEEEEE10hipError_tPvRmT0_T1_jT2_SS_T4_T3_P12ihipStream_tbEUlT_E_NS1_11comp_targetILNS1_3genE3ELNS1_11target_archE908ELNS1_3gpuE7ELNS1_3repE0EEENS1_30default_config_static_selectorELNS0_4arch9wavefront6targetE0EEEvSR_,comdat
.Lfunc_end115:
	.size	_ZN7rocprim17ROCPRIM_400000_NS6detail17trampoline_kernelINS0_14default_configENS1_32segmented_reduce_config_selectorIN3c108BFloat16EEEZNS1_21segmented_reduce_implIS3_PKS6_PS6_PKiS6_N6hipcub16HIPCUB_304000_NS6detail27convert_result_type_wrapperISA_SB_N2at6native12_GLOBAL__N_19CustomMaxEEEEE10hipError_tPvRmT0_T1_jT2_SS_T4_T3_P12ihipStream_tbEUlT_E_NS1_11comp_targetILNS1_3genE3ELNS1_11target_archE908ELNS1_3gpuE7ELNS1_3repE0EEENS1_30default_config_static_selectorELNS0_4arch9wavefront6targetE0EEEvSR_, .Lfunc_end115-_ZN7rocprim17ROCPRIM_400000_NS6detail17trampoline_kernelINS0_14default_configENS1_32segmented_reduce_config_selectorIN3c108BFloat16EEEZNS1_21segmented_reduce_implIS3_PKS6_PS6_PKiS6_N6hipcub16HIPCUB_304000_NS6detail27convert_result_type_wrapperISA_SB_N2at6native12_GLOBAL__N_19CustomMaxEEEEE10hipError_tPvRmT0_T1_jT2_SS_T4_T3_P12ihipStream_tbEUlT_E_NS1_11comp_targetILNS1_3genE3ELNS1_11target_archE908ELNS1_3gpuE7ELNS1_3repE0EEENS1_30default_config_static_selectorELNS0_4arch9wavefront6targetE0EEEvSR_
                                        ; -- End function
	.section	.AMDGPU.csdata,"",@progbits
; Kernel info:
; codeLenInByte = 0
; NumSgprs: 0
; NumVgprs: 0
; ScratchSize: 0
; MemoryBound: 0
; FloatMode: 240
; IeeeMode: 1
; LDSByteSize: 0 bytes/workgroup (compile time only)
; SGPRBlocks: 0
; VGPRBlocks: 0
; NumSGPRsForWavesPerEU: 1
; NumVGPRsForWavesPerEU: 1
; Occupancy: 16
; WaveLimiterHint : 0
; COMPUTE_PGM_RSRC2:SCRATCH_EN: 0
; COMPUTE_PGM_RSRC2:USER_SGPR: 15
; COMPUTE_PGM_RSRC2:TRAP_HANDLER: 0
; COMPUTE_PGM_RSRC2:TGID_X_EN: 1
; COMPUTE_PGM_RSRC2:TGID_Y_EN: 0
; COMPUTE_PGM_RSRC2:TGID_Z_EN: 0
; COMPUTE_PGM_RSRC2:TIDIG_COMP_CNT: 0
	.section	.text._ZN7rocprim17ROCPRIM_400000_NS6detail17trampoline_kernelINS0_14default_configENS1_32segmented_reduce_config_selectorIN3c108BFloat16EEEZNS1_21segmented_reduce_implIS3_PKS6_PS6_PKiS6_N6hipcub16HIPCUB_304000_NS6detail27convert_result_type_wrapperISA_SB_N2at6native12_GLOBAL__N_19CustomMaxEEEEE10hipError_tPvRmT0_T1_jT2_SS_T4_T3_P12ihipStream_tbEUlT_E_NS1_11comp_targetILNS1_3genE2ELNS1_11target_archE906ELNS1_3gpuE6ELNS1_3repE0EEENS1_30default_config_static_selectorELNS0_4arch9wavefront6targetE0EEEvSR_,"axG",@progbits,_ZN7rocprim17ROCPRIM_400000_NS6detail17trampoline_kernelINS0_14default_configENS1_32segmented_reduce_config_selectorIN3c108BFloat16EEEZNS1_21segmented_reduce_implIS3_PKS6_PS6_PKiS6_N6hipcub16HIPCUB_304000_NS6detail27convert_result_type_wrapperISA_SB_N2at6native12_GLOBAL__N_19CustomMaxEEEEE10hipError_tPvRmT0_T1_jT2_SS_T4_T3_P12ihipStream_tbEUlT_E_NS1_11comp_targetILNS1_3genE2ELNS1_11target_archE906ELNS1_3gpuE6ELNS1_3repE0EEENS1_30default_config_static_selectorELNS0_4arch9wavefront6targetE0EEEvSR_,comdat
	.globl	_ZN7rocprim17ROCPRIM_400000_NS6detail17trampoline_kernelINS0_14default_configENS1_32segmented_reduce_config_selectorIN3c108BFloat16EEEZNS1_21segmented_reduce_implIS3_PKS6_PS6_PKiS6_N6hipcub16HIPCUB_304000_NS6detail27convert_result_type_wrapperISA_SB_N2at6native12_GLOBAL__N_19CustomMaxEEEEE10hipError_tPvRmT0_T1_jT2_SS_T4_T3_P12ihipStream_tbEUlT_E_NS1_11comp_targetILNS1_3genE2ELNS1_11target_archE906ELNS1_3gpuE6ELNS1_3repE0EEENS1_30default_config_static_selectorELNS0_4arch9wavefront6targetE0EEEvSR_ ; -- Begin function _ZN7rocprim17ROCPRIM_400000_NS6detail17trampoline_kernelINS0_14default_configENS1_32segmented_reduce_config_selectorIN3c108BFloat16EEEZNS1_21segmented_reduce_implIS3_PKS6_PS6_PKiS6_N6hipcub16HIPCUB_304000_NS6detail27convert_result_type_wrapperISA_SB_N2at6native12_GLOBAL__N_19CustomMaxEEEEE10hipError_tPvRmT0_T1_jT2_SS_T4_T3_P12ihipStream_tbEUlT_E_NS1_11comp_targetILNS1_3genE2ELNS1_11target_archE906ELNS1_3gpuE6ELNS1_3repE0EEENS1_30default_config_static_selectorELNS0_4arch9wavefront6targetE0EEEvSR_
	.p2align	8
	.type	_ZN7rocprim17ROCPRIM_400000_NS6detail17trampoline_kernelINS0_14default_configENS1_32segmented_reduce_config_selectorIN3c108BFloat16EEEZNS1_21segmented_reduce_implIS3_PKS6_PS6_PKiS6_N6hipcub16HIPCUB_304000_NS6detail27convert_result_type_wrapperISA_SB_N2at6native12_GLOBAL__N_19CustomMaxEEEEE10hipError_tPvRmT0_T1_jT2_SS_T4_T3_P12ihipStream_tbEUlT_E_NS1_11comp_targetILNS1_3genE2ELNS1_11target_archE906ELNS1_3gpuE6ELNS1_3repE0EEENS1_30default_config_static_selectorELNS0_4arch9wavefront6targetE0EEEvSR_,@function
_ZN7rocprim17ROCPRIM_400000_NS6detail17trampoline_kernelINS0_14default_configENS1_32segmented_reduce_config_selectorIN3c108BFloat16EEEZNS1_21segmented_reduce_implIS3_PKS6_PS6_PKiS6_N6hipcub16HIPCUB_304000_NS6detail27convert_result_type_wrapperISA_SB_N2at6native12_GLOBAL__N_19CustomMaxEEEEE10hipError_tPvRmT0_T1_jT2_SS_T4_T3_P12ihipStream_tbEUlT_E_NS1_11comp_targetILNS1_3genE2ELNS1_11target_archE906ELNS1_3gpuE6ELNS1_3repE0EEENS1_30default_config_static_selectorELNS0_4arch9wavefront6targetE0EEEvSR_: ; @_ZN7rocprim17ROCPRIM_400000_NS6detail17trampoline_kernelINS0_14default_configENS1_32segmented_reduce_config_selectorIN3c108BFloat16EEEZNS1_21segmented_reduce_implIS3_PKS6_PS6_PKiS6_N6hipcub16HIPCUB_304000_NS6detail27convert_result_type_wrapperISA_SB_N2at6native12_GLOBAL__N_19CustomMaxEEEEE10hipError_tPvRmT0_T1_jT2_SS_T4_T3_P12ihipStream_tbEUlT_E_NS1_11comp_targetILNS1_3genE2ELNS1_11target_archE906ELNS1_3gpuE6ELNS1_3repE0EEENS1_30default_config_static_selectorELNS0_4arch9wavefront6targetE0EEEvSR_
; %bb.0:
	.section	.rodata,"a",@progbits
	.p2align	6, 0x0
	.amdhsa_kernel _ZN7rocprim17ROCPRIM_400000_NS6detail17trampoline_kernelINS0_14default_configENS1_32segmented_reduce_config_selectorIN3c108BFloat16EEEZNS1_21segmented_reduce_implIS3_PKS6_PS6_PKiS6_N6hipcub16HIPCUB_304000_NS6detail27convert_result_type_wrapperISA_SB_N2at6native12_GLOBAL__N_19CustomMaxEEEEE10hipError_tPvRmT0_T1_jT2_SS_T4_T3_P12ihipStream_tbEUlT_E_NS1_11comp_targetILNS1_3genE2ELNS1_11target_archE906ELNS1_3gpuE6ELNS1_3repE0EEENS1_30default_config_static_selectorELNS0_4arch9wavefront6targetE0EEEvSR_
		.amdhsa_group_segment_fixed_size 0
		.amdhsa_private_segment_fixed_size 0
		.amdhsa_kernarg_size 48
		.amdhsa_user_sgpr_count 15
		.amdhsa_user_sgpr_dispatch_ptr 0
		.amdhsa_user_sgpr_queue_ptr 0
		.amdhsa_user_sgpr_kernarg_segment_ptr 1
		.amdhsa_user_sgpr_dispatch_id 0
		.amdhsa_user_sgpr_private_segment_size 0
		.amdhsa_wavefront_size32 1
		.amdhsa_uses_dynamic_stack 0
		.amdhsa_enable_private_segment 0
		.amdhsa_system_sgpr_workgroup_id_x 1
		.amdhsa_system_sgpr_workgroup_id_y 0
		.amdhsa_system_sgpr_workgroup_id_z 0
		.amdhsa_system_sgpr_workgroup_info 0
		.amdhsa_system_vgpr_workitem_id 0
		.amdhsa_next_free_vgpr 1
		.amdhsa_next_free_sgpr 1
		.amdhsa_reserve_vcc 0
		.amdhsa_float_round_mode_32 0
		.amdhsa_float_round_mode_16_64 0
		.amdhsa_float_denorm_mode_32 3
		.amdhsa_float_denorm_mode_16_64 3
		.amdhsa_dx10_clamp 1
		.amdhsa_ieee_mode 1
		.amdhsa_fp16_overflow 0
		.amdhsa_workgroup_processor_mode 1
		.amdhsa_memory_ordered 1
		.amdhsa_forward_progress 0
		.amdhsa_shared_vgpr_count 0
		.amdhsa_exception_fp_ieee_invalid_op 0
		.amdhsa_exception_fp_denorm_src 0
		.amdhsa_exception_fp_ieee_div_zero 0
		.amdhsa_exception_fp_ieee_overflow 0
		.amdhsa_exception_fp_ieee_underflow 0
		.amdhsa_exception_fp_ieee_inexact 0
		.amdhsa_exception_int_div_zero 0
	.end_amdhsa_kernel
	.section	.text._ZN7rocprim17ROCPRIM_400000_NS6detail17trampoline_kernelINS0_14default_configENS1_32segmented_reduce_config_selectorIN3c108BFloat16EEEZNS1_21segmented_reduce_implIS3_PKS6_PS6_PKiS6_N6hipcub16HIPCUB_304000_NS6detail27convert_result_type_wrapperISA_SB_N2at6native12_GLOBAL__N_19CustomMaxEEEEE10hipError_tPvRmT0_T1_jT2_SS_T4_T3_P12ihipStream_tbEUlT_E_NS1_11comp_targetILNS1_3genE2ELNS1_11target_archE906ELNS1_3gpuE6ELNS1_3repE0EEENS1_30default_config_static_selectorELNS0_4arch9wavefront6targetE0EEEvSR_,"axG",@progbits,_ZN7rocprim17ROCPRIM_400000_NS6detail17trampoline_kernelINS0_14default_configENS1_32segmented_reduce_config_selectorIN3c108BFloat16EEEZNS1_21segmented_reduce_implIS3_PKS6_PS6_PKiS6_N6hipcub16HIPCUB_304000_NS6detail27convert_result_type_wrapperISA_SB_N2at6native12_GLOBAL__N_19CustomMaxEEEEE10hipError_tPvRmT0_T1_jT2_SS_T4_T3_P12ihipStream_tbEUlT_E_NS1_11comp_targetILNS1_3genE2ELNS1_11target_archE906ELNS1_3gpuE6ELNS1_3repE0EEENS1_30default_config_static_selectorELNS0_4arch9wavefront6targetE0EEEvSR_,comdat
.Lfunc_end116:
	.size	_ZN7rocprim17ROCPRIM_400000_NS6detail17trampoline_kernelINS0_14default_configENS1_32segmented_reduce_config_selectorIN3c108BFloat16EEEZNS1_21segmented_reduce_implIS3_PKS6_PS6_PKiS6_N6hipcub16HIPCUB_304000_NS6detail27convert_result_type_wrapperISA_SB_N2at6native12_GLOBAL__N_19CustomMaxEEEEE10hipError_tPvRmT0_T1_jT2_SS_T4_T3_P12ihipStream_tbEUlT_E_NS1_11comp_targetILNS1_3genE2ELNS1_11target_archE906ELNS1_3gpuE6ELNS1_3repE0EEENS1_30default_config_static_selectorELNS0_4arch9wavefront6targetE0EEEvSR_, .Lfunc_end116-_ZN7rocprim17ROCPRIM_400000_NS6detail17trampoline_kernelINS0_14default_configENS1_32segmented_reduce_config_selectorIN3c108BFloat16EEEZNS1_21segmented_reduce_implIS3_PKS6_PS6_PKiS6_N6hipcub16HIPCUB_304000_NS6detail27convert_result_type_wrapperISA_SB_N2at6native12_GLOBAL__N_19CustomMaxEEEEE10hipError_tPvRmT0_T1_jT2_SS_T4_T3_P12ihipStream_tbEUlT_E_NS1_11comp_targetILNS1_3genE2ELNS1_11target_archE906ELNS1_3gpuE6ELNS1_3repE0EEENS1_30default_config_static_selectorELNS0_4arch9wavefront6targetE0EEEvSR_
                                        ; -- End function
	.section	.AMDGPU.csdata,"",@progbits
; Kernel info:
; codeLenInByte = 0
; NumSgprs: 0
; NumVgprs: 0
; ScratchSize: 0
; MemoryBound: 0
; FloatMode: 240
; IeeeMode: 1
; LDSByteSize: 0 bytes/workgroup (compile time only)
; SGPRBlocks: 0
; VGPRBlocks: 0
; NumSGPRsForWavesPerEU: 1
; NumVGPRsForWavesPerEU: 1
; Occupancy: 16
; WaveLimiterHint : 0
; COMPUTE_PGM_RSRC2:SCRATCH_EN: 0
; COMPUTE_PGM_RSRC2:USER_SGPR: 15
; COMPUTE_PGM_RSRC2:TRAP_HANDLER: 0
; COMPUTE_PGM_RSRC2:TGID_X_EN: 1
; COMPUTE_PGM_RSRC2:TGID_Y_EN: 0
; COMPUTE_PGM_RSRC2:TGID_Z_EN: 0
; COMPUTE_PGM_RSRC2:TIDIG_COMP_CNT: 0
	.section	.text._ZN7rocprim17ROCPRIM_400000_NS6detail17trampoline_kernelINS0_14default_configENS1_32segmented_reduce_config_selectorIN3c108BFloat16EEEZNS1_21segmented_reduce_implIS3_PKS6_PS6_PKiS6_N6hipcub16HIPCUB_304000_NS6detail27convert_result_type_wrapperISA_SB_N2at6native12_GLOBAL__N_19CustomMaxEEEEE10hipError_tPvRmT0_T1_jT2_SS_T4_T3_P12ihipStream_tbEUlT_E_NS1_11comp_targetILNS1_3genE9ELNS1_11target_archE1100ELNS1_3gpuE3ELNS1_3repE0EEENS1_30default_config_static_selectorELNS0_4arch9wavefront6targetE0EEEvSR_,"axG",@progbits,_ZN7rocprim17ROCPRIM_400000_NS6detail17trampoline_kernelINS0_14default_configENS1_32segmented_reduce_config_selectorIN3c108BFloat16EEEZNS1_21segmented_reduce_implIS3_PKS6_PS6_PKiS6_N6hipcub16HIPCUB_304000_NS6detail27convert_result_type_wrapperISA_SB_N2at6native12_GLOBAL__N_19CustomMaxEEEEE10hipError_tPvRmT0_T1_jT2_SS_T4_T3_P12ihipStream_tbEUlT_E_NS1_11comp_targetILNS1_3genE9ELNS1_11target_archE1100ELNS1_3gpuE3ELNS1_3repE0EEENS1_30default_config_static_selectorELNS0_4arch9wavefront6targetE0EEEvSR_,comdat
	.globl	_ZN7rocprim17ROCPRIM_400000_NS6detail17trampoline_kernelINS0_14default_configENS1_32segmented_reduce_config_selectorIN3c108BFloat16EEEZNS1_21segmented_reduce_implIS3_PKS6_PS6_PKiS6_N6hipcub16HIPCUB_304000_NS6detail27convert_result_type_wrapperISA_SB_N2at6native12_GLOBAL__N_19CustomMaxEEEEE10hipError_tPvRmT0_T1_jT2_SS_T4_T3_P12ihipStream_tbEUlT_E_NS1_11comp_targetILNS1_3genE9ELNS1_11target_archE1100ELNS1_3gpuE3ELNS1_3repE0EEENS1_30default_config_static_selectorELNS0_4arch9wavefront6targetE0EEEvSR_ ; -- Begin function _ZN7rocprim17ROCPRIM_400000_NS6detail17trampoline_kernelINS0_14default_configENS1_32segmented_reduce_config_selectorIN3c108BFloat16EEEZNS1_21segmented_reduce_implIS3_PKS6_PS6_PKiS6_N6hipcub16HIPCUB_304000_NS6detail27convert_result_type_wrapperISA_SB_N2at6native12_GLOBAL__N_19CustomMaxEEEEE10hipError_tPvRmT0_T1_jT2_SS_T4_T3_P12ihipStream_tbEUlT_E_NS1_11comp_targetILNS1_3genE9ELNS1_11target_archE1100ELNS1_3gpuE3ELNS1_3repE0EEENS1_30default_config_static_selectorELNS0_4arch9wavefront6targetE0EEEvSR_
	.p2align	8
	.type	_ZN7rocprim17ROCPRIM_400000_NS6detail17trampoline_kernelINS0_14default_configENS1_32segmented_reduce_config_selectorIN3c108BFloat16EEEZNS1_21segmented_reduce_implIS3_PKS6_PS6_PKiS6_N6hipcub16HIPCUB_304000_NS6detail27convert_result_type_wrapperISA_SB_N2at6native12_GLOBAL__N_19CustomMaxEEEEE10hipError_tPvRmT0_T1_jT2_SS_T4_T3_P12ihipStream_tbEUlT_E_NS1_11comp_targetILNS1_3genE9ELNS1_11target_archE1100ELNS1_3gpuE3ELNS1_3repE0EEENS1_30default_config_static_selectorELNS0_4arch9wavefront6targetE0EEEvSR_,@function
_ZN7rocprim17ROCPRIM_400000_NS6detail17trampoline_kernelINS0_14default_configENS1_32segmented_reduce_config_selectorIN3c108BFloat16EEEZNS1_21segmented_reduce_implIS3_PKS6_PS6_PKiS6_N6hipcub16HIPCUB_304000_NS6detail27convert_result_type_wrapperISA_SB_N2at6native12_GLOBAL__N_19CustomMaxEEEEE10hipError_tPvRmT0_T1_jT2_SS_T4_T3_P12ihipStream_tbEUlT_E_NS1_11comp_targetILNS1_3genE9ELNS1_11target_archE1100ELNS1_3gpuE3ELNS1_3repE0EEENS1_30default_config_static_selectorELNS0_4arch9wavefront6targetE0EEEvSR_: ; @_ZN7rocprim17ROCPRIM_400000_NS6detail17trampoline_kernelINS0_14default_configENS1_32segmented_reduce_config_selectorIN3c108BFloat16EEEZNS1_21segmented_reduce_implIS3_PKS6_PS6_PKiS6_N6hipcub16HIPCUB_304000_NS6detail27convert_result_type_wrapperISA_SB_N2at6native12_GLOBAL__N_19CustomMaxEEEEE10hipError_tPvRmT0_T1_jT2_SS_T4_T3_P12ihipStream_tbEUlT_E_NS1_11comp_targetILNS1_3genE9ELNS1_11target_archE1100ELNS1_3gpuE3ELNS1_3repE0EEENS1_30default_config_static_selectorELNS0_4arch9wavefront6targetE0EEEvSR_
; %bb.0:
	s_clause 0x2
	s_load_b256 s[16:23], s[0:1], 0x0
	s_load_b32 s4, s[0:1], 0x28
	s_load_b64 s[0:1], s[0:1], 0x20
	s_mov_b32 s24, s15
	s_mov_b32 s25, 0
	v_cmp_eq_u32_e32 vcc_lo, 0, v0
	s_waitcnt lgkmcnt(0)
	s_lshl_b64 s[2:3], s[20:21], 2
	s_lshr_b32 s15, s4, 16
	s_add_u32 s4, s22, s2
	s_addc_u32 s5, s23, s3
	s_add_u32 s6, s0, s2
	s_addc_u32 s7, s1, s3
	s_lshl_b64 s[0:1], s[24:25], 2
	s_delay_alu instid0(SALU_CYCLE_1)
	s_add_u32 s2, s4, s0
	s_addc_u32 s3, s5, s1
	s_add_u32 s0, s6, s0
	s_addc_u32 s1, s7, s1
	s_load_b32 s22, s[2:3], 0x0
	s_load_b32 s29, s[0:1], 0x0
	s_waitcnt lgkmcnt(0)
	s_cmp_gt_i32 s29, s22
	s_cbranch_scc1 .LBB117_3
; %bb.1:
	s_and_b32 s28, vcc_lo, exec_lo
	s_cbranch_execz .LBB117_4
; %bb.2:
	v_mov_b32_e32 v1, s15
	s_and_saveexec_b32 s0, s28
	s_cbranch_execnz .LBB117_407
	s_branch .LBB117_408
.LBB117_3:
	s_mov_b32 s28, s25
.LBB117_4:
	s_add_i32 s0, s22, 0x1000
	s_delay_alu instid0(SALU_CYCLE_1)
	s_cmp_le_i32 s0, s29
	s_cbranch_scc0 .LBB117_132
; %bb.5:
	s_ashr_i32 s23, s22, 31
	v_lshlrev_b32_e32 v18, 1, v0
	s_lshl_b64 s[2:3], s[22:23], 1
	s_delay_alu instid0(SALU_CYCLE_1) | instskip(SKIP_1) | instid1(VALU_DEP_1)
	s_add_u32 s2, s16, s2
	s_addc_u32 s3, s17, s3
	v_add_co_u32 v1, s1, s2, v18
	s_delay_alu instid0(VALU_DEP_1) | instskip(SKIP_1) | instid1(VALU_DEP_2)
	v_add_co_ci_u32_e64 v2, null, s3, 0, s1
	s_mov_b32 s1, exec_lo
	v_add_co_u32 v19, vcc_lo, 0x1000, v1
	s_delay_alu instid0(VALU_DEP_2)
	v_add_co_ci_u32_e32 v20, vcc_lo, 0, v2, vcc_lo
	s_clause 0xf
	global_load_u16 v17, v18, s[2:3]
	global_load_u16 v16, v18, s[2:3] offset:512
	global_load_u16 v15, v18, s[2:3] offset:1024
	;; [unrolled: 1-line block ×7, first 2 shown]
	global_load_u16 v8, v[19:20], off
	global_load_u16 v7, v[19:20], off offset:512
	global_load_u16 v6, v[19:20], off offset:1024
	;; [unrolled: 1-line block ×7, first 2 shown]
	s_waitcnt vmcnt(15)
	v_mov_b32_e32 v9, v17
	v_lshlrev_b32_e32 v19, 16, v17
	s_delay_alu instid0(VALU_DEP_1)
	v_cmpx_o_f32_e32 v19, v19
	s_cbranch_execz .LBB117_9
; %bb.6:
	s_waitcnt vmcnt(14)
	v_dual_mov_b32 v9, v16 :: v_dual_lshlrev_b32 v20, 16, v16
	s_mov_b32 s2, exec_lo
	s_delay_alu instid0(VALU_DEP_1)
	v_cmpx_o_f32_e32 v20, v20
; %bb.7:
	v_cmp_lt_f32_e32 vcc_lo, v19, v20
	v_cndmask_b32_e32 v9, v17, v16, vcc_lo
	s_delay_alu instid0(VALU_DEP_1)
	v_lshlrev_b32_e32 v20, 16, v9
; %bb.8:
	s_or_b32 exec_lo, exec_lo, s2
	s_delay_alu instid0(VALU_DEP_1)
	v_mov_b32_e32 v19, v20
.LBB117_9:
	s_or_b32 exec_lo, exec_lo, s1
	s_delay_alu instid0(SALU_CYCLE_1) | instskip(NEXT) | instid1(VALU_DEP_1)
	s_mov_b32 s1, exec_lo
	v_cmpx_o_f32_e32 v19, v19
	s_cbranch_execz .LBB117_13
; %bb.10:
	s_waitcnt vmcnt(13)
	v_dual_mov_b32 v21, v15 :: v_dual_lshlrev_b32 v20, 16, v15
	s_mov_b32 s2, exec_lo
	s_delay_alu instid0(VALU_DEP_1)
	v_cmpx_o_f32_e32 v20, v20
; %bb.11:
	v_cmp_lt_f32_e32 vcc_lo, v19, v20
	v_cndmask_b32_e32 v21, v9, v15, vcc_lo
	s_delay_alu instid0(VALU_DEP_1)
	v_lshlrev_b32_e32 v20, 16, v21
; %bb.12:
	s_or_b32 exec_lo, exec_lo, s2
	s_delay_alu instid0(VALU_DEP_1)
	v_mov_b32_e32 v19, v20
	v_mov_b32_e32 v9, v21
.LBB117_13:
	s_or_b32 exec_lo, exec_lo, s1
	s_delay_alu instid0(SALU_CYCLE_1) | instskip(NEXT) | instid1(VALU_DEP_2)
	s_mov_b32 s1, exec_lo
	v_cmpx_o_f32_e32 v19, v19
	s_cbranch_execz .LBB117_17
; %bb.14:
	s_waitcnt vmcnt(12)
	v_dual_mov_b32 v21, v14 :: v_dual_lshlrev_b32 v20, 16, v14
	s_mov_b32 s2, exec_lo
	s_delay_alu instid0(VALU_DEP_1)
	v_cmpx_o_f32_e32 v20, v20
; %bb.15:
	v_cmp_lt_f32_e32 vcc_lo, v19, v20
	v_cndmask_b32_e32 v21, v9, v14, vcc_lo
	s_delay_alu instid0(VALU_DEP_1)
	v_lshlrev_b32_e32 v20, 16, v21
; %bb.16:
	s_or_b32 exec_lo, exec_lo, s2
	s_delay_alu instid0(VALU_DEP_1)
	v_mov_b32_e32 v19, v20
	v_mov_b32_e32 v9, v21
.LBB117_17:
	s_or_b32 exec_lo, exec_lo, s1
	s_delay_alu instid0(SALU_CYCLE_1) | instskip(NEXT) | instid1(VALU_DEP_2)
	s_mov_b32 s1, exec_lo
	v_cmpx_o_f32_e32 v19, v19
	s_cbranch_execz .LBB117_21
; %bb.18:
	s_waitcnt vmcnt(11)
	v_dual_mov_b32 v21, v13 :: v_dual_lshlrev_b32 v20, 16, v13
	s_mov_b32 s2, exec_lo
	s_delay_alu instid0(VALU_DEP_1)
	v_cmpx_o_f32_e32 v20, v20
; %bb.19:
	v_cmp_lt_f32_e32 vcc_lo, v19, v20
	v_cndmask_b32_e32 v21, v9, v13, vcc_lo
	s_delay_alu instid0(VALU_DEP_1)
	v_lshlrev_b32_e32 v20, 16, v21
; %bb.20:
	s_or_b32 exec_lo, exec_lo, s2
	s_delay_alu instid0(VALU_DEP_1)
	v_mov_b32_e32 v19, v20
	v_mov_b32_e32 v9, v21
.LBB117_21:
	s_or_b32 exec_lo, exec_lo, s1
	s_delay_alu instid0(SALU_CYCLE_1) | instskip(NEXT) | instid1(VALU_DEP_2)
	s_mov_b32 s1, exec_lo
	v_cmpx_o_f32_e32 v19, v19
	s_cbranch_execz .LBB117_25
; %bb.22:
	s_waitcnt vmcnt(10)
	v_dual_mov_b32 v21, v12 :: v_dual_lshlrev_b32 v20, 16, v12
	s_mov_b32 s2, exec_lo
	s_delay_alu instid0(VALU_DEP_1)
	v_cmpx_o_f32_e32 v20, v20
; %bb.23:
	v_cmp_lt_f32_e32 vcc_lo, v19, v20
	v_cndmask_b32_e32 v21, v9, v12, vcc_lo
	s_delay_alu instid0(VALU_DEP_1)
	v_lshlrev_b32_e32 v20, 16, v21
; %bb.24:
	s_or_b32 exec_lo, exec_lo, s2
	s_delay_alu instid0(VALU_DEP_1)
	v_mov_b32_e32 v19, v20
	v_mov_b32_e32 v9, v21
.LBB117_25:
	s_or_b32 exec_lo, exec_lo, s1
	s_delay_alu instid0(SALU_CYCLE_1) | instskip(NEXT) | instid1(VALU_DEP_2)
	s_mov_b32 s1, exec_lo
	v_cmpx_o_f32_e32 v19, v19
	s_cbranch_execz .LBB117_29
; %bb.26:
	s_waitcnt vmcnt(9)
	v_dual_mov_b32 v21, v11 :: v_dual_lshlrev_b32 v20, 16, v11
	s_mov_b32 s2, exec_lo
	s_delay_alu instid0(VALU_DEP_1)
	v_cmpx_o_f32_e32 v20, v20
; %bb.27:
	v_cmp_lt_f32_e32 vcc_lo, v19, v20
	v_cndmask_b32_e32 v21, v9, v11, vcc_lo
	s_delay_alu instid0(VALU_DEP_1)
	v_lshlrev_b32_e32 v20, 16, v21
; %bb.28:
	s_or_b32 exec_lo, exec_lo, s2
	s_delay_alu instid0(VALU_DEP_1)
	v_mov_b32_e32 v19, v20
	v_mov_b32_e32 v9, v21
.LBB117_29:
	s_or_b32 exec_lo, exec_lo, s1
	s_delay_alu instid0(SALU_CYCLE_1) | instskip(NEXT) | instid1(VALU_DEP_2)
	s_mov_b32 s1, exec_lo
	v_cmpx_o_f32_e32 v19, v19
	s_cbranch_execz .LBB117_33
; %bb.30:
	s_waitcnt vmcnt(8)
	v_dual_mov_b32 v21, v10 :: v_dual_lshlrev_b32 v20, 16, v10
	s_mov_b32 s2, exec_lo
	s_delay_alu instid0(VALU_DEP_1)
	v_cmpx_o_f32_e32 v20, v20
; %bb.31:
	v_cmp_lt_f32_e32 vcc_lo, v19, v20
	v_cndmask_b32_e32 v21, v9, v10, vcc_lo
	s_delay_alu instid0(VALU_DEP_1)
	v_lshlrev_b32_e32 v20, 16, v21
; %bb.32:
	s_or_b32 exec_lo, exec_lo, s2
	s_delay_alu instid0(VALU_DEP_1)
	v_mov_b32_e32 v19, v20
	v_mov_b32_e32 v9, v21
.LBB117_33:
	s_or_b32 exec_lo, exec_lo, s1
	s_delay_alu instid0(SALU_CYCLE_1) | instskip(NEXT) | instid1(VALU_DEP_2)
	s_mov_b32 s1, exec_lo
	v_cmpx_o_f32_e32 v19, v19
	s_cbranch_execz .LBB117_37
; %bb.34:
	s_waitcnt vmcnt(7)
	v_dual_mov_b32 v21, v8 :: v_dual_lshlrev_b32 v20, 16, v8
	s_mov_b32 s2, exec_lo
	s_delay_alu instid0(VALU_DEP_1)
	v_cmpx_o_f32_e32 v20, v20
; %bb.35:
	v_cmp_lt_f32_e32 vcc_lo, v19, v20
	v_cndmask_b32_e32 v21, v9, v8, vcc_lo
	s_delay_alu instid0(VALU_DEP_1)
	v_lshlrev_b32_e32 v20, 16, v21
; %bb.36:
	s_or_b32 exec_lo, exec_lo, s2
	s_delay_alu instid0(VALU_DEP_1)
	v_mov_b32_e32 v19, v20
	v_mov_b32_e32 v9, v21
.LBB117_37:
	s_or_b32 exec_lo, exec_lo, s1
	s_delay_alu instid0(SALU_CYCLE_1) | instskip(NEXT) | instid1(VALU_DEP_2)
	s_mov_b32 s1, exec_lo
	v_cmpx_o_f32_e32 v19, v19
	s_cbranch_execz .LBB117_41
; %bb.38:
	s_waitcnt vmcnt(6)
	v_dual_mov_b32 v21, v7 :: v_dual_lshlrev_b32 v20, 16, v7
	s_mov_b32 s2, exec_lo
	s_delay_alu instid0(VALU_DEP_1)
	v_cmpx_o_f32_e32 v20, v20
; %bb.39:
	v_cmp_lt_f32_e32 vcc_lo, v19, v20
	v_cndmask_b32_e32 v21, v9, v7, vcc_lo
	s_delay_alu instid0(VALU_DEP_1)
	v_lshlrev_b32_e32 v20, 16, v21
; %bb.40:
	s_or_b32 exec_lo, exec_lo, s2
	s_delay_alu instid0(VALU_DEP_1)
	v_mov_b32_e32 v19, v20
	v_mov_b32_e32 v9, v21
.LBB117_41:
	s_or_b32 exec_lo, exec_lo, s1
	s_delay_alu instid0(SALU_CYCLE_1) | instskip(NEXT) | instid1(VALU_DEP_2)
	s_mov_b32 s1, exec_lo
	v_cmpx_o_f32_e32 v19, v19
	s_cbranch_execz .LBB117_45
; %bb.42:
	s_waitcnt vmcnt(5)
	v_dual_mov_b32 v21, v6 :: v_dual_lshlrev_b32 v20, 16, v6
	s_mov_b32 s2, exec_lo
	s_delay_alu instid0(VALU_DEP_1)
	v_cmpx_o_f32_e32 v20, v20
; %bb.43:
	v_cmp_lt_f32_e32 vcc_lo, v19, v20
	v_cndmask_b32_e32 v21, v9, v6, vcc_lo
	s_delay_alu instid0(VALU_DEP_1)
	v_lshlrev_b32_e32 v20, 16, v21
; %bb.44:
	s_or_b32 exec_lo, exec_lo, s2
	s_delay_alu instid0(VALU_DEP_1)
	v_mov_b32_e32 v19, v20
	v_mov_b32_e32 v9, v21
.LBB117_45:
	s_or_b32 exec_lo, exec_lo, s1
	s_delay_alu instid0(SALU_CYCLE_1) | instskip(NEXT) | instid1(VALU_DEP_2)
	s_mov_b32 s1, exec_lo
	v_cmpx_o_f32_e32 v19, v19
	s_cbranch_execz .LBB117_49
; %bb.46:
	s_waitcnt vmcnt(4)
	v_dual_mov_b32 v21, v5 :: v_dual_lshlrev_b32 v20, 16, v5
	s_mov_b32 s2, exec_lo
	s_delay_alu instid0(VALU_DEP_1)
	v_cmpx_o_f32_e32 v20, v20
; %bb.47:
	v_cmp_lt_f32_e32 vcc_lo, v19, v20
	v_cndmask_b32_e32 v21, v9, v5, vcc_lo
	s_delay_alu instid0(VALU_DEP_1)
	v_lshlrev_b32_e32 v20, 16, v21
; %bb.48:
	s_or_b32 exec_lo, exec_lo, s2
	s_delay_alu instid0(VALU_DEP_1)
	v_mov_b32_e32 v19, v20
	v_mov_b32_e32 v9, v21
.LBB117_49:
	s_or_b32 exec_lo, exec_lo, s1
	s_delay_alu instid0(SALU_CYCLE_1) | instskip(NEXT) | instid1(VALU_DEP_2)
	s_mov_b32 s1, exec_lo
	v_cmpx_o_f32_e32 v19, v19
	s_cbranch_execz .LBB117_53
; %bb.50:
	s_waitcnt vmcnt(3)
	v_dual_mov_b32 v21, v4 :: v_dual_lshlrev_b32 v20, 16, v4
	s_mov_b32 s2, exec_lo
	s_delay_alu instid0(VALU_DEP_1)
	v_cmpx_o_f32_e32 v20, v20
; %bb.51:
	v_cmp_lt_f32_e32 vcc_lo, v19, v20
	v_cndmask_b32_e32 v21, v9, v4, vcc_lo
	s_delay_alu instid0(VALU_DEP_1)
	v_lshlrev_b32_e32 v20, 16, v21
; %bb.52:
	s_or_b32 exec_lo, exec_lo, s2
	s_delay_alu instid0(VALU_DEP_1)
	v_mov_b32_e32 v19, v20
	v_mov_b32_e32 v9, v21
.LBB117_53:
	s_or_b32 exec_lo, exec_lo, s1
	s_delay_alu instid0(SALU_CYCLE_1) | instskip(NEXT) | instid1(VALU_DEP_2)
	s_mov_b32 s1, exec_lo
	v_cmpx_o_f32_e32 v19, v19
	s_cbranch_execz .LBB117_57
; %bb.54:
	s_waitcnt vmcnt(2)
	v_dual_mov_b32 v21, v3 :: v_dual_lshlrev_b32 v20, 16, v3
	s_mov_b32 s2, exec_lo
	s_delay_alu instid0(VALU_DEP_1)
	v_cmpx_o_f32_e32 v20, v20
; %bb.55:
	v_cmp_lt_f32_e32 vcc_lo, v19, v20
	v_cndmask_b32_e32 v21, v9, v3, vcc_lo
	s_delay_alu instid0(VALU_DEP_1)
	v_lshlrev_b32_e32 v20, 16, v21
; %bb.56:
	s_or_b32 exec_lo, exec_lo, s2
	s_delay_alu instid0(VALU_DEP_1)
	v_mov_b32_e32 v19, v20
	v_mov_b32_e32 v9, v21
.LBB117_57:
	s_or_b32 exec_lo, exec_lo, s1
	s_delay_alu instid0(SALU_CYCLE_1) | instskip(NEXT) | instid1(VALU_DEP_2)
	s_mov_b32 s1, exec_lo
	v_cmpx_o_f32_e32 v19, v19
	s_cbranch_execz .LBB117_61
; %bb.58:
	s_waitcnt vmcnt(1)
	v_dual_mov_b32 v21, v2 :: v_dual_lshlrev_b32 v20, 16, v2
	s_mov_b32 s2, exec_lo
	s_delay_alu instid0(VALU_DEP_1)
	v_cmpx_o_f32_e32 v20, v20
; %bb.59:
	v_cmp_lt_f32_e32 vcc_lo, v19, v20
	v_cndmask_b32_e32 v21, v9, v2, vcc_lo
	s_delay_alu instid0(VALU_DEP_1)
	v_lshlrev_b32_e32 v20, 16, v21
; %bb.60:
	s_or_b32 exec_lo, exec_lo, s2
	s_delay_alu instid0(VALU_DEP_1)
	v_mov_b32_e32 v19, v20
	v_mov_b32_e32 v9, v21
.LBB117_61:
	s_or_b32 exec_lo, exec_lo, s1
	s_delay_alu instid0(SALU_CYCLE_1) | instskip(NEXT) | instid1(VALU_DEP_2)
	s_mov_b32 s1, exec_lo
	v_cmpx_o_f32_e32 v19, v19
	s_cbranch_execz .LBB117_65
; %bb.62:
	s_waitcnt vmcnt(0)
	v_dual_mov_b32 v20, v1 :: v_dual_lshlrev_b32 v21, 16, v1
	s_mov_b32 s2, exec_lo
	s_delay_alu instid0(VALU_DEP_1)
	v_cmpx_o_f32_e32 v21, v21
; %bb.63:
	v_cmp_lt_f32_e32 vcc_lo, v19, v21
	v_cndmask_b32_e32 v20, v9, v1, vcc_lo
; %bb.64:
	s_or_b32 exec_lo, exec_lo, s2
	s_delay_alu instid0(VALU_DEP_1)
	v_mov_b32_e32 v9, v20
.LBB117_65:
	s_or_b32 exec_lo, exec_lo, s1
	s_add_i32 s1, s22, 0x2000
	s_delay_alu instid0(SALU_CYCLE_1)
	s_cmp_ge_i32 s1, s29
	s_cbranch_scc1 .LBB117_133
; %bb.66:
	v_add_co_u32 v19, s1, s16, v18
	s_delay_alu instid0(VALU_DEP_1)
	v_add_co_ci_u32_e64 v20, null, s17, 0, s1
	s_branch .LBB117_69
.LBB117_67:                             ;   in Loop: Header=BB117_69 Depth=1
	s_or_b32 exec_lo, exec_lo, s2
	s_delay_alu instid0(VALU_DEP_1)
	v_mov_b32_e32 v9, v22
.LBB117_68:                             ;   in Loop: Header=BB117_69 Depth=1
	s_or_b32 exec_lo, exec_lo, s1
	s_add_i32 s1, s0, 0x2000
	s_addk_i32 s0, 0x1000
	s_cmp_lt_i32 s1, s29
	s_cbranch_scc0 .LBB117_133
.LBB117_69:                             ; =>This Inner Loop Header: Depth=1
	s_ashr_i32 s1, s0, 31
	s_delay_alu instid0(SALU_CYCLE_1) | instskip(SKIP_4) | instid1(VALU_DEP_2)
	s_lshl_b64 s[2:3], s[0:1], 1
	s_mov_b32 s1, exec_lo
	s_waitcnt vmcnt(0)
	v_add_co_u32 v1, vcc_lo, v19, s2
	v_add_co_ci_u32_e32 v2, vcc_lo, s3, v20, vcc_lo
	v_add_co_u32 v21, vcc_lo, 0x1000, v1
	s_delay_alu instid0(VALU_DEP_2)
	v_add_co_ci_u32_e32 v22, vcc_lo, 0, v2, vcc_lo
	s_clause 0xf
	global_load_u16 v17, v[1:2], off
	global_load_u16 v16, v[1:2], off offset:512
	global_load_u16 v15, v[1:2], off offset:1024
	;; [unrolled: 1-line block ×7, first 2 shown]
	global_load_u16 v8, v[21:22], off
	global_load_u16 v7, v[21:22], off offset:512
	global_load_u16 v6, v[21:22], off offset:1024
	;; [unrolled: 1-line block ×7, first 2 shown]
	v_lshlrev_b32_e32 v21, 16, v9
	s_delay_alu instid0(VALU_DEP_1)
	v_cmpx_o_f32_e32 v21, v21
	s_cbranch_execz .LBB117_73
; %bb.70:                               ;   in Loop: Header=BB117_69 Depth=1
	s_waitcnt vmcnt(15)
	v_dual_mov_b32 v23, v17 :: v_dual_lshlrev_b32 v22, 16, v17
	s_mov_b32 s2, exec_lo
	s_delay_alu instid0(VALU_DEP_1)
	v_cmpx_o_f32_e32 v22, v22
; %bb.71:                               ;   in Loop: Header=BB117_69 Depth=1
	v_cmp_lt_f32_e32 vcc_lo, v21, v22
	v_cndmask_b32_e32 v23, v9, v17, vcc_lo
	s_delay_alu instid0(VALU_DEP_1)
	v_lshlrev_b32_e32 v22, 16, v23
; %bb.72:                               ;   in Loop: Header=BB117_69 Depth=1
	s_or_b32 exec_lo, exec_lo, s2
	s_delay_alu instid0(VALU_DEP_1)
	v_mov_b32_e32 v21, v22
	v_mov_b32_e32 v9, v23
.LBB117_73:                             ;   in Loop: Header=BB117_69 Depth=1
	s_or_b32 exec_lo, exec_lo, s1
	s_delay_alu instid0(SALU_CYCLE_1) | instskip(NEXT) | instid1(VALU_DEP_2)
	s_mov_b32 s1, exec_lo
	v_cmpx_o_f32_e32 v21, v21
	s_cbranch_execz .LBB117_77
; %bb.74:                               ;   in Loop: Header=BB117_69 Depth=1
	s_waitcnt vmcnt(14)
	v_dual_mov_b32 v23, v16 :: v_dual_lshlrev_b32 v22, 16, v16
	s_mov_b32 s2, exec_lo
	s_delay_alu instid0(VALU_DEP_1)
	v_cmpx_o_f32_e32 v22, v22
; %bb.75:                               ;   in Loop: Header=BB117_69 Depth=1
	v_cmp_lt_f32_e32 vcc_lo, v21, v22
	v_cndmask_b32_e32 v23, v9, v16, vcc_lo
	s_delay_alu instid0(VALU_DEP_1)
	v_lshlrev_b32_e32 v22, 16, v23
; %bb.76:                               ;   in Loop: Header=BB117_69 Depth=1
	s_or_b32 exec_lo, exec_lo, s2
	s_delay_alu instid0(VALU_DEP_1)
	v_mov_b32_e32 v21, v22
	v_mov_b32_e32 v9, v23
.LBB117_77:                             ;   in Loop: Header=BB117_69 Depth=1
	s_or_b32 exec_lo, exec_lo, s1
	s_delay_alu instid0(SALU_CYCLE_1) | instskip(NEXT) | instid1(VALU_DEP_2)
	s_mov_b32 s1, exec_lo
	;; [unrolled: 22-line block ×7, first 2 shown]
	v_cmpx_o_f32_e32 v21, v21
	s_cbranch_execz .LBB117_101
; %bb.98:                               ;   in Loop: Header=BB117_69 Depth=1
	s_waitcnt vmcnt(8)
	v_dual_mov_b32 v23, v10 :: v_dual_lshlrev_b32 v22, 16, v10
	s_mov_b32 s2, exec_lo
	s_delay_alu instid0(VALU_DEP_1)
	v_cmpx_o_f32_e32 v22, v22
; %bb.99:                               ;   in Loop: Header=BB117_69 Depth=1
	v_cmp_lt_f32_e32 vcc_lo, v21, v22
	v_cndmask_b32_e32 v23, v9, v10, vcc_lo
	s_delay_alu instid0(VALU_DEP_1)
	v_lshlrev_b32_e32 v22, 16, v23
; %bb.100:                              ;   in Loop: Header=BB117_69 Depth=1
	s_or_b32 exec_lo, exec_lo, s2
	s_delay_alu instid0(VALU_DEP_1)
	v_mov_b32_e32 v21, v22
	v_mov_b32_e32 v9, v23
.LBB117_101:                            ;   in Loop: Header=BB117_69 Depth=1
	s_or_b32 exec_lo, exec_lo, s1
	s_delay_alu instid0(SALU_CYCLE_1) | instskip(NEXT) | instid1(VALU_DEP_2)
	s_mov_b32 s1, exec_lo
	v_cmpx_o_f32_e32 v21, v21
	s_cbranch_execz .LBB117_105
; %bb.102:                              ;   in Loop: Header=BB117_69 Depth=1
	s_waitcnt vmcnt(7)
	v_dual_mov_b32 v23, v8 :: v_dual_lshlrev_b32 v22, 16, v8
	s_mov_b32 s2, exec_lo
	s_delay_alu instid0(VALU_DEP_1)
	v_cmpx_o_f32_e32 v22, v22
; %bb.103:                              ;   in Loop: Header=BB117_69 Depth=1
	v_cmp_lt_f32_e32 vcc_lo, v21, v22
	v_cndmask_b32_e32 v23, v9, v8, vcc_lo
	s_delay_alu instid0(VALU_DEP_1)
	v_lshlrev_b32_e32 v22, 16, v23
; %bb.104:                              ;   in Loop: Header=BB117_69 Depth=1
	s_or_b32 exec_lo, exec_lo, s2
	s_delay_alu instid0(VALU_DEP_1)
	v_mov_b32_e32 v21, v22
	v_mov_b32_e32 v9, v23
.LBB117_105:                            ;   in Loop: Header=BB117_69 Depth=1
	s_or_b32 exec_lo, exec_lo, s1
	s_delay_alu instid0(SALU_CYCLE_1) | instskip(NEXT) | instid1(VALU_DEP_2)
	s_mov_b32 s1, exec_lo
	v_cmpx_o_f32_e32 v21, v21
	s_cbranch_execz .LBB117_109
; %bb.106:                              ;   in Loop: Header=BB117_69 Depth=1
	s_waitcnt vmcnt(6)
	v_dual_mov_b32 v23, v7 :: v_dual_lshlrev_b32 v22, 16, v7
	s_mov_b32 s2, exec_lo
	s_delay_alu instid0(VALU_DEP_1)
	v_cmpx_o_f32_e32 v22, v22
; %bb.107:                              ;   in Loop: Header=BB117_69 Depth=1
	v_cmp_lt_f32_e32 vcc_lo, v21, v22
	v_cndmask_b32_e32 v23, v9, v7, vcc_lo
	s_delay_alu instid0(VALU_DEP_1)
	v_lshlrev_b32_e32 v22, 16, v23
; %bb.108:                              ;   in Loop: Header=BB117_69 Depth=1
	s_or_b32 exec_lo, exec_lo, s2
	s_delay_alu instid0(VALU_DEP_1)
	v_mov_b32_e32 v21, v22
	v_mov_b32_e32 v9, v23
.LBB117_109:                            ;   in Loop: Header=BB117_69 Depth=1
	;; [unrolled: 22-line block ×7, first 2 shown]
	s_or_b32 exec_lo, exec_lo, s1
	s_delay_alu instid0(SALU_CYCLE_1) | instskip(NEXT) | instid1(VALU_DEP_2)
	s_mov_b32 s1, exec_lo
	v_cmpx_o_f32_e32 v21, v21
	s_cbranch_execz .LBB117_68
; %bb.130:                              ;   in Loop: Header=BB117_69 Depth=1
	s_waitcnt vmcnt(0)
	v_dual_mov_b32 v22, v1 :: v_dual_lshlrev_b32 v23, 16, v1
	s_mov_b32 s2, exec_lo
	s_delay_alu instid0(VALU_DEP_1)
	v_cmpx_o_f32_e32 v23, v23
	s_cbranch_execz .LBB117_67
; %bb.131:                              ;   in Loop: Header=BB117_69 Depth=1
	v_cmp_lt_f32_e32 vcc_lo, v21, v23
	v_cndmask_b32_e32 v22, v9, v1, vcc_lo
	s_branch .LBB117_67
.LBB117_132:
                                        ; implicit-def: $vgpr2
	s_cbranch_execnz .LBB117_298
	s_branch .LBB117_400
.LBB117_133:
	s_ashr_i32 s1, s0, 31
	s_sub_i32 s23, s29, s0
	s_lshl_b64 s[0:1], s[0:1], 1
	v_cmp_gt_u32_e64 s14, s23, v0
	s_add_u32 s26, s16, s0
	s_addc_u32 s27, s17, s1
	s_delay_alu instid0(VALU_DEP_1)
	s_and_saveexec_b32 s0, s14
	s_cbranch_execz .LBB117_135
; %bb.134:
	global_load_u16 v17, v18, s[26:27]
.LBB117_135:
	s_or_b32 exec_lo, exec_lo, s0
	v_or_b32_e32 v19, 0x100, v0
	s_delay_alu instid0(VALU_DEP_1) | instskip(NEXT) | instid1(VALU_DEP_1)
	v_cmp_gt_u32_e64 s13, s23, v19
	s_and_saveexec_b32 s0, s13
	s_cbranch_execz .LBB117_137
; %bb.136:
	global_load_u16 v16, v18, s[26:27] offset:512
.LBB117_137:
	s_or_b32 exec_lo, exec_lo, s0
	v_or_b32_e32 v19, 0x200, v0
	s_delay_alu instid0(VALU_DEP_1) | instskip(NEXT) | instid1(VALU_DEP_1)
	v_cmp_gt_u32_e64 s12, s23, v19
	s_and_saveexec_b32 s0, s12
	s_cbranch_execz .LBB117_139
; %bb.138:
	global_load_u16 v15, v18, s[26:27] offset:1024
.LBB117_139:
	;; [unrolled: 9-line block ×7, first 2 shown]
	s_or_b32 exec_lo, exec_lo, s0
	v_or_b32_e32 v18, 0x800, v0
	s_delay_alu instid0(VALU_DEP_1) | instskip(NEXT) | instid1(VALU_DEP_1)
	v_cmp_gt_u32_e64 s6, s23, v18
	s_and_saveexec_b32 s0, s6
	s_cbranch_execz .LBB117_151
; %bb.150:
	s_waitcnt vmcnt(7)
	v_lshlrev_b32_e32 v8, 1, v18
	global_load_u16 v8, v8, s[26:27]
.LBB117_151:
	s_or_b32 exec_lo, exec_lo, s0
	v_or_b32_e32 v18, 0x900, v0
	s_delay_alu instid0(VALU_DEP_1) | instskip(NEXT) | instid1(VALU_DEP_1)
	v_cmp_gt_u32_e64 s5, s23, v18
	s_and_saveexec_b32 s0, s5
	s_cbranch_execz .LBB117_153
; %bb.152:
	s_waitcnt vmcnt(6)
	v_lshlrev_b32_e32 v7, 1, v18
	global_load_u16 v7, v7, s[26:27]
.LBB117_153:
	;; [unrolled: 11-line block ×7, first 2 shown]
	s_or_b32 exec_lo, exec_lo, s30
	v_or_b32_e32 v18, 0xf00, v0
	s_delay_alu instid0(VALU_DEP_1)
	v_cmp_gt_u32_e32 vcc_lo, s23, v18
	s_and_saveexec_b32 s23, vcc_lo
	s_cbranch_execnz .LBB117_180
; %bb.164:
	s_or_b32 exec_lo, exec_lo, s23
	s_and_saveexec_b32 s23, s14
	s_cbranch_execnz .LBB117_181
.LBB117_165:
	s_or_b32 exec_lo, exec_lo, s23
	s_and_saveexec_b32 s14, s13
	s_cbranch_execnz .LBB117_186
.LBB117_166:
	s_or_b32 exec_lo, exec_lo, s14
	s_and_saveexec_b32 s13, s12
	s_cbranch_execnz .LBB117_191
.LBB117_167:
	s_or_b32 exec_lo, exec_lo, s13
	s_and_saveexec_b32 s12, s11
	s_cbranch_execnz .LBB117_196
.LBB117_168:
	s_or_b32 exec_lo, exec_lo, s12
	s_and_saveexec_b32 s11, s10
	s_cbranch_execnz .LBB117_201
.LBB117_169:
	s_or_b32 exec_lo, exec_lo, s11
	s_and_saveexec_b32 s10, s9
	s_cbranch_execnz .LBB117_206
.LBB117_170:
	s_or_b32 exec_lo, exec_lo, s10
	s_and_saveexec_b32 s9, s8
	s_cbranch_execnz .LBB117_211
.LBB117_171:
	s_or_b32 exec_lo, exec_lo, s9
	s_and_saveexec_b32 s8, s7
	s_cbranch_execnz .LBB117_216
.LBB117_172:
	s_or_b32 exec_lo, exec_lo, s8
	s_and_saveexec_b32 s7, s6
	s_cbranch_execnz .LBB117_221
.LBB117_173:
	s_or_b32 exec_lo, exec_lo, s7
	s_and_saveexec_b32 s6, s5
	s_cbranch_execnz .LBB117_226
.LBB117_174:
	s_or_b32 exec_lo, exec_lo, s6
	s_and_saveexec_b32 s5, s4
	s_cbranch_execnz .LBB117_231
.LBB117_175:
	s_or_b32 exec_lo, exec_lo, s5
	s_and_saveexec_b32 s4, s3
	s_cbranch_execnz .LBB117_236
.LBB117_176:
	s_or_b32 exec_lo, exec_lo, s4
	s_and_saveexec_b32 s3, s2
	s_cbranch_execnz .LBB117_241
.LBB117_177:
	s_or_b32 exec_lo, exec_lo, s3
	s_and_saveexec_b32 s2, s1
	s_cbranch_execnz .LBB117_246
.LBB117_178:
	s_or_b32 exec_lo, exec_lo, s2
	s_and_saveexec_b32 s1, s0
	s_cbranch_execnz .LBB117_251
.LBB117_179:
	s_or_b32 exec_lo, exec_lo, s1
	s_and_saveexec_b32 s0, vcc_lo
	s_cbranch_execnz .LBB117_256
	s_branch .LBB117_261
.LBB117_180:
	s_waitcnt vmcnt(0)
	v_lshlrev_b32_e32 v1, 1, v18
	global_load_u16 v1, v1, s[26:27]
	s_or_b32 exec_lo, exec_lo, s23
	s_and_saveexec_b32 s23, s14
	s_cbranch_execz .LBB117_165
.LBB117_181:
	v_lshlrev_b32_e32 v18, 16, v9
	s_mov_b32 s26, exec_lo
	s_delay_alu instid0(VALU_DEP_1)
	v_cmpx_o_f32_e32 v18, v18
	s_cbranch_execz .LBB117_185
; %bb.182:
	s_waitcnt vmcnt(0)
	v_lshlrev_b32_e32 v19, 16, v17
	s_mov_b32 s27, exec_lo
	s_delay_alu instid0(VALU_DEP_1)
	v_cmpx_o_f32_e32 v19, v19
; %bb.183:
	v_cmp_lt_f32_e64 s14, v18, v19
	s_delay_alu instid0(VALU_DEP_1)
	v_cndmask_b32_e64 v17, v9, v17, s14
; %bb.184:
	s_or_b32 exec_lo, exec_lo, s27
	s_delay_alu instid0(VALU_DEP_1)
	v_mov_b32_e32 v9, v17
.LBB117_185:
	s_or_b32 exec_lo, exec_lo, s26
	s_delay_alu instid0(SALU_CYCLE_1)
	s_or_b32 exec_lo, exec_lo, s23
	s_and_saveexec_b32 s14, s13
	s_cbranch_execz .LBB117_166
.LBB117_186:
	s_waitcnt vmcnt(0)
	v_lshlrev_b32_e32 v17, 16, v9
	s_mov_b32 s23, exec_lo
	s_delay_alu instid0(VALU_DEP_1)
	v_cmpx_o_f32_e32 v17, v17
	s_cbranch_execz .LBB117_190
; %bb.187:
	v_lshlrev_b32_e32 v18, 16, v16
	s_mov_b32 s26, exec_lo
	s_delay_alu instid0(VALU_DEP_1)
	v_cmpx_o_f32_e32 v18, v18
; %bb.188:
	v_cmp_lt_f32_e64 s13, v17, v18
	s_delay_alu instid0(VALU_DEP_1)
	v_cndmask_b32_e64 v16, v9, v16, s13
; %bb.189:
	s_or_b32 exec_lo, exec_lo, s26
	s_delay_alu instid0(VALU_DEP_1)
	v_mov_b32_e32 v9, v16
.LBB117_190:
	s_or_b32 exec_lo, exec_lo, s23
	s_delay_alu instid0(SALU_CYCLE_1)
	s_or_b32 exec_lo, exec_lo, s14
	s_and_saveexec_b32 s13, s12
	s_cbranch_execz .LBB117_167
.LBB117_191:
	s_waitcnt vmcnt(0)
	v_lshlrev_b32_e32 v16, 16, v9
	s_mov_b32 s14, exec_lo
	s_delay_alu instid0(VALU_DEP_1)
	v_cmpx_o_f32_e32 v16, v16
	s_cbranch_execz .LBB117_195
; %bb.192:
	v_lshlrev_b32_e32 v17, 16, v15
	s_mov_b32 s23, exec_lo
	s_delay_alu instid0(VALU_DEP_1)
	v_cmpx_o_f32_e32 v17, v17
; %bb.193:
	v_cmp_lt_f32_e64 s12, v16, v17
	s_delay_alu instid0(VALU_DEP_1)
	v_cndmask_b32_e64 v15, v9, v15, s12
; %bb.194:
	s_or_b32 exec_lo, exec_lo, s23
	s_delay_alu instid0(VALU_DEP_1)
	v_mov_b32_e32 v9, v15
.LBB117_195:
	s_or_b32 exec_lo, exec_lo, s14
	s_delay_alu instid0(SALU_CYCLE_1)
	s_or_b32 exec_lo, exec_lo, s13
	s_and_saveexec_b32 s12, s11
	s_cbranch_execz .LBB117_168
.LBB117_196:
	s_waitcnt vmcnt(0)
	v_lshlrev_b32_e32 v15, 16, v9
	s_mov_b32 s13, exec_lo
	s_delay_alu instid0(VALU_DEP_1)
	v_cmpx_o_f32_e32 v15, v15
	s_cbranch_execz .LBB117_200
; %bb.197:
	v_lshlrev_b32_e32 v16, 16, v14
	s_mov_b32 s14, exec_lo
	s_delay_alu instid0(VALU_DEP_1)
	v_cmpx_o_f32_e32 v16, v16
; %bb.198:
	v_cmp_lt_f32_e64 s11, v15, v16
	s_delay_alu instid0(VALU_DEP_1)
	v_cndmask_b32_e64 v14, v9, v14, s11
; %bb.199:
	s_or_b32 exec_lo, exec_lo, s14
	s_delay_alu instid0(VALU_DEP_1)
	v_mov_b32_e32 v9, v14
.LBB117_200:
	s_or_b32 exec_lo, exec_lo, s13
	s_delay_alu instid0(SALU_CYCLE_1)
	s_or_b32 exec_lo, exec_lo, s12
	s_and_saveexec_b32 s11, s10
	s_cbranch_execz .LBB117_169
.LBB117_201:
	s_waitcnt vmcnt(0)
	v_lshlrev_b32_e32 v14, 16, v9
	s_mov_b32 s12, exec_lo
	s_delay_alu instid0(VALU_DEP_1)
	v_cmpx_o_f32_e32 v14, v14
	s_cbranch_execz .LBB117_205
; %bb.202:
	v_lshlrev_b32_e32 v15, 16, v13
	s_mov_b32 s13, exec_lo
	s_delay_alu instid0(VALU_DEP_1)
	v_cmpx_o_f32_e32 v15, v15
; %bb.203:
	v_cmp_lt_f32_e64 s10, v14, v15
	s_delay_alu instid0(VALU_DEP_1)
	v_cndmask_b32_e64 v13, v9, v13, s10
; %bb.204:
	s_or_b32 exec_lo, exec_lo, s13
	s_delay_alu instid0(VALU_DEP_1)
	v_mov_b32_e32 v9, v13
.LBB117_205:
	s_or_b32 exec_lo, exec_lo, s12
	s_delay_alu instid0(SALU_CYCLE_1)
	s_or_b32 exec_lo, exec_lo, s11
	s_and_saveexec_b32 s10, s9
	s_cbranch_execz .LBB117_170
.LBB117_206:
	s_waitcnt vmcnt(0)
	v_lshlrev_b32_e32 v13, 16, v9
	s_mov_b32 s11, exec_lo
	s_delay_alu instid0(VALU_DEP_1)
	v_cmpx_o_f32_e32 v13, v13
	s_cbranch_execz .LBB117_210
; %bb.207:
	v_lshlrev_b32_e32 v14, 16, v12
	s_mov_b32 s12, exec_lo
	s_delay_alu instid0(VALU_DEP_1)
	v_cmpx_o_f32_e32 v14, v14
; %bb.208:
	v_cmp_lt_f32_e64 s9, v13, v14
	s_delay_alu instid0(VALU_DEP_1)
	v_cndmask_b32_e64 v12, v9, v12, s9
; %bb.209:
	s_or_b32 exec_lo, exec_lo, s12
	s_delay_alu instid0(VALU_DEP_1)
	v_mov_b32_e32 v9, v12
.LBB117_210:
	s_or_b32 exec_lo, exec_lo, s11
	s_delay_alu instid0(SALU_CYCLE_1)
	s_or_b32 exec_lo, exec_lo, s10
	s_and_saveexec_b32 s9, s8
	s_cbranch_execz .LBB117_171
.LBB117_211:
	s_waitcnt vmcnt(0)
	v_lshlrev_b32_e32 v12, 16, v9
	s_mov_b32 s10, exec_lo
	s_delay_alu instid0(VALU_DEP_1)
	v_cmpx_o_f32_e32 v12, v12
	s_cbranch_execz .LBB117_215
; %bb.212:
	v_lshlrev_b32_e32 v13, 16, v11
	s_mov_b32 s11, exec_lo
	s_delay_alu instid0(VALU_DEP_1)
	v_cmpx_o_f32_e32 v13, v13
; %bb.213:
	v_cmp_lt_f32_e64 s8, v12, v13
	s_delay_alu instid0(VALU_DEP_1)
	v_cndmask_b32_e64 v11, v9, v11, s8
; %bb.214:
	s_or_b32 exec_lo, exec_lo, s11
	s_delay_alu instid0(VALU_DEP_1)
	v_mov_b32_e32 v9, v11
.LBB117_215:
	s_or_b32 exec_lo, exec_lo, s10
	s_delay_alu instid0(SALU_CYCLE_1)
	s_or_b32 exec_lo, exec_lo, s9
	s_and_saveexec_b32 s8, s7
	s_cbranch_execz .LBB117_172
.LBB117_216:
	s_waitcnt vmcnt(0)
	v_lshlrev_b32_e32 v11, 16, v9
	s_mov_b32 s9, exec_lo
	s_delay_alu instid0(VALU_DEP_1)
	v_cmpx_o_f32_e32 v11, v11
	s_cbranch_execz .LBB117_220
; %bb.217:
	v_lshlrev_b32_e32 v12, 16, v10
	s_mov_b32 s10, exec_lo
	s_delay_alu instid0(VALU_DEP_1)
	v_cmpx_o_f32_e32 v12, v12
; %bb.218:
	v_cmp_lt_f32_e64 s7, v11, v12
	s_delay_alu instid0(VALU_DEP_1)
	v_cndmask_b32_e64 v10, v9, v10, s7
; %bb.219:
	s_or_b32 exec_lo, exec_lo, s10
	s_delay_alu instid0(VALU_DEP_1)
	v_mov_b32_e32 v9, v10
.LBB117_220:
	s_or_b32 exec_lo, exec_lo, s9
	s_delay_alu instid0(SALU_CYCLE_1)
	s_or_b32 exec_lo, exec_lo, s8
	s_and_saveexec_b32 s7, s6
	s_cbranch_execz .LBB117_173
.LBB117_221:
	s_waitcnt vmcnt(0)
	v_lshlrev_b32_e32 v10, 16, v9
	s_mov_b32 s8, exec_lo
	s_delay_alu instid0(VALU_DEP_1)
	v_cmpx_o_f32_e32 v10, v10
	s_cbranch_execz .LBB117_225
; %bb.222:
	v_lshlrev_b32_e32 v11, 16, v8
	s_mov_b32 s9, exec_lo
	s_delay_alu instid0(VALU_DEP_1)
	v_cmpx_o_f32_e32 v11, v11
; %bb.223:
	v_cmp_lt_f32_e64 s6, v10, v11
	s_delay_alu instid0(VALU_DEP_1)
	v_cndmask_b32_e64 v8, v9, v8, s6
; %bb.224:
	s_or_b32 exec_lo, exec_lo, s9
	s_delay_alu instid0(VALU_DEP_1)
	v_mov_b32_e32 v9, v8
.LBB117_225:
	s_or_b32 exec_lo, exec_lo, s8
	s_delay_alu instid0(SALU_CYCLE_1)
	s_or_b32 exec_lo, exec_lo, s7
	s_and_saveexec_b32 s6, s5
	s_cbranch_execz .LBB117_174
.LBB117_226:
	s_waitcnt vmcnt(0)
	v_lshlrev_b32_e32 v8, 16, v9
	s_mov_b32 s7, exec_lo
	s_delay_alu instid0(VALU_DEP_1)
	v_cmpx_o_f32_e32 v8, v8
	s_cbranch_execz .LBB117_230
; %bb.227:
	v_lshlrev_b32_e32 v10, 16, v7
	s_mov_b32 s8, exec_lo
	s_delay_alu instid0(VALU_DEP_1)
	v_cmpx_o_f32_e32 v10, v10
; %bb.228:
	v_cmp_lt_f32_e64 s5, v8, v10
	s_delay_alu instid0(VALU_DEP_1)
	v_cndmask_b32_e64 v7, v9, v7, s5
; %bb.229:
	s_or_b32 exec_lo, exec_lo, s8
	s_delay_alu instid0(VALU_DEP_1)
	v_mov_b32_e32 v9, v7
.LBB117_230:
	s_or_b32 exec_lo, exec_lo, s7
	s_delay_alu instid0(SALU_CYCLE_1)
	s_or_b32 exec_lo, exec_lo, s6
	s_and_saveexec_b32 s5, s4
	s_cbranch_execz .LBB117_175
.LBB117_231:
	s_waitcnt vmcnt(0)
	v_lshlrev_b32_e32 v7, 16, v9
	s_mov_b32 s6, exec_lo
	s_delay_alu instid0(VALU_DEP_1)
	v_cmpx_o_f32_e32 v7, v7
	s_cbranch_execz .LBB117_235
; %bb.232:
	v_lshlrev_b32_e32 v8, 16, v6
	s_mov_b32 s7, exec_lo
	s_delay_alu instid0(VALU_DEP_1)
	v_cmpx_o_f32_e32 v8, v8
; %bb.233:
	v_cmp_lt_f32_e64 s4, v7, v8
	s_delay_alu instid0(VALU_DEP_1)
	v_cndmask_b32_e64 v6, v9, v6, s4
; %bb.234:
	s_or_b32 exec_lo, exec_lo, s7
	s_delay_alu instid0(VALU_DEP_1)
	v_mov_b32_e32 v9, v6
.LBB117_235:
	s_or_b32 exec_lo, exec_lo, s6
	s_delay_alu instid0(SALU_CYCLE_1)
	s_or_b32 exec_lo, exec_lo, s5
	s_and_saveexec_b32 s4, s3
	s_cbranch_execz .LBB117_176
.LBB117_236:
	s_waitcnt vmcnt(0)
	v_lshlrev_b32_e32 v6, 16, v9
	s_mov_b32 s5, exec_lo
	s_delay_alu instid0(VALU_DEP_1)
	v_cmpx_o_f32_e32 v6, v6
	s_cbranch_execz .LBB117_240
; %bb.237:
	v_lshlrev_b32_e32 v7, 16, v5
	s_mov_b32 s6, exec_lo
	s_delay_alu instid0(VALU_DEP_1)
	v_cmpx_o_f32_e32 v7, v7
; %bb.238:
	v_cmp_lt_f32_e64 s3, v6, v7
	s_delay_alu instid0(VALU_DEP_1)
	v_cndmask_b32_e64 v5, v9, v5, s3
; %bb.239:
	s_or_b32 exec_lo, exec_lo, s6
	s_delay_alu instid0(VALU_DEP_1)
	v_mov_b32_e32 v9, v5
.LBB117_240:
	s_or_b32 exec_lo, exec_lo, s5
	s_delay_alu instid0(SALU_CYCLE_1)
	s_or_b32 exec_lo, exec_lo, s4
	s_and_saveexec_b32 s3, s2
	s_cbranch_execz .LBB117_177
.LBB117_241:
	s_waitcnt vmcnt(0)
	v_lshlrev_b32_e32 v5, 16, v9
	s_mov_b32 s4, exec_lo
	s_delay_alu instid0(VALU_DEP_1)
	v_cmpx_o_f32_e32 v5, v5
	s_cbranch_execz .LBB117_245
; %bb.242:
	v_lshlrev_b32_e32 v6, 16, v4
	s_mov_b32 s5, exec_lo
	s_delay_alu instid0(VALU_DEP_1)
	v_cmpx_o_f32_e32 v6, v6
; %bb.243:
	v_cmp_lt_f32_e64 s2, v5, v6
	s_delay_alu instid0(VALU_DEP_1)
	v_cndmask_b32_e64 v4, v9, v4, s2
; %bb.244:
	s_or_b32 exec_lo, exec_lo, s5
	s_delay_alu instid0(VALU_DEP_1)
	v_mov_b32_e32 v9, v4
.LBB117_245:
	s_or_b32 exec_lo, exec_lo, s4
	s_delay_alu instid0(SALU_CYCLE_1)
	s_or_b32 exec_lo, exec_lo, s3
	s_and_saveexec_b32 s2, s1
	s_cbranch_execz .LBB117_178
.LBB117_246:
	s_waitcnt vmcnt(0)
	v_lshlrev_b32_e32 v4, 16, v9
	s_mov_b32 s3, exec_lo
	s_delay_alu instid0(VALU_DEP_1)
	v_cmpx_o_f32_e32 v4, v4
	s_cbranch_execz .LBB117_250
; %bb.247:
	v_lshlrev_b32_e32 v5, 16, v3
	s_mov_b32 s4, exec_lo
	s_delay_alu instid0(VALU_DEP_1)
	v_cmpx_o_f32_e32 v5, v5
; %bb.248:
	v_cmp_lt_f32_e64 s1, v4, v5
	s_delay_alu instid0(VALU_DEP_1)
	v_cndmask_b32_e64 v3, v9, v3, s1
; %bb.249:
	s_or_b32 exec_lo, exec_lo, s4
	s_delay_alu instid0(VALU_DEP_1)
	v_mov_b32_e32 v9, v3
.LBB117_250:
	s_or_b32 exec_lo, exec_lo, s3
	s_delay_alu instid0(SALU_CYCLE_1)
	s_or_b32 exec_lo, exec_lo, s2
	s_and_saveexec_b32 s1, s0
	s_cbranch_execz .LBB117_179
.LBB117_251:
	s_waitcnt vmcnt(0)
	v_lshlrev_b32_e32 v3, 16, v9
	s_mov_b32 s2, exec_lo
	s_delay_alu instid0(VALU_DEP_1)
	v_cmpx_o_f32_e32 v3, v3
	s_cbranch_execz .LBB117_255
; %bb.252:
	v_lshlrev_b32_e32 v4, 16, v2
	s_mov_b32 s3, exec_lo
	s_delay_alu instid0(VALU_DEP_1)
	v_cmpx_o_f32_e32 v4, v4
; %bb.253:
	v_cmp_lt_f32_e64 s0, v3, v4
	s_delay_alu instid0(VALU_DEP_1)
	v_cndmask_b32_e64 v2, v9, v2, s0
; %bb.254:
	s_or_b32 exec_lo, exec_lo, s3
	s_delay_alu instid0(VALU_DEP_1)
	v_mov_b32_e32 v9, v2
.LBB117_255:
	s_or_b32 exec_lo, exec_lo, s2
	s_delay_alu instid0(SALU_CYCLE_1)
	s_or_b32 exec_lo, exec_lo, s1
	s_and_saveexec_b32 s0, vcc_lo
	s_cbranch_execz .LBB117_261
.LBB117_256:
	s_waitcnt vmcnt(0)
	v_lshlrev_b32_e32 v2, 16, v9
	s_mov_b32 s1, exec_lo
	s_delay_alu instid0(VALU_DEP_1)
	v_cmpx_o_f32_e32 v2, v2
	s_cbranch_execz .LBB117_260
; %bb.257:
	v_lshlrev_b32_e32 v3, 16, v1
	s_mov_b32 s2, exec_lo
	s_delay_alu instid0(VALU_DEP_1)
	v_cmpx_o_f32_e32 v3, v3
; %bb.258:
	v_cmp_lt_f32_e32 vcc_lo, v2, v3
	v_cndmask_b32_e32 v1, v9, v1, vcc_lo
; %bb.259:
	s_or_b32 exec_lo, exec_lo, s2
	s_delay_alu instid0(VALU_DEP_1)
	v_mov_b32_e32 v9, v1
.LBB117_260:
	s_or_b32 exec_lo, exec_lo, s1
.LBB117_261:
	s_delay_alu instid0(SALU_CYCLE_1) | instskip(SKIP_1) | instid1(VALU_DEP_1)
	s_or_b32 exec_lo, exec_lo, s0
	s_waitcnt vmcnt(0)
	v_and_b32_e32 v3, 0xffff, v9
	s_mov_b32 s0, exec_lo
	s_delay_alu instid0(VALU_DEP_1) | instskip(NEXT) | instid1(VALU_DEP_1)
	v_mov_b32_dpp v1, v3 quad_perm:[1,0,3,2] row_mask:0xf bank_mask:0xf
	v_lshlrev_b32_e32 v2, 16, v1
	s_delay_alu instid0(VALU_DEP_1)
	v_cmpx_o_f32_e32 v2, v2
	s_xor_b32 s0, exec_lo, s0
	s_cbranch_execz .LBB117_265
; %bb.262:
	v_lshlrev_b32_e32 v3, 16, v3
	s_mov_b32 s1, exec_lo
	s_delay_alu instid0(VALU_DEP_1)
	v_cmpx_o_f32_e32 v3, v3
; %bb.263:
	v_cmp_lt_f32_e32 vcc_lo, v2, v3
	v_cndmask_b32_e32 v9, v1, v9, vcc_lo
; %bb.264:
	s_or_b32 exec_lo, exec_lo, s1
	s_delay_alu instid0(VALU_DEP_1)
	v_mov_b32_e32 v1, v9
.LBB117_265:
	s_or_b32 exec_lo, exec_lo, s0
	s_delay_alu instid0(VALU_DEP_1) | instskip(SKIP_1) | instid1(VALU_DEP_1)
	v_and_b32_e32 v4, 0xffff, v1
	s_mov_b32 s0, exec_lo
	v_mov_b32_dpp v2, v4 quad_perm:[2,3,0,1] row_mask:0xf bank_mask:0xf
	s_delay_alu instid0(VALU_DEP_1) | instskip(NEXT) | instid1(VALU_DEP_1)
	v_lshlrev_b32_e32 v3, 16, v2
	v_cmpx_o_f32_e32 v3, v3
	s_cbranch_execz .LBB117_269
; %bb.266:
	v_lshlrev_b32_e32 v4, 16, v4
	s_mov_b32 s1, exec_lo
	s_delay_alu instid0(VALU_DEP_1)
	v_cmpx_o_f32_e32 v4, v4
; %bb.267:
	v_cmp_lt_f32_e32 vcc_lo, v3, v4
	v_cndmask_b32_e32 v1, v2, v1, vcc_lo
; %bb.268:
	s_or_b32 exec_lo, exec_lo, s1
	s_delay_alu instid0(VALU_DEP_1)
	v_mov_b32_e32 v2, v1
.LBB117_269:
	s_or_b32 exec_lo, exec_lo, s0
	s_delay_alu instid0(VALU_DEP_1) | instskip(SKIP_1) | instid1(VALU_DEP_1)
	v_and_b32_e32 v4, 0xffff, v2
	s_mov_b32 s0, exec_lo
	v_mov_b32_dpp v1, v4 row_ror:4 row_mask:0xf bank_mask:0xf
	s_delay_alu instid0(VALU_DEP_1) | instskip(NEXT) | instid1(VALU_DEP_1)
	v_lshlrev_b32_e32 v3, 16, v1
	v_cmpx_o_f32_e32 v3, v3
	s_cbranch_execz .LBB117_273
; %bb.270:
	v_lshlrev_b32_e32 v4, 16, v4
	s_mov_b32 s1, exec_lo
	s_delay_alu instid0(VALU_DEP_1)
	v_cmpx_o_f32_e32 v4, v4
; %bb.271:
	v_cmp_lt_f32_e32 vcc_lo, v3, v4
	v_cndmask_b32_e32 v2, v1, v2, vcc_lo
; %bb.272:
	s_or_b32 exec_lo, exec_lo, s1
	s_delay_alu instid0(VALU_DEP_1)
	v_mov_b32_e32 v1, v2
.LBB117_273:
	s_or_b32 exec_lo, exec_lo, s0
	s_delay_alu instid0(VALU_DEP_1) | instskip(SKIP_1) | instid1(VALU_DEP_1)
	v_and_b32_e32 v4, 0xffff, v1
	s_mov_b32 s0, exec_lo
	v_mov_b32_dpp v2, v4 row_ror:8 row_mask:0xf bank_mask:0xf
	s_delay_alu instid0(VALU_DEP_1) | instskip(NEXT) | instid1(VALU_DEP_1)
	v_lshlrev_b32_e32 v3, 16, v2
	v_cmpx_o_f32_e32 v3, v3
	s_cbranch_execz .LBB117_277
; %bb.274:
	v_lshlrev_b32_e32 v4, 16, v4
	s_mov_b32 s1, exec_lo
	s_delay_alu instid0(VALU_DEP_1)
	v_cmpx_o_f32_e32 v4, v4
; %bb.275:
	v_cmp_lt_f32_e32 vcc_lo, v3, v4
	v_cndmask_b32_e32 v1, v2, v1, vcc_lo
; %bb.276:
	s_or_b32 exec_lo, exec_lo, s1
	s_delay_alu instid0(VALU_DEP_1)
	v_mov_b32_e32 v2, v1
.LBB117_277:
	s_or_b32 exec_lo, exec_lo, s0
	s_delay_alu instid0(VALU_DEP_1) | instskip(SKIP_4) | instid1(VALU_DEP_1)
	v_and_b32_e32 v4, 0xffff, v2
	s_mov_b32 s0, exec_lo
	ds_swizzle_b32 v1, v4 offset:swizzle(BROADCAST,32,15)
	s_waitcnt lgkmcnt(0)
	v_lshlrev_b32_e32 v3, 16, v1
	v_cmpx_o_f32_e32 v3, v3
	s_cbranch_execz .LBB117_281
; %bb.278:
	v_lshlrev_b32_e32 v4, 16, v4
	s_mov_b32 s1, exec_lo
	s_delay_alu instid0(VALU_DEP_1)
	v_cmpx_o_f32_e32 v4, v4
; %bb.279:
	v_cmp_lt_f32_e32 vcc_lo, v3, v4
	v_cndmask_b32_e32 v2, v1, v2, vcc_lo
; %bb.280:
	s_or_b32 exec_lo, exec_lo, s1
	s_delay_alu instid0(VALU_DEP_1)
	v_mov_b32_e32 v1, v2
.LBB117_281:
	s_or_b32 exec_lo, exec_lo, s0
	s_delay_alu instid0(VALU_DEP_1) | instskip(SKIP_3) | instid1(VALU_DEP_1)
	v_dual_mov_b32 v2, 0 :: v_dual_and_b32 v1, 0xffff, v1
	s_mov_b32 s0, exec_lo
	ds_bpermute_b32 v2, v2, v1 offset:124
	v_mbcnt_lo_u32_b32 v1, -1, 0
	v_cmpx_eq_u32_e32 0, v1
	s_cbranch_execz .LBB117_283
; %bb.282:
	v_lshrrev_b32_e32 v3, 4, v0
	s_delay_alu instid0(VALU_DEP_1)
	v_and_b32_e32 v3, 14, v3
	s_waitcnt lgkmcnt(0)
	ds_store_b16 v3, v2
.LBB117_283:
	s_or_b32 exec_lo, exec_lo, s0
	s_delay_alu instid0(SALU_CYCLE_1)
	s_mov_b32 s0, exec_lo
	s_waitcnt lgkmcnt(0)
	s_barrier
	buffer_gl0_inv
	v_cmpx_gt_u32_e32 32, v0
	s_cbranch_execz .LBB117_297
; %bb.284:
	v_and_b32_e32 v3, 7, v1
	s_mov_b32 s1, exec_lo
	s_delay_alu instid0(VALU_DEP_1) | instskip(SKIP_3) | instid1(VALU_DEP_1)
	v_lshlrev_b32_e32 v2, 1, v3
	v_cmp_ne_u32_e32 vcc_lo, 7, v3
	ds_load_u16 v2, v2
	v_add_co_ci_u32_e32 v4, vcc_lo, 0, v1, vcc_lo
	v_lshlrev_b32_e32 v4, 2, v4
	s_waitcnt lgkmcnt(0)
	v_and_b32_e32 v5, 0xffff, v2
	ds_bpermute_b32 v4, v4, v5
	v_lshlrev_b32_e32 v5, 16, v2
	s_delay_alu instid0(VALU_DEP_1)
	v_cmpx_o_f32_e32 v5, v5
	s_cbranch_execz .LBB117_288
; %bb.285:
	s_waitcnt lgkmcnt(0)
	v_lshlrev_b32_e32 v6, 16, v4
	s_mov_b32 s2, exec_lo
	s_delay_alu instid0(VALU_DEP_1)
	v_cmpx_o_f32_e32 v6, v6
; %bb.286:
	v_cmp_lt_f32_e32 vcc_lo, v5, v6
	v_cndmask_b32_e32 v4, v2, v4, vcc_lo
; %bb.287:
	s_or_b32 exec_lo, exec_lo, s2
	s_delay_alu instid0(VALU_DEP_1)
	v_mov_b32_e32 v2, v4
.LBB117_288:
	s_or_b32 exec_lo, exec_lo, s1
	v_cmp_gt_u32_e32 vcc_lo, 6, v3
	s_delay_alu instid0(VALU_DEP_2) | instskip(SKIP_3) | instid1(VALU_DEP_1)
	v_and_b32_e32 v5, 0xffff, v2
	s_mov_b32 s1, exec_lo
	s_waitcnt lgkmcnt(0)
	v_cndmask_b32_e64 v4, 0, 1, vcc_lo
	v_lshlrev_b32_e32 v4, 1, v4
	s_delay_alu instid0(VALU_DEP_1) | instskip(SKIP_2) | instid1(VALU_DEP_1)
	v_add_lshl_u32 v4, v4, v1, 2
	ds_bpermute_b32 v4, v4, v5
	v_lshlrev_b32_e32 v5, 16, v2
	v_cmpx_o_f32_e32 v5, v5
	s_cbranch_execz .LBB117_292
; %bb.289:
	s_waitcnt lgkmcnt(0)
	v_lshlrev_b32_e32 v6, 16, v4
	s_mov_b32 s2, exec_lo
	s_delay_alu instid0(VALU_DEP_1)
	v_cmpx_o_f32_e32 v6, v6
; %bb.290:
	v_cmp_lt_f32_e32 vcc_lo, v5, v6
	v_cndmask_b32_e32 v4, v2, v4, vcc_lo
; %bb.291:
	s_or_b32 exec_lo, exec_lo, s2
	s_delay_alu instid0(VALU_DEP_1)
	v_mov_b32_e32 v2, v4
.LBB117_292:
	s_or_b32 exec_lo, exec_lo, s1
	v_cmp_gt_u32_e32 vcc_lo, 4, v3
	s_waitcnt lgkmcnt(0)
	s_delay_alu instid0(VALU_DEP_2) | instskip(SKIP_2) | instid1(VALU_DEP_1)
	v_and_b32_e32 v4, 0xffff, v2
	s_mov_b32 s1, exec_lo
	v_cndmask_b32_e64 v3, 0, 1, vcc_lo
	v_lshlrev_b32_e32 v3, 2, v3
	s_delay_alu instid0(VALU_DEP_1)
	v_add_lshl_u32 v1, v3, v1, 2
	v_lshlrev_b32_e32 v3, 16, v2
	ds_bpermute_b32 v1, v1, v4
	v_cmpx_o_f32_e32 v3, v3
	s_cbranch_execz .LBB117_296
; %bb.293:
	s_waitcnt lgkmcnt(0)
	v_lshlrev_b32_e32 v4, 16, v1
	s_mov_b32 s2, exec_lo
	s_delay_alu instid0(VALU_DEP_1)
	v_cmpx_o_f32_e32 v4, v4
; %bb.294:
	v_cmp_lt_f32_e32 vcc_lo, v3, v4
	v_cndmask_b32_e32 v1, v2, v1, vcc_lo
; %bb.295:
	s_or_b32 exec_lo, exec_lo, s2
	s_delay_alu instid0(VALU_DEP_1)
	v_mov_b32_e32 v2, v1
.LBB117_296:
	s_or_b32 exec_lo, exec_lo, s1
.LBB117_297:
	s_delay_alu instid0(SALU_CYCLE_1)
	s_or_b32 exec_lo, exec_lo, s0
	s_branch .LBB117_400
.LBB117_298:
	s_sub_i32 s0, s29, s22
	s_mov_b32 s1, exec_lo
                                        ; implicit-def: $vgpr4
	v_cmpx_gt_u32_e64 s0, v0
	s_cbranch_execz .LBB117_308
; %bb.299:
	s_waitcnt lgkmcnt(0)
	v_add_nc_u32_e32 v1, s22, v0
	s_mov_b32 s2, exec_lo
	s_delay_alu instid0(VALU_DEP_1) | instskip(NEXT) | instid1(VALU_DEP_1)
	v_ashrrev_i32_e32 v2, 31, v1
	v_lshlrev_b64 v[2:3], 1, v[1:2]
	v_add_nc_u32_e32 v1, 0x100, v1
	s_delay_alu instid0(VALU_DEP_2) | instskip(NEXT) | instid1(VALU_DEP_3)
	v_add_co_u32 v2, vcc_lo, s16, v2
	v_add_co_ci_u32_e32 v3, vcc_lo, s17, v3, vcc_lo
	global_load_u16 v4, v[2:3], off
	v_cmpx_gt_i32_e64 s29, v1
	s_cbranch_execz .LBB117_307
; %bb.300:
	s_mov_b32 s3, 0
	s_set_inst_prefetch_distance 0x1
	s_branch .LBB117_303
	.p2align	6
.LBB117_301:                            ;   in Loop: Header=BB117_303 Depth=1
	s_or_b32 exec_lo, exec_lo, s5
	s_delay_alu instid0(VALU_DEP_1)
	v_mov_b32_e32 v4, v2
.LBB117_302:                            ;   in Loop: Header=BB117_303 Depth=1
	s_or_b32 exec_lo, exec_lo, s4
	v_add_nc_u32_e32 v1, 0x100, v1
	s_delay_alu instid0(VALU_DEP_1) | instskip(SKIP_1) | instid1(SALU_CYCLE_1)
	v_cmp_le_i32_e32 vcc_lo, s29, v1
	s_or_b32 s3, vcc_lo, s3
	s_and_not1_b32 exec_lo, exec_lo, s3
	s_cbranch_execz .LBB117_306
.LBB117_303:                            ; =>This Inner Loop Header: Depth=1
	s_waitcnt vmcnt(0)
	v_lshlrev_b32_e32 v3, 16, v4
	s_mov_b32 s4, exec_lo
	s_delay_alu instid0(VALU_DEP_1)
	v_cmpx_o_f32_e32 v3, v3
	s_cbranch_execz .LBB117_302
; %bb.304:                              ;   in Loop: Header=BB117_303 Depth=1
	v_ashrrev_i32_e32 v2, 31, v1
	s_mov_b32 s5, exec_lo
	s_delay_alu instid0(VALU_DEP_1) | instskip(NEXT) | instid1(VALU_DEP_1)
	v_lshlrev_b64 v[5:6], 1, v[1:2]
	v_add_co_u32 v5, vcc_lo, s16, v5
	s_delay_alu instid0(VALU_DEP_2) | instskip(SKIP_3) | instid1(VALU_DEP_1)
	v_add_co_ci_u32_e32 v6, vcc_lo, s17, v6, vcc_lo
	global_load_u16 v2, v[5:6], off
	s_waitcnt vmcnt(0)
	v_lshlrev_b32_e32 v5, 16, v2
	v_cmpx_o_f32_e32 v5, v5
	s_cbranch_execz .LBB117_301
; %bb.305:                              ;   in Loop: Header=BB117_303 Depth=1
	v_cmp_lt_f32_e32 vcc_lo, v3, v5
	v_cndmask_b32_e32 v2, v4, v2, vcc_lo
	s_branch .LBB117_301
.LBB117_306:
	s_set_inst_prefetch_distance 0x2
	s_or_b32 exec_lo, exec_lo, s3
.LBB117_307:
	s_delay_alu instid0(SALU_CYCLE_1)
	s_or_b32 exec_lo, exec_lo, s2
.LBB117_308:
	s_delay_alu instid0(SALU_CYCLE_1)
	s_or_b32 exec_lo, exec_lo, s1
	v_lshrrev_b32_e32 v3, 5, v0
	s_waitcnt lgkmcnt(0)
	v_mbcnt_lo_u32_b32 v1, -1, 0
	s_waitcnt vmcnt(0)
	v_and_b32_e32 v5, 0xffff, v4
	s_cmpk_lt_u32 s0, 0x100
	s_mov_b32 s1, -1
	s_cbranch_scc0 .LBB117_362
; %bb.309:
	v_cmp_ne_u32_e32 vcc_lo, 31, v1
	v_mov_b32_e32 v7, v5
	v_add_co_ci_u32_e32 v2, vcc_lo, 0, v1, vcc_lo
	s_delay_alu instid0(VALU_DEP_1) | instskip(SKIP_2) | instid1(VALU_DEP_1)
	v_lshlrev_b32_e32 v2, 2, v2
	ds_bpermute_b32 v8, v2, v5
	v_and_b32_e32 v2, 0xe0, v0
	v_sub_nc_u32_e64 v6, s0, v2 clamp
	v_add_nc_u32_e32 v2, 1, v1
	s_delay_alu instid0(VALU_DEP_1)
	v_cmp_lt_u32_e32 vcc_lo, v2, v6
	v_mov_b32_e32 v2, v4
	s_and_saveexec_b32 s1, vcc_lo
	s_cbranch_execz .LBB117_315
; %bb.310:
	v_dual_mov_b32 v2, v4 :: v_dual_lshlrev_b32 v7, 16, v5
	s_mov_b32 s2, exec_lo
	s_delay_alu instid0(VALU_DEP_1)
	v_cmpx_o_f32_e32 v7, v7
	s_cbranch_execz .LBB117_314
; %bb.311:
	s_waitcnt lgkmcnt(0)
	v_lshlrev_b32_e32 v2, 16, v8
	s_mov_b32 s3, exec_lo
	s_delay_alu instid0(VALU_DEP_1)
	v_cmpx_o_f32_e32 v2, v2
; %bb.312:
	v_cmp_lt_f32_e32 vcc_lo, v7, v2
	v_cndmask_b32_e32 v8, v4, v8, vcc_lo
; %bb.313:
	s_or_b32 exec_lo, exec_lo, s3
	s_delay_alu instid0(VALU_DEP_1)
	v_mov_b32_e32 v2, v8
.LBB117_314:
	s_or_b32 exec_lo, exec_lo, s2
	s_delay_alu instid0(VALU_DEP_1)
	v_and_b32_e32 v7, 0xffff, v2
.LBB117_315:
	s_or_b32 exec_lo, exec_lo, s1
	v_cmp_gt_u32_e32 vcc_lo, 30, v1
	v_add_nc_u32_e32 v9, 2, v1
	s_mov_b32 s1, exec_lo
	s_waitcnt lgkmcnt(0)
	v_cndmask_b32_e64 v8, 0, 1, vcc_lo
	s_delay_alu instid0(VALU_DEP_1) | instskip(NEXT) | instid1(VALU_DEP_1)
	v_lshlrev_b32_e32 v8, 1, v8
	v_add_lshl_u32 v8, v8, v1, 2
	ds_bpermute_b32 v8, v8, v7
	v_cmpx_lt_u32_e64 v9, v6
	s_cbranch_execz .LBB117_321
; %bb.316:
	v_lshlrev_b32_e32 v7, 16, v7
	s_mov_b32 s2, exec_lo
	s_delay_alu instid0(VALU_DEP_1)
	v_cmpx_o_f32_e32 v7, v7
	s_cbranch_execz .LBB117_320
; %bb.317:
	s_waitcnt lgkmcnt(0)
	v_lshlrev_b32_e32 v9, 16, v8
	s_mov_b32 s3, exec_lo
	s_delay_alu instid0(VALU_DEP_1)
	v_cmpx_o_f32_e32 v9, v9
; %bb.318:
	v_cmp_lt_f32_e32 vcc_lo, v7, v9
	v_cndmask_b32_e32 v8, v2, v8, vcc_lo
; %bb.319:
	s_or_b32 exec_lo, exec_lo, s3
	s_delay_alu instid0(VALU_DEP_1)
	v_mov_b32_e32 v2, v8
.LBB117_320:
	s_or_b32 exec_lo, exec_lo, s2
	s_delay_alu instid0(VALU_DEP_1)
	v_and_b32_e32 v7, 0xffff, v2
.LBB117_321:
	s_or_b32 exec_lo, exec_lo, s1
	v_cmp_gt_u32_e32 vcc_lo, 28, v1
	v_add_nc_u32_e32 v9, 4, v1
	s_mov_b32 s1, exec_lo
	s_waitcnt lgkmcnt(0)
	v_cndmask_b32_e64 v8, 0, 1, vcc_lo
	s_delay_alu instid0(VALU_DEP_1) | instskip(NEXT) | instid1(VALU_DEP_1)
	v_lshlrev_b32_e32 v8, 2, v8
	v_add_lshl_u32 v8, v8, v1, 2
	ds_bpermute_b32 v8, v8, v7
	v_cmpx_lt_u32_e64 v9, v6
	s_cbranch_execz .LBB117_327
; %bb.322:
	v_lshlrev_b32_e32 v7, 16, v7
	s_mov_b32 s2, exec_lo
	s_delay_alu instid0(VALU_DEP_1)
	v_cmpx_o_f32_e32 v7, v7
	s_cbranch_execz .LBB117_326
; %bb.323:
	s_waitcnt lgkmcnt(0)
	v_lshlrev_b32_e32 v9, 16, v8
	s_mov_b32 s3, exec_lo
	s_delay_alu instid0(VALU_DEP_1)
	v_cmpx_o_f32_e32 v9, v9
; %bb.324:
	v_cmp_lt_f32_e32 vcc_lo, v7, v9
	v_cndmask_b32_e32 v8, v2, v8, vcc_lo
; %bb.325:
	s_or_b32 exec_lo, exec_lo, s3
	s_delay_alu instid0(VALU_DEP_1)
	v_mov_b32_e32 v2, v8
.LBB117_326:
	s_or_b32 exec_lo, exec_lo, s2
	s_delay_alu instid0(VALU_DEP_1)
	v_and_b32_e32 v7, 0xffff, v2
.LBB117_327:
	s_or_b32 exec_lo, exec_lo, s1
	v_cmp_gt_u32_e32 vcc_lo, 24, v1
	v_add_nc_u32_e32 v9, 8, v1
	s_mov_b32 s1, exec_lo
	s_waitcnt lgkmcnt(0)
	v_cndmask_b32_e64 v8, 0, 1, vcc_lo
	s_delay_alu instid0(VALU_DEP_1) | instskip(NEXT) | instid1(VALU_DEP_1)
	v_lshlrev_b32_e32 v8, 3, v8
	v_add_lshl_u32 v8, v8, v1, 2
	ds_bpermute_b32 v8, v8, v7
	v_cmpx_lt_u32_e64 v9, v6
	s_cbranch_execz .LBB117_333
; %bb.328:
	v_lshlrev_b32_e32 v7, 16, v7
	s_mov_b32 s2, exec_lo
	s_delay_alu instid0(VALU_DEP_1)
	v_cmpx_o_f32_e32 v7, v7
	s_cbranch_execz .LBB117_332
; %bb.329:
	s_waitcnt lgkmcnt(0)
	v_lshlrev_b32_e32 v9, 16, v8
	s_mov_b32 s3, exec_lo
	s_delay_alu instid0(VALU_DEP_1)
	v_cmpx_o_f32_e32 v9, v9
; %bb.330:
	v_cmp_lt_f32_e32 vcc_lo, v7, v9
	v_cndmask_b32_e32 v8, v2, v8, vcc_lo
; %bb.331:
	s_or_b32 exec_lo, exec_lo, s3
	s_delay_alu instid0(VALU_DEP_1)
	v_mov_b32_e32 v2, v8
.LBB117_332:
	s_or_b32 exec_lo, exec_lo, s2
	s_delay_alu instid0(VALU_DEP_1)
	v_and_b32_e32 v7, 0xffff, v2
.LBB117_333:
	s_or_b32 exec_lo, exec_lo, s1
	v_cmp_gt_u32_e32 vcc_lo, 16, v1
	v_add_nc_u32_e32 v9, 16, v1
	s_mov_b32 s1, exec_lo
	s_waitcnt lgkmcnt(0)
	v_cndmask_b32_e64 v8, 0, 1, vcc_lo
	s_delay_alu instid0(VALU_DEP_1) | instskip(NEXT) | instid1(VALU_DEP_1)
	v_lshlrev_b32_e32 v8, 4, v8
	v_add_lshl_u32 v8, v8, v1, 2
	ds_bpermute_b32 v8, v8, v7
	v_cmpx_lt_u32_e64 v9, v6
	s_cbranch_execz .LBB117_339
; %bb.334:
	v_lshlrev_b32_e32 v6, 16, v7
	s_mov_b32 s2, exec_lo
	s_delay_alu instid0(VALU_DEP_1)
	v_cmpx_o_f32_e32 v6, v6
	s_cbranch_execz .LBB117_338
; %bb.335:
	s_waitcnt lgkmcnt(0)
	v_lshlrev_b32_e32 v7, 16, v8
	s_mov_b32 s3, exec_lo
	s_delay_alu instid0(VALU_DEP_1)
	v_cmpx_o_f32_e32 v7, v7
; %bb.336:
	v_cmp_lt_f32_e32 vcc_lo, v6, v7
	v_cndmask_b32_e32 v8, v2, v8, vcc_lo
; %bb.337:
	s_or_b32 exec_lo, exec_lo, s3
	s_delay_alu instid0(VALU_DEP_1)
	v_mov_b32_e32 v2, v8
.LBB117_338:
	s_or_b32 exec_lo, exec_lo, s2
.LBB117_339:
	s_delay_alu instid0(SALU_CYCLE_1) | instskip(NEXT) | instid1(SALU_CYCLE_1)
	s_or_b32 exec_lo, exec_lo, s1
	s_mov_b32 s1, exec_lo
	v_cmpx_eq_u32_e32 0, v1
	s_cbranch_execz .LBB117_341
; %bb.340:
	v_lshlrev_b32_e32 v6, 1, v3
	ds_store_b16 v6, v2
.LBB117_341:
	s_or_b32 exec_lo, exec_lo, s1
	s_delay_alu instid0(SALU_CYCLE_1)
	s_mov_b32 s1, exec_lo
	s_waitcnt lgkmcnt(0)
	s_barrier
	buffer_gl0_inv
	v_cmpx_gt_u32_e32 8, v0
	s_cbranch_execz .LBB117_361
; %bb.342:
	v_lshlrev_b32_e32 v2, 1, v1
	v_and_b32_e32 v6, 7, v1
	s_add_i32 s0, s0, 31
	s_mov_b32 s2, exec_lo
	s_lshr_b32 s0, s0, 5
	ds_load_u16 v2, v2
	v_cmp_ne_u32_e32 vcc_lo, 7, v6
	v_add_nc_u32_e32 v9, 1, v6
	v_add_co_ci_u32_e32 v8, vcc_lo, 0, v1, vcc_lo
	s_delay_alu instid0(VALU_DEP_1)
	v_lshlrev_b32_e32 v8, 2, v8
	s_waitcnt lgkmcnt(0)
	v_and_b32_e32 v7, 0xffff, v2
	ds_bpermute_b32 v8, v8, v7
	v_cmpx_gt_u32_e64 s0, v9
	s_cbranch_execz .LBB117_348
; %bb.343:
	v_lshlrev_b32_e32 v7, 16, v7
	s_mov_b32 s3, exec_lo
	s_delay_alu instid0(VALU_DEP_1)
	v_cmpx_o_f32_e32 v7, v7
	s_cbranch_execz .LBB117_347
; %bb.344:
	s_waitcnt lgkmcnt(0)
	v_lshlrev_b32_e32 v9, 16, v8
	s_mov_b32 s4, exec_lo
	s_delay_alu instid0(VALU_DEP_1)
	v_cmpx_o_f32_e32 v9, v9
; %bb.345:
	v_cmp_lt_f32_e32 vcc_lo, v7, v9
	v_cndmask_b32_e32 v8, v2, v8, vcc_lo
; %bb.346:
	s_or_b32 exec_lo, exec_lo, s4
	s_delay_alu instid0(VALU_DEP_1)
	v_mov_b32_e32 v2, v8
.LBB117_347:
	s_or_b32 exec_lo, exec_lo, s3
	s_delay_alu instid0(VALU_DEP_1)
	v_and_b32_e32 v7, 0xffff, v2
.LBB117_348:
	s_or_b32 exec_lo, exec_lo, s2
	v_cmp_gt_u32_e32 vcc_lo, 6, v6
	v_add_nc_u32_e32 v9, 2, v6
	s_mov_b32 s2, exec_lo
	s_waitcnt lgkmcnt(0)
	v_cndmask_b32_e64 v8, 0, 1, vcc_lo
	s_delay_alu instid0(VALU_DEP_1) | instskip(NEXT) | instid1(VALU_DEP_1)
	v_lshlrev_b32_e32 v8, 1, v8
	v_add_lshl_u32 v8, v8, v1, 2
	ds_bpermute_b32 v8, v8, v7
	v_cmpx_gt_u32_e64 s0, v9
	s_cbranch_execz .LBB117_354
; %bb.349:
	v_lshlrev_b32_e32 v7, 16, v7
	s_mov_b32 s3, exec_lo
	s_delay_alu instid0(VALU_DEP_1)
	v_cmpx_o_f32_e32 v7, v7
	s_cbranch_execz .LBB117_353
; %bb.350:
	s_waitcnt lgkmcnt(0)
	v_lshlrev_b32_e32 v9, 16, v8
	s_mov_b32 s4, exec_lo
	s_delay_alu instid0(VALU_DEP_1)
	v_cmpx_o_f32_e32 v9, v9
; %bb.351:
	v_cmp_lt_f32_e32 vcc_lo, v7, v9
	v_cndmask_b32_e32 v8, v2, v8, vcc_lo
; %bb.352:
	s_or_b32 exec_lo, exec_lo, s4
	s_delay_alu instid0(VALU_DEP_1)
	v_mov_b32_e32 v2, v8
.LBB117_353:
	s_or_b32 exec_lo, exec_lo, s3
	s_delay_alu instid0(VALU_DEP_1)
	v_and_b32_e32 v7, 0xffff, v2
.LBB117_354:
	s_or_b32 exec_lo, exec_lo, s2
	v_cmp_gt_u32_e32 vcc_lo, 4, v6
	v_add_nc_u32_e32 v6, 4, v6
	s_waitcnt lgkmcnt(0)
	v_cndmask_b32_e64 v8, 0, 1, vcc_lo
	s_delay_alu instid0(VALU_DEP_2) | instskip(NEXT) | instid1(VALU_DEP_2)
	v_cmp_gt_u32_e32 vcc_lo, s0, v6
	v_lshlrev_b32_e32 v8, 2, v8
	s_delay_alu instid0(VALU_DEP_1)
	v_add_lshl_u32 v8, v8, v1, 2
	ds_bpermute_b32 v8, v8, v7
	s_and_saveexec_b32 s0, vcc_lo
	s_cbranch_execz .LBB117_360
; %bb.355:
	v_lshlrev_b32_e32 v6, 16, v7
	s_mov_b32 s2, exec_lo
	s_delay_alu instid0(VALU_DEP_1)
	v_cmpx_o_f32_e32 v6, v6
	s_cbranch_execz .LBB117_359
; %bb.356:
	s_waitcnt lgkmcnt(0)
	v_lshlrev_b32_e32 v7, 16, v8
	s_mov_b32 s3, exec_lo
	s_delay_alu instid0(VALU_DEP_1)
	v_cmpx_o_f32_e32 v7, v7
; %bb.357:
	v_cmp_lt_f32_e32 vcc_lo, v6, v7
	v_cndmask_b32_e32 v8, v2, v8, vcc_lo
; %bb.358:
	s_or_b32 exec_lo, exec_lo, s3
	s_delay_alu instid0(VALU_DEP_1)
	v_mov_b32_e32 v2, v8
.LBB117_359:
	s_or_b32 exec_lo, exec_lo, s2
.LBB117_360:
	s_delay_alu instid0(SALU_CYCLE_1)
	s_or_b32 exec_lo, exec_lo, s0
.LBB117_361:
	s_delay_alu instid0(SALU_CYCLE_1)
	s_or_b32 exec_lo, exec_lo, s1
	s_branch .LBB117_400
.LBB117_362:
                                        ; implicit-def: $vgpr2
	s_and_b32 vcc_lo, exec_lo, s1
	s_cbranch_vccz .LBB117_400
; %bb.363:
	v_mov_b32_dpp v2, v5 quad_perm:[1,0,3,2] row_mask:0xf bank_mask:0xf
	s_mov_b32 s0, exec_lo
	s_delay_alu instid0(VALU_DEP_1) | instskip(NEXT) | instid1(VALU_DEP_1)
	v_lshlrev_b32_e32 v6, 16, v2
	v_cmpx_o_f32_e32 v6, v6
	s_cbranch_execz .LBB117_367
; %bb.364:
	v_lshlrev_b32_e32 v5, 16, v5
	s_mov_b32 s1, exec_lo
	s_delay_alu instid0(VALU_DEP_1)
	v_cmpx_o_f32_e32 v5, v5
; %bb.365:
	v_cmp_lt_f32_e32 vcc_lo, v6, v5
	v_cndmask_b32_e32 v4, v2, v4, vcc_lo
; %bb.366:
	s_or_b32 exec_lo, exec_lo, s1
	s_delay_alu instid0(VALU_DEP_1)
	v_mov_b32_e32 v2, v4
.LBB117_367:
	s_or_b32 exec_lo, exec_lo, s0
	s_delay_alu instid0(VALU_DEP_1) | instskip(SKIP_1) | instid1(VALU_DEP_1)
	v_and_b32_e32 v6, 0xffff, v2
	s_mov_b32 s0, exec_lo
	v_mov_b32_dpp v4, v6 quad_perm:[2,3,0,1] row_mask:0xf bank_mask:0xf
	s_delay_alu instid0(VALU_DEP_1) | instskip(NEXT) | instid1(VALU_DEP_1)
	v_lshlrev_b32_e32 v5, 16, v4
	v_cmpx_o_f32_e32 v5, v5
	s_cbranch_execz .LBB117_371
; %bb.368:
	v_lshlrev_b32_e32 v6, 16, v6
	s_mov_b32 s1, exec_lo
	s_delay_alu instid0(VALU_DEP_1)
	v_cmpx_o_f32_e32 v6, v6
; %bb.369:
	v_cmp_lt_f32_e32 vcc_lo, v5, v6
	v_cndmask_b32_e32 v2, v4, v2, vcc_lo
; %bb.370:
	s_or_b32 exec_lo, exec_lo, s1
	s_delay_alu instid0(VALU_DEP_1)
	v_mov_b32_e32 v4, v2
.LBB117_371:
	s_or_b32 exec_lo, exec_lo, s0
	s_delay_alu instid0(VALU_DEP_1) | instskip(SKIP_1) | instid1(VALU_DEP_1)
	v_and_b32_e32 v6, 0xffff, v4
	s_mov_b32 s0, exec_lo
	v_mov_b32_dpp v2, v6 row_ror:4 row_mask:0xf bank_mask:0xf
	s_delay_alu instid0(VALU_DEP_1) | instskip(NEXT) | instid1(VALU_DEP_1)
	v_lshlrev_b32_e32 v5, 16, v2
	v_cmpx_o_f32_e32 v5, v5
	s_cbranch_execz .LBB117_375
; %bb.372:
	v_lshlrev_b32_e32 v6, 16, v6
	s_mov_b32 s1, exec_lo
	s_delay_alu instid0(VALU_DEP_1)
	v_cmpx_o_f32_e32 v6, v6
; %bb.373:
	v_cmp_lt_f32_e32 vcc_lo, v5, v6
	v_cndmask_b32_e32 v4, v2, v4, vcc_lo
; %bb.374:
	s_or_b32 exec_lo, exec_lo, s1
	s_delay_alu instid0(VALU_DEP_1)
	v_mov_b32_e32 v2, v4
.LBB117_375:
	s_or_b32 exec_lo, exec_lo, s0
	s_delay_alu instid0(VALU_DEP_1) | instskip(SKIP_1) | instid1(VALU_DEP_1)
	v_and_b32_e32 v6, 0xffff, v2
	s_mov_b32 s0, exec_lo
	v_mov_b32_dpp v4, v6 row_ror:8 row_mask:0xf bank_mask:0xf
	s_delay_alu instid0(VALU_DEP_1) | instskip(NEXT) | instid1(VALU_DEP_1)
	v_lshlrev_b32_e32 v5, 16, v4
	v_cmpx_o_f32_e32 v5, v5
	s_cbranch_execz .LBB117_379
; %bb.376:
	v_lshlrev_b32_e32 v6, 16, v6
	s_mov_b32 s1, exec_lo
	s_delay_alu instid0(VALU_DEP_1)
	v_cmpx_o_f32_e32 v6, v6
; %bb.377:
	v_cmp_lt_f32_e32 vcc_lo, v5, v6
	v_cndmask_b32_e32 v2, v4, v2, vcc_lo
; %bb.378:
	s_or_b32 exec_lo, exec_lo, s1
	s_delay_alu instid0(VALU_DEP_1)
	v_mov_b32_e32 v4, v2
.LBB117_379:
	s_or_b32 exec_lo, exec_lo, s0
	s_delay_alu instid0(VALU_DEP_1) | instskip(SKIP_4) | instid1(VALU_DEP_1)
	v_and_b32_e32 v6, 0xffff, v4
	s_mov_b32 s0, exec_lo
	ds_swizzle_b32 v2, v6 offset:swizzle(BROADCAST,32,15)
	s_waitcnt lgkmcnt(0)
	v_lshlrev_b32_e32 v5, 16, v2
	v_cmpx_o_f32_e32 v5, v5
	s_cbranch_execz .LBB117_383
; %bb.380:
	v_lshlrev_b32_e32 v6, 16, v6
	s_mov_b32 s1, exec_lo
	s_delay_alu instid0(VALU_DEP_1)
	v_cmpx_o_f32_e32 v6, v6
; %bb.381:
	v_cmp_lt_f32_e32 vcc_lo, v5, v6
	v_cndmask_b32_e32 v4, v2, v4, vcc_lo
; %bb.382:
	s_or_b32 exec_lo, exec_lo, s1
	s_delay_alu instid0(VALU_DEP_1)
	v_mov_b32_e32 v2, v4
.LBB117_383:
	s_or_b32 exec_lo, exec_lo, s0
	s_delay_alu instid0(VALU_DEP_1)
	v_and_b32_e32 v2, 0xffff, v2
	v_mov_b32_e32 v4, 0
	s_mov_b32 s0, exec_lo
	ds_bpermute_b32 v2, v4, v2 offset:124
	v_cmpx_eq_u32_e32 0, v1
	s_cbranch_execz .LBB117_385
; %bb.384:
	v_lshlrev_b32_e32 v3, 1, v3
	s_waitcnt lgkmcnt(0)
	ds_store_b16 v3, v2
.LBB117_385:
	s_or_b32 exec_lo, exec_lo, s0
	s_delay_alu instid0(SALU_CYCLE_1)
	s_mov_b32 s0, exec_lo
	s_waitcnt lgkmcnt(0)
	s_barrier
	buffer_gl0_inv
	v_cmpx_gt_u32_e32 32, v0
	s_cbranch_execz .LBB117_399
; %bb.386:
	v_and_b32_e32 v3, 7, v1
	s_mov_b32 s1, exec_lo
	s_delay_alu instid0(VALU_DEP_1) | instskip(SKIP_3) | instid1(VALU_DEP_1)
	v_lshlrev_b32_e32 v2, 1, v3
	v_cmp_ne_u32_e32 vcc_lo, 7, v3
	ds_load_u16 v2, v2
	v_add_co_ci_u32_e32 v4, vcc_lo, 0, v1, vcc_lo
	v_lshlrev_b32_e32 v4, 2, v4
	s_waitcnt lgkmcnt(0)
	v_and_b32_e32 v5, 0xffff, v2
	ds_bpermute_b32 v4, v4, v5
	v_lshlrev_b32_e32 v5, 16, v2
	s_delay_alu instid0(VALU_DEP_1)
	v_cmpx_o_f32_e32 v5, v5
	s_cbranch_execz .LBB117_390
; %bb.387:
	s_waitcnt lgkmcnt(0)
	v_lshlrev_b32_e32 v6, 16, v4
	s_mov_b32 s2, exec_lo
	s_delay_alu instid0(VALU_DEP_1)
	v_cmpx_o_f32_e32 v6, v6
; %bb.388:
	v_cmp_lt_f32_e32 vcc_lo, v5, v6
	v_cndmask_b32_e32 v4, v2, v4, vcc_lo
; %bb.389:
	s_or_b32 exec_lo, exec_lo, s2
	s_delay_alu instid0(VALU_DEP_1)
	v_mov_b32_e32 v2, v4
.LBB117_390:
	s_or_b32 exec_lo, exec_lo, s1
	v_cmp_gt_u32_e32 vcc_lo, 6, v3
	s_delay_alu instid0(VALU_DEP_2) | instskip(SKIP_3) | instid1(VALU_DEP_1)
	v_and_b32_e32 v5, 0xffff, v2
	s_mov_b32 s1, exec_lo
	s_waitcnt lgkmcnt(0)
	v_cndmask_b32_e64 v4, 0, 1, vcc_lo
	v_lshlrev_b32_e32 v4, 1, v4
	s_delay_alu instid0(VALU_DEP_1) | instskip(SKIP_2) | instid1(VALU_DEP_1)
	v_add_lshl_u32 v4, v4, v1, 2
	ds_bpermute_b32 v4, v4, v5
	v_lshlrev_b32_e32 v5, 16, v2
	v_cmpx_o_f32_e32 v5, v5
	s_cbranch_execz .LBB117_394
; %bb.391:
	s_waitcnt lgkmcnt(0)
	v_lshlrev_b32_e32 v6, 16, v4
	s_mov_b32 s2, exec_lo
	s_delay_alu instid0(VALU_DEP_1)
	v_cmpx_o_f32_e32 v6, v6
; %bb.392:
	v_cmp_lt_f32_e32 vcc_lo, v5, v6
	v_cndmask_b32_e32 v4, v2, v4, vcc_lo
; %bb.393:
	s_or_b32 exec_lo, exec_lo, s2
	s_delay_alu instid0(VALU_DEP_1)
	v_mov_b32_e32 v2, v4
.LBB117_394:
	s_or_b32 exec_lo, exec_lo, s1
	v_cmp_gt_u32_e32 vcc_lo, 4, v3
	s_waitcnt lgkmcnt(0)
	s_delay_alu instid0(VALU_DEP_2) | instskip(SKIP_2) | instid1(VALU_DEP_1)
	v_and_b32_e32 v4, 0xffff, v2
	s_mov_b32 s1, exec_lo
	v_cndmask_b32_e64 v3, 0, 1, vcc_lo
	v_lshlrev_b32_e32 v3, 2, v3
	s_delay_alu instid0(VALU_DEP_1)
	v_add_lshl_u32 v1, v3, v1, 2
	v_lshlrev_b32_e32 v3, 16, v2
	ds_bpermute_b32 v1, v1, v4
	v_cmpx_o_f32_e32 v3, v3
	s_cbranch_execz .LBB117_398
; %bb.395:
	s_waitcnt lgkmcnt(0)
	v_lshlrev_b32_e32 v4, 16, v1
	s_mov_b32 s2, exec_lo
	s_delay_alu instid0(VALU_DEP_1)
	v_cmpx_o_f32_e32 v4, v4
; %bb.396:
	v_cmp_lt_f32_e32 vcc_lo, v3, v4
	v_cndmask_b32_e32 v1, v2, v1, vcc_lo
; %bb.397:
	s_or_b32 exec_lo, exec_lo, s2
	s_delay_alu instid0(VALU_DEP_1)
	v_mov_b32_e32 v2, v1
.LBB117_398:
	s_or_b32 exec_lo, exec_lo, s1
.LBB117_399:
	s_delay_alu instid0(SALU_CYCLE_1)
	s_or_b32 exec_lo, exec_lo, s0
.LBB117_400:
	s_delay_alu instid0(SALU_CYCLE_1)
	s_mov_b32 s0, exec_lo
                                        ; implicit-def: $vgpr1
	v_cmpx_eq_u32_e32 0, v0
	s_cbranch_execz .LBB117_406
; %bb.401:
	s_lshl_b32 s1, s15, 16
	s_waitcnt lgkmcnt(0)
	v_mov_b32_e32 v1, s15
	v_cmp_u_f32_e64 s2, s1, s1
	s_delay_alu instid0(VALU_DEP_1)
	s_and_b32 vcc_lo, exec_lo, s2
	s_cbranch_vccnz .LBB117_405
; %bb.402:
	v_lshlrev_b32_e32 v0, 16, v2
	s_mov_b32 s2, exec_lo
	s_delay_alu instid0(VALU_DEP_1)
	v_cmpx_o_f32_e32 v0, v0
; %bb.403:
	v_cmp_lt_f32_e32 vcc_lo, s1, v0
	v_cndmask_b32_e32 v2, s15, v2, vcc_lo
; %bb.404:
	s_or_b32 exec_lo, exec_lo, s2
	s_delay_alu instid0(VALU_DEP_1)
	v_mov_b32_e32 v1, v2
.LBB117_405:
	s_or_b32 s28, s28, exec_lo
.LBB117_406:
	s_or_b32 exec_lo, exec_lo, s0
	s_and_saveexec_b32 s0, s28
	s_cbranch_execz .LBB117_408
.LBB117_407:
	s_lshl_b64 s[0:1], s[20:21], 1
	v_mov_b32_e32 v0, 0
	s_add_u32 s2, s18, s0
	s_addc_u32 s3, s19, s1
	s_lshl_b64 s[0:1], s[24:25], 1
	s_delay_alu instid0(SALU_CYCLE_1)
	s_add_u32 s0, s2, s0
	s_addc_u32 s1, s3, s1
	s_waitcnt lgkmcnt(0)
	global_store_b16 v0, v1, s[0:1]
.LBB117_408:
	s_nop 0
	s_sendmsg sendmsg(MSG_DEALLOC_VGPRS)
	s_endpgm
	.section	.rodata,"a",@progbits
	.p2align	6, 0x0
	.amdhsa_kernel _ZN7rocprim17ROCPRIM_400000_NS6detail17trampoline_kernelINS0_14default_configENS1_32segmented_reduce_config_selectorIN3c108BFloat16EEEZNS1_21segmented_reduce_implIS3_PKS6_PS6_PKiS6_N6hipcub16HIPCUB_304000_NS6detail27convert_result_type_wrapperISA_SB_N2at6native12_GLOBAL__N_19CustomMaxEEEEE10hipError_tPvRmT0_T1_jT2_SS_T4_T3_P12ihipStream_tbEUlT_E_NS1_11comp_targetILNS1_3genE9ELNS1_11target_archE1100ELNS1_3gpuE3ELNS1_3repE0EEENS1_30default_config_static_selectorELNS0_4arch9wavefront6targetE0EEEvSR_
		.amdhsa_group_segment_fixed_size 16
		.amdhsa_private_segment_fixed_size 0
		.amdhsa_kernarg_size 48
		.amdhsa_user_sgpr_count 15
		.amdhsa_user_sgpr_dispatch_ptr 0
		.amdhsa_user_sgpr_queue_ptr 0
		.amdhsa_user_sgpr_kernarg_segment_ptr 1
		.amdhsa_user_sgpr_dispatch_id 0
		.amdhsa_user_sgpr_private_segment_size 0
		.amdhsa_wavefront_size32 1
		.amdhsa_uses_dynamic_stack 0
		.amdhsa_enable_private_segment 0
		.amdhsa_system_sgpr_workgroup_id_x 1
		.amdhsa_system_sgpr_workgroup_id_y 0
		.amdhsa_system_sgpr_workgroup_id_z 0
		.amdhsa_system_sgpr_workgroup_info 0
		.amdhsa_system_vgpr_workitem_id 0
		.amdhsa_next_free_vgpr 24
		.amdhsa_next_free_sgpr 31
		.amdhsa_reserve_vcc 1
		.amdhsa_float_round_mode_32 0
		.amdhsa_float_round_mode_16_64 0
		.amdhsa_float_denorm_mode_32 3
		.amdhsa_float_denorm_mode_16_64 3
		.amdhsa_dx10_clamp 1
		.amdhsa_ieee_mode 1
		.amdhsa_fp16_overflow 0
		.amdhsa_workgroup_processor_mode 1
		.amdhsa_memory_ordered 1
		.amdhsa_forward_progress 0
		.amdhsa_shared_vgpr_count 0
		.amdhsa_exception_fp_ieee_invalid_op 0
		.amdhsa_exception_fp_denorm_src 0
		.amdhsa_exception_fp_ieee_div_zero 0
		.amdhsa_exception_fp_ieee_overflow 0
		.amdhsa_exception_fp_ieee_underflow 0
		.amdhsa_exception_fp_ieee_inexact 0
		.amdhsa_exception_int_div_zero 0
	.end_amdhsa_kernel
	.section	.text._ZN7rocprim17ROCPRIM_400000_NS6detail17trampoline_kernelINS0_14default_configENS1_32segmented_reduce_config_selectorIN3c108BFloat16EEEZNS1_21segmented_reduce_implIS3_PKS6_PS6_PKiS6_N6hipcub16HIPCUB_304000_NS6detail27convert_result_type_wrapperISA_SB_N2at6native12_GLOBAL__N_19CustomMaxEEEEE10hipError_tPvRmT0_T1_jT2_SS_T4_T3_P12ihipStream_tbEUlT_E_NS1_11comp_targetILNS1_3genE9ELNS1_11target_archE1100ELNS1_3gpuE3ELNS1_3repE0EEENS1_30default_config_static_selectorELNS0_4arch9wavefront6targetE0EEEvSR_,"axG",@progbits,_ZN7rocprim17ROCPRIM_400000_NS6detail17trampoline_kernelINS0_14default_configENS1_32segmented_reduce_config_selectorIN3c108BFloat16EEEZNS1_21segmented_reduce_implIS3_PKS6_PS6_PKiS6_N6hipcub16HIPCUB_304000_NS6detail27convert_result_type_wrapperISA_SB_N2at6native12_GLOBAL__N_19CustomMaxEEEEE10hipError_tPvRmT0_T1_jT2_SS_T4_T3_P12ihipStream_tbEUlT_E_NS1_11comp_targetILNS1_3genE9ELNS1_11target_archE1100ELNS1_3gpuE3ELNS1_3repE0EEENS1_30default_config_static_selectorELNS0_4arch9wavefront6targetE0EEEvSR_,comdat
.Lfunc_end117:
	.size	_ZN7rocprim17ROCPRIM_400000_NS6detail17trampoline_kernelINS0_14default_configENS1_32segmented_reduce_config_selectorIN3c108BFloat16EEEZNS1_21segmented_reduce_implIS3_PKS6_PS6_PKiS6_N6hipcub16HIPCUB_304000_NS6detail27convert_result_type_wrapperISA_SB_N2at6native12_GLOBAL__N_19CustomMaxEEEEE10hipError_tPvRmT0_T1_jT2_SS_T4_T3_P12ihipStream_tbEUlT_E_NS1_11comp_targetILNS1_3genE9ELNS1_11target_archE1100ELNS1_3gpuE3ELNS1_3repE0EEENS1_30default_config_static_selectorELNS0_4arch9wavefront6targetE0EEEvSR_, .Lfunc_end117-_ZN7rocprim17ROCPRIM_400000_NS6detail17trampoline_kernelINS0_14default_configENS1_32segmented_reduce_config_selectorIN3c108BFloat16EEEZNS1_21segmented_reduce_implIS3_PKS6_PS6_PKiS6_N6hipcub16HIPCUB_304000_NS6detail27convert_result_type_wrapperISA_SB_N2at6native12_GLOBAL__N_19CustomMaxEEEEE10hipError_tPvRmT0_T1_jT2_SS_T4_T3_P12ihipStream_tbEUlT_E_NS1_11comp_targetILNS1_3genE9ELNS1_11target_archE1100ELNS1_3gpuE3ELNS1_3repE0EEENS1_30default_config_static_selectorELNS0_4arch9wavefront6targetE0EEEvSR_
                                        ; -- End function
	.section	.AMDGPU.csdata,"",@progbits
; Kernel info:
; codeLenInByte = 8704
; NumSgprs: 33
; NumVgprs: 24
; ScratchSize: 0
; MemoryBound: 0
; FloatMode: 240
; IeeeMode: 1
; LDSByteSize: 16 bytes/workgroup (compile time only)
; SGPRBlocks: 4
; VGPRBlocks: 2
; NumSGPRsForWavesPerEU: 33
; NumVGPRsForWavesPerEU: 24
; Occupancy: 16
; WaveLimiterHint : 1
; COMPUTE_PGM_RSRC2:SCRATCH_EN: 0
; COMPUTE_PGM_RSRC2:USER_SGPR: 15
; COMPUTE_PGM_RSRC2:TRAP_HANDLER: 0
; COMPUTE_PGM_RSRC2:TGID_X_EN: 1
; COMPUTE_PGM_RSRC2:TGID_Y_EN: 0
; COMPUTE_PGM_RSRC2:TGID_Z_EN: 0
; COMPUTE_PGM_RSRC2:TIDIG_COMP_CNT: 0
	.section	.text._ZN7rocprim17ROCPRIM_400000_NS6detail17trampoline_kernelINS0_14default_configENS1_32segmented_reduce_config_selectorIN3c108BFloat16EEEZNS1_21segmented_reduce_implIS3_PKS6_PS6_PKiS6_N6hipcub16HIPCUB_304000_NS6detail27convert_result_type_wrapperISA_SB_N2at6native12_GLOBAL__N_19CustomMaxEEEEE10hipError_tPvRmT0_T1_jT2_SS_T4_T3_P12ihipStream_tbEUlT_E_NS1_11comp_targetILNS1_3genE8ELNS1_11target_archE1030ELNS1_3gpuE2ELNS1_3repE0EEENS1_30default_config_static_selectorELNS0_4arch9wavefront6targetE0EEEvSR_,"axG",@progbits,_ZN7rocprim17ROCPRIM_400000_NS6detail17trampoline_kernelINS0_14default_configENS1_32segmented_reduce_config_selectorIN3c108BFloat16EEEZNS1_21segmented_reduce_implIS3_PKS6_PS6_PKiS6_N6hipcub16HIPCUB_304000_NS6detail27convert_result_type_wrapperISA_SB_N2at6native12_GLOBAL__N_19CustomMaxEEEEE10hipError_tPvRmT0_T1_jT2_SS_T4_T3_P12ihipStream_tbEUlT_E_NS1_11comp_targetILNS1_3genE8ELNS1_11target_archE1030ELNS1_3gpuE2ELNS1_3repE0EEENS1_30default_config_static_selectorELNS0_4arch9wavefront6targetE0EEEvSR_,comdat
	.globl	_ZN7rocprim17ROCPRIM_400000_NS6detail17trampoline_kernelINS0_14default_configENS1_32segmented_reduce_config_selectorIN3c108BFloat16EEEZNS1_21segmented_reduce_implIS3_PKS6_PS6_PKiS6_N6hipcub16HIPCUB_304000_NS6detail27convert_result_type_wrapperISA_SB_N2at6native12_GLOBAL__N_19CustomMaxEEEEE10hipError_tPvRmT0_T1_jT2_SS_T4_T3_P12ihipStream_tbEUlT_E_NS1_11comp_targetILNS1_3genE8ELNS1_11target_archE1030ELNS1_3gpuE2ELNS1_3repE0EEENS1_30default_config_static_selectorELNS0_4arch9wavefront6targetE0EEEvSR_ ; -- Begin function _ZN7rocprim17ROCPRIM_400000_NS6detail17trampoline_kernelINS0_14default_configENS1_32segmented_reduce_config_selectorIN3c108BFloat16EEEZNS1_21segmented_reduce_implIS3_PKS6_PS6_PKiS6_N6hipcub16HIPCUB_304000_NS6detail27convert_result_type_wrapperISA_SB_N2at6native12_GLOBAL__N_19CustomMaxEEEEE10hipError_tPvRmT0_T1_jT2_SS_T4_T3_P12ihipStream_tbEUlT_E_NS1_11comp_targetILNS1_3genE8ELNS1_11target_archE1030ELNS1_3gpuE2ELNS1_3repE0EEENS1_30default_config_static_selectorELNS0_4arch9wavefront6targetE0EEEvSR_
	.p2align	8
	.type	_ZN7rocprim17ROCPRIM_400000_NS6detail17trampoline_kernelINS0_14default_configENS1_32segmented_reduce_config_selectorIN3c108BFloat16EEEZNS1_21segmented_reduce_implIS3_PKS6_PS6_PKiS6_N6hipcub16HIPCUB_304000_NS6detail27convert_result_type_wrapperISA_SB_N2at6native12_GLOBAL__N_19CustomMaxEEEEE10hipError_tPvRmT0_T1_jT2_SS_T4_T3_P12ihipStream_tbEUlT_E_NS1_11comp_targetILNS1_3genE8ELNS1_11target_archE1030ELNS1_3gpuE2ELNS1_3repE0EEENS1_30default_config_static_selectorELNS0_4arch9wavefront6targetE0EEEvSR_,@function
_ZN7rocprim17ROCPRIM_400000_NS6detail17trampoline_kernelINS0_14default_configENS1_32segmented_reduce_config_selectorIN3c108BFloat16EEEZNS1_21segmented_reduce_implIS3_PKS6_PS6_PKiS6_N6hipcub16HIPCUB_304000_NS6detail27convert_result_type_wrapperISA_SB_N2at6native12_GLOBAL__N_19CustomMaxEEEEE10hipError_tPvRmT0_T1_jT2_SS_T4_T3_P12ihipStream_tbEUlT_E_NS1_11comp_targetILNS1_3genE8ELNS1_11target_archE1030ELNS1_3gpuE2ELNS1_3repE0EEENS1_30default_config_static_selectorELNS0_4arch9wavefront6targetE0EEEvSR_: ; @_ZN7rocprim17ROCPRIM_400000_NS6detail17trampoline_kernelINS0_14default_configENS1_32segmented_reduce_config_selectorIN3c108BFloat16EEEZNS1_21segmented_reduce_implIS3_PKS6_PS6_PKiS6_N6hipcub16HIPCUB_304000_NS6detail27convert_result_type_wrapperISA_SB_N2at6native12_GLOBAL__N_19CustomMaxEEEEE10hipError_tPvRmT0_T1_jT2_SS_T4_T3_P12ihipStream_tbEUlT_E_NS1_11comp_targetILNS1_3genE8ELNS1_11target_archE1030ELNS1_3gpuE2ELNS1_3repE0EEENS1_30default_config_static_selectorELNS0_4arch9wavefront6targetE0EEEvSR_
; %bb.0:
	.section	.rodata,"a",@progbits
	.p2align	6, 0x0
	.amdhsa_kernel _ZN7rocprim17ROCPRIM_400000_NS6detail17trampoline_kernelINS0_14default_configENS1_32segmented_reduce_config_selectorIN3c108BFloat16EEEZNS1_21segmented_reduce_implIS3_PKS6_PS6_PKiS6_N6hipcub16HIPCUB_304000_NS6detail27convert_result_type_wrapperISA_SB_N2at6native12_GLOBAL__N_19CustomMaxEEEEE10hipError_tPvRmT0_T1_jT2_SS_T4_T3_P12ihipStream_tbEUlT_E_NS1_11comp_targetILNS1_3genE8ELNS1_11target_archE1030ELNS1_3gpuE2ELNS1_3repE0EEENS1_30default_config_static_selectorELNS0_4arch9wavefront6targetE0EEEvSR_
		.amdhsa_group_segment_fixed_size 0
		.amdhsa_private_segment_fixed_size 0
		.amdhsa_kernarg_size 48
		.amdhsa_user_sgpr_count 15
		.amdhsa_user_sgpr_dispatch_ptr 0
		.amdhsa_user_sgpr_queue_ptr 0
		.amdhsa_user_sgpr_kernarg_segment_ptr 1
		.amdhsa_user_sgpr_dispatch_id 0
		.amdhsa_user_sgpr_private_segment_size 0
		.amdhsa_wavefront_size32 1
		.amdhsa_uses_dynamic_stack 0
		.amdhsa_enable_private_segment 0
		.amdhsa_system_sgpr_workgroup_id_x 1
		.amdhsa_system_sgpr_workgroup_id_y 0
		.amdhsa_system_sgpr_workgroup_id_z 0
		.amdhsa_system_sgpr_workgroup_info 0
		.amdhsa_system_vgpr_workitem_id 0
		.amdhsa_next_free_vgpr 1
		.amdhsa_next_free_sgpr 1
		.amdhsa_reserve_vcc 0
		.amdhsa_float_round_mode_32 0
		.amdhsa_float_round_mode_16_64 0
		.amdhsa_float_denorm_mode_32 3
		.amdhsa_float_denorm_mode_16_64 3
		.amdhsa_dx10_clamp 1
		.amdhsa_ieee_mode 1
		.amdhsa_fp16_overflow 0
		.amdhsa_workgroup_processor_mode 1
		.amdhsa_memory_ordered 1
		.amdhsa_forward_progress 0
		.amdhsa_shared_vgpr_count 0
		.amdhsa_exception_fp_ieee_invalid_op 0
		.amdhsa_exception_fp_denorm_src 0
		.amdhsa_exception_fp_ieee_div_zero 0
		.amdhsa_exception_fp_ieee_overflow 0
		.amdhsa_exception_fp_ieee_underflow 0
		.amdhsa_exception_fp_ieee_inexact 0
		.amdhsa_exception_int_div_zero 0
	.end_amdhsa_kernel
	.section	.text._ZN7rocprim17ROCPRIM_400000_NS6detail17trampoline_kernelINS0_14default_configENS1_32segmented_reduce_config_selectorIN3c108BFloat16EEEZNS1_21segmented_reduce_implIS3_PKS6_PS6_PKiS6_N6hipcub16HIPCUB_304000_NS6detail27convert_result_type_wrapperISA_SB_N2at6native12_GLOBAL__N_19CustomMaxEEEEE10hipError_tPvRmT0_T1_jT2_SS_T4_T3_P12ihipStream_tbEUlT_E_NS1_11comp_targetILNS1_3genE8ELNS1_11target_archE1030ELNS1_3gpuE2ELNS1_3repE0EEENS1_30default_config_static_selectorELNS0_4arch9wavefront6targetE0EEEvSR_,"axG",@progbits,_ZN7rocprim17ROCPRIM_400000_NS6detail17trampoline_kernelINS0_14default_configENS1_32segmented_reduce_config_selectorIN3c108BFloat16EEEZNS1_21segmented_reduce_implIS3_PKS6_PS6_PKiS6_N6hipcub16HIPCUB_304000_NS6detail27convert_result_type_wrapperISA_SB_N2at6native12_GLOBAL__N_19CustomMaxEEEEE10hipError_tPvRmT0_T1_jT2_SS_T4_T3_P12ihipStream_tbEUlT_E_NS1_11comp_targetILNS1_3genE8ELNS1_11target_archE1030ELNS1_3gpuE2ELNS1_3repE0EEENS1_30default_config_static_selectorELNS0_4arch9wavefront6targetE0EEEvSR_,comdat
.Lfunc_end118:
	.size	_ZN7rocprim17ROCPRIM_400000_NS6detail17trampoline_kernelINS0_14default_configENS1_32segmented_reduce_config_selectorIN3c108BFloat16EEEZNS1_21segmented_reduce_implIS3_PKS6_PS6_PKiS6_N6hipcub16HIPCUB_304000_NS6detail27convert_result_type_wrapperISA_SB_N2at6native12_GLOBAL__N_19CustomMaxEEEEE10hipError_tPvRmT0_T1_jT2_SS_T4_T3_P12ihipStream_tbEUlT_E_NS1_11comp_targetILNS1_3genE8ELNS1_11target_archE1030ELNS1_3gpuE2ELNS1_3repE0EEENS1_30default_config_static_selectorELNS0_4arch9wavefront6targetE0EEEvSR_, .Lfunc_end118-_ZN7rocprim17ROCPRIM_400000_NS6detail17trampoline_kernelINS0_14default_configENS1_32segmented_reduce_config_selectorIN3c108BFloat16EEEZNS1_21segmented_reduce_implIS3_PKS6_PS6_PKiS6_N6hipcub16HIPCUB_304000_NS6detail27convert_result_type_wrapperISA_SB_N2at6native12_GLOBAL__N_19CustomMaxEEEEE10hipError_tPvRmT0_T1_jT2_SS_T4_T3_P12ihipStream_tbEUlT_E_NS1_11comp_targetILNS1_3genE8ELNS1_11target_archE1030ELNS1_3gpuE2ELNS1_3repE0EEENS1_30default_config_static_selectorELNS0_4arch9wavefront6targetE0EEEvSR_
                                        ; -- End function
	.section	.AMDGPU.csdata,"",@progbits
; Kernel info:
; codeLenInByte = 0
; NumSgprs: 0
; NumVgprs: 0
; ScratchSize: 0
; MemoryBound: 0
; FloatMode: 240
; IeeeMode: 1
; LDSByteSize: 0 bytes/workgroup (compile time only)
; SGPRBlocks: 0
; VGPRBlocks: 0
; NumSGPRsForWavesPerEU: 1
; NumVGPRsForWavesPerEU: 1
; Occupancy: 16
; WaveLimiterHint : 0
; COMPUTE_PGM_RSRC2:SCRATCH_EN: 0
; COMPUTE_PGM_RSRC2:USER_SGPR: 15
; COMPUTE_PGM_RSRC2:TRAP_HANDLER: 0
; COMPUTE_PGM_RSRC2:TGID_X_EN: 1
; COMPUTE_PGM_RSRC2:TGID_Y_EN: 0
; COMPUTE_PGM_RSRC2:TGID_Z_EN: 0
; COMPUTE_PGM_RSRC2:TIDIG_COMP_CNT: 0
	.section	.text._ZN7rocprim17ROCPRIM_400000_NS6detail17trampoline_kernelINS0_14default_configENS1_32segmented_reduce_config_selectorIN3c108BFloat16EEEZNS1_21segmented_reduce_implIS3_PKS6_PS6_PKiS6_N6hipcub16HIPCUB_304000_NS6detail27convert_result_type_wrapperISA_SB_N2at6native12_GLOBAL__N_19CustomSumEEEEE10hipError_tPvRmT0_T1_jT2_SS_T4_T3_P12ihipStream_tbEUlT_E_NS1_11comp_targetILNS1_3genE0ELNS1_11target_archE4294967295ELNS1_3gpuE0ELNS1_3repE0EEENS1_30default_config_static_selectorELNS0_4arch9wavefront6targetE0EEEvSR_,"axG",@progbits,_ZN7rocprim17ROCPRIM_400000_NS6detail17trampoline_kernelINS0_14default_configENS1_32segmented_reduce_config_selectorIN3c108BFloat16EEEZNS1_21segmented_reduce_implIS3_PKS6_PS6_PKiS6_N6hipcub16HIPCUB_304000_NS6detail27convert_result_type_wrapperISA_SB_N2at6native12_GLOBAL__N_19CustomSumEEEEE10hipError_tPvRmT0_T1_jT2_SS_T4_T3_P12ihipStream_tbEUlT_E_NS1_11comp_targetILNS1_3genE0ELNS1_11target_archE4294967295ELNS1_3gpuE0ELNS1_3repE0EEENS1_30default_config_static_selectorELNS0_4arch9wavefront6targetE0EEEvSR_,comdat
	.globl	_ZN7rocprim17ROCPRIM_400000_NS6detail17trampoline_kernelINS0_14default_configENS1_32segmented_reduce_config_selectorIN3c108BFloat16EEEZNS1_21segmented_reduce_implIS3_PKS6_PS6_PKiS6_N6hipcub16HIPCUB_304000_NS6detail27convert_result_type_wrapperISA_SB_N2at6native12_GLOBAL__N_19CustomSumEEEEE10hipError_tPvRmT0_T1_jT2_SS_T4_T3_P12ihipStream_tbEUlT_E_NS1_11comp_targetILNS1_3genE0ELNS1_11target_archE4294967295ELNS1_3gpuE0ELNS1_3repE0EEENS1_30default_config_static_selectorELNS0_4arch9wavefront6targetE0EEEvSR_ ; -- Begin function _ZN7rocprim17ROCPRIM_400000_NS6detail17trampoline_kernelINS0_14default_configENS1_32segmented_reduce_config_selectorIN3c108BFloat16EEEZNS1_21segmented_reduce_implIS3_PKS6_PS6_PKiS6_N6hipcub16HIPCUB_304000_NS6detail27convert_result_type_wrapperISA_SB_N2at6native12_GLOBAL__N_19CustomSumEEEEE10hipError_tPvRmT0_T1_jT2_SS_T4_T3_P12ihipStream_tbEUlT_E_NS1_11comp_targetILNS1_3genE0ELNS1_11target_archE4294967295ELNS1_3gpuE0ELNS1_3repE0EEENS1_30default_config_static_selectorELNS0_4arch9wavefront6targetE0EEEvSR_
	.p2align	8
	.type	_ZN7rocprim17ROCPRIM_400000_NS6detail17trampoline_kernelINS0_14default_configENS1_32segmented_reduce_config_selectorIN3c108BFloat16EEEZNS1_21segmented_reduce_implIS3_PKS6_PS6_PKiS6_N6hipcub16HIPCUB_304000_NS6detail27convert_result_type_wrapperISA_SB_N2at6native12_GLOBAL__N_19CustomSumEEEEE10hipError_tPvRmT0_T1_jT2_SS_T4_T3_P12ihipStream_tbEUlT_E_NS1_11comp_targetILNS1_3genE0ELNS1_11target_archE4294967295ELNS1_3gpuE0ELNS1_3repE0EEENS1_30default_config_static_selectorELNS0_4arch9wavefront6targetE0EEEvSR_,@function
_ZN7rocprim17ROCPRIM_400000_NS6detail17trampoline_kernelINS0_14default_configENS1_32segmented_reduce_config_selectorIN3c108BFloat16EEEZNS1_21segmented_reduce_implIS3_PKS6_PS6_PKiS6_N6hipcub16HIPCUB_304000_NS6detail27convert_result_type_wrapperISA_SB_N2at6native12_GLOBAL__N_19CustomSumEEEEE10hipError_tPvRmT0_T1_jT2_SS_T4_T3_P12ihipStream_tbEUlT_E_NS1_11comp_targetILNS1_3genE0ELNS1_11target_archE4294967295ELNS1_3gpuE0ELNS1_3repE0EEENS1_30default_config_static_selectorELNS0_4arch9wavefront6targetE0EEEvSR_: ; @_ZN7rocprim17ROCPRIM_400000_NS6detail17trampoline_kernelINS0_14default_configENS1_32segmented_reduce_config_selectorIN3c108BFloat16EEEZNS1_21segmented_reduce_implIS3_PKS6_PS6_PKiS6_N6hipcub16HIPCUB_304000_NS6detail27convert_result_type_wrapperISA_SB_N2at6native12_GLOBAL__N_19CustomSumEEEEE10hipError_tPvRmT0_T1_jT2_SS_T4_T3_P12ihipStream_tbEUlT_E_NS1_11comp_targetILNS1_3genE0ELNS1_11target_archE4294967295ELNS1_3gpuE0ELNS1_3repE0EEENS1_30default_config_static_selectorELNS0_4arch9wavefront6targetE0EEEvSR_
; %bb.0:
	.section	.rodata,"a",@progbits
	.p2align	6, 0x0
	.amdhsa_kernel _ZN7rocprim17ROCPRIM_400000_NS6detail17trampoline_kernelINS0_14default_configENS1_32segmented_reduce_config_selectorIN3c108BFloat16EEEZNS1_21segmented_reduce_implIS3_PKS6_PS6_PKiS6_N6hipcub16HIPCUB_304000_NS6detail27convert_result_type_wrapperISA_SB_N2at6native12_GLOBAL__N_19CustomSumEEEEE10hipError_tPvRmT0_T1_jT2_SS_T4_T3_P12ihipStream_tbEUlT_E_NS1_11comp_targetILNS1_3genE0ELNS1_11target_archE4294967295ELNS1_3gpuE0ELNS1_3repE0EEENS1_30default_config_static_selectorELNS0_4arch9wavefront6targetE0EEEvSR_
		.amdhsa_group_segment_fixed_size 0
		.amdhsa_private_segment_fixed_size 0
		.amdhsa_kernarg_size 48
		.amdhsa_user_sgpr_count 15
		.amdhsa_user_sgpr_dispatch_ptr 0
		.amdhsa_user_sgpr_queue_ptr 0
		.amdhsa_user_sgpr_kernarg_segment_ptr 1
		.amdhsa_user_sgpr_dispatch_id 0
		.amdhsa_user_sgpr_private_segment_size 0
		.amdhsa_wavefront_size32 1
		.amdhsa_uses_dynamic_stack 0
		.amdhsa_enable_private_segment 0
		.amdhsa_system_sgpr_workgroup_id_x 1
		.amdhsa_system_sgpr_workgroup_id_y 0
		.amdhsa_system_sgpr_workgroup_id_z 0
		.amdhsa_system_sgpr_workgroup_info 0
		.amdhsa_system_vgpr_workitem_id 0
		.amdhsa_next_free_vgpr 1
		.amdhsa_next_free_sgpr 1
		.amdhsa_reserve_vcc 0
		.amdhsa_float_round_mode_32 0
		.amdhsa_float_round_mode_16_64 0
		.amdhsa_float_denorm_mode_32 3
		.amdhsa_float_denorm_mode_16_64 3
		.amdhsa_dx10_clamp 1
		.amdhsa_ieee_mode 1
		.amdhsa_fp16_overflow 0
		.amdhsa_workgroup_processor_mode 1
		.amdhsa_memory_ordered 1
		.amdhsa_forward_progress 0
		.amdhsa_shared_vgpr_count 0
		.amdhsa_exception_fp_ieee_invalid_op 0
		.amdhsa_exception_fp_denorm_src 0
		.amdhsa_exception_fp_ieee_div_zero 0
		.amdhsa_exception_fp_ieee_overflow 0
		.amdhsa_exception_fp_ieee_underflow 0
		.amdhsa_exception_fp_ieee_inexact 0
		.amdhsa_exception_int_div_zero 0
	.end_amdhsa_kernel
	.section	.text._ZN7rocprim17ROCPRIM_400000_NS6detail17trampoline_kernelINS0_14default_configENS1_32segmented_reduce_config_selectorIN3c108BFloat16EEEZNS1_21segmented_reduce_implIS3_PKS6_PS6_PKiS6_N6hipcub16HIPCUB_304000_NS6detail27convert_result_type_wrapperISA_SB_N2at6native12_GLOBAL__N_19CustomSumEEEEE10hipError_tPvRmT0_T1_jT2_SS_T4_T3_P12ihipStream_tbEUlT_E_NS1_11comp_targetILNS1_3genE0ELNS1_11target_archE4294967295ELNS1_3gpuE0ELNS1_3repE0EEENS1_30default_config_static_selectorELNS0_4arch9wavefront6targetE0EEEvSR_,"axG",@progbits,_ZN7rocprim17ROCPRIM_400000_NS6detail17trampoline_kernelINS0_14default_configENS1_32segmented_reduce_config_selectorIN3c108BFloat16EEEZNS1_21segmented_reduce_implIS3_PKS6_PS6_PKiS6_N6hipcub16HIPCUB_304000_NS6detail27convert_result_type_wrapperISA_SB_N2at6native12_GLOBAL__N_19CustomSumEEEEE10hipError_tPvRmT0_T1_jT2_SS_T4_T3_P12ihipStream_tbEUlT_E_NS1_11comp_targetILNS1_3genE0ELNS1_11target_archE4294967295ELNS1_3gpuE0ELNS1_3repE0EEENS1_30default_config_static_selectorELNS0_4arch9wavefront6targetE0EEEvSR_,comdat
.Lfunc_end119:
	.size	_ZN7rocprim17ROCPRIM_400000_NS6detail17trampoline_kernelINS0_14default_configENS1_32segmented_reduce_config_selectorIN3c108BFloat16EEEZNS1_21segmented_reduce_implIS3_PKS6_PS6_PKiS6_N6hipcub16HIPCUB_304000_NS6detail27convert_result_type_wrapperISA_SB_N2at6native12_GLOBAL__N_19CustomSumEEEEE10hipError_tPvRmT0_T1_jT2_SS_T4_T3_P12ihipStream_tbEUlT_E_NS1_11comp_targetILNS1_3genE0ELNS1_11target_archE4294967295ELNS1_3gpuE0ELNS1_3repE0EEENS1_30default_config_static_selectorELNS0_4arch9wavefront6targetE0EEEvSR_, .Lfunc_end119-_ZN7rocprim17ROCPRIM_400000_NS6detail17trampoline_kernelINS0_14default_configENS1_32segmented_reduce_config_selectorIN3c108BFloat16EEEZNS1_21segmented_reduce_implIS3_PKS6_PS6_PKiS6_N6hipcub16HIPCUB_304000_NS6detail27convert_result_type_wrapperISA_SB_N2at6native12_GLOBAL__N_19CustomSumEEEEE10hipError_tPvRmT0_T1_jT2_SS_T4_T3_P12ihipStream_tbEUlT_E_NS1_11comp_targetILNS1_3genE0ELNS1_11target_archE4294967295ELNS1_3gpuE0ELNS1_3repE0EEENS1_30default_config_static_selectorELNS0_4arch9wavefront6targetE0EEEvSR_
                                        ; -- End function
	.section	.AMDGPU.csdata,"",@progbits
; Kernel info:
; codeLenInByte = 0
; NumSgprs: 0
; NumVgprs: 0
; ScratchSize: 0
; MemoryBound: 0
; FloatMode: 240
; IeeeMode: 1
; LDSByteSize: 0 bytes/workgroup (compile time only)
; SGPRBlocks: 0
; VGPRBlocks: 0
; NumSGPRsForWavesPerEU: 1
; NumVGPRsForWavesPerEU: 1
; Occupancy: 16
; WaveLimiterHint : 0
; COMPUTE_PGM_RSRC2:SCRATCH_EN: 0
; COMPUTE_PGM_RSRC2:USER_SGPR: 15
; COMPUTE_PGM_RSRC2:TRAP_HANDLER: 0
; COMPUTE_PGM_RSRC2:TGID_X_EN: 1
; COMPUTE_PGM_RSRC2:TGID_Y_EN: 0
; COMPUTE_PGM_RSRC2:TGID_Z_EN: 0
; COMPUTE_PGM_RSRC2:TIDIG_COMP_CNT: 0
	.section	.text._ZN7rocprim17ROCPRIM_400000_NS6detail17trampoline_kernelINS0_14default_configENS1_32segmented_reduce_config_selectorIN3c108BFloat16EEEZNS1_21segmented_reduce_implIS3_PKS6_PS6_PKiS6_N6hipcub16HIPCUB_304000_NS6detail27convert_result_type_wrapperISA_SB_N2at6native12_GLOBAL__N_19CustomSumEEEEE10hipError_tPvRmT0_T1_jT2_SS_T4_T3_P12ihipStream_tbEUlT_E_NS1_11comp_targetILNS1_3genE5ELNS1_11target_archE942ELNS1_3gpuE9ELNS1_3repE0EEENS1_30default_config_static_selectorELNS0_4arch9wavefront6targetE0EEEvSR_,"axG",@progbits,_ZN7rocprim17ROCPRIM_400000_NS6detail17trampoline_kernelINS0_14default_configENS1_32segmented_reduce_config_selectorIN3c108BFloat16EEEZNS1_21segmented_reduce_implIS3_PKS6_PS6_PKiS6_N6hipcub16HIPCUB_304000_NS6detail27convert_result_type_wrapperISA_SB_N2at6native12_GLOBAL__N_19CustomSumEEEEE10hipError_tPvRmT0_T1_jT2_SS_T4_T3_P12ihipStream_tbEUlT_E_NS1_11comp_targetILNS1_3genE5ELNS1_11target_archE942ELNS1_3gpuE9ELNS1_3repE0EEENS1_30default_config_static_selectorELNS0_4arch9wavefront6targetE0EEEvSR_,comdat
	.globl	_ZN7rocprim17ROCPRIM_400000_NS6detail17trampoline_kernelINS0_14default_configENS1_32segmented_reduce_config_selectorIN3c108BFloat16EEEZNS1_21segmented_reduce_implIS3_PKS6_PS6_PKiS6_N6hipcub16HIPCUB_304000_NS6detail27convert_result_type_wrapperISA_SB_N2at6native12_GLOBAL__N_19CustomSumEEEEE10hipError_tPvRmT0_T1_jT2_SS_T4_T3_P12ihipStream_tbEUlT_E_NS1_11comp_targetILNS1_3genE5ELNS1_11target_archE942ELNS1_3gpuE9ELNS1_3repE0EEENS1_30default_config_static_selectorELNS0_4arch9wavefront6targetE0EEEvSR_ ; -- Begin function _ZN7rocprim17ROCPRIM_400000_NS6detail17trampoline_kernelINS0_14default_configENS1_32segmented_reduce_config_selectorIN3c108BFloat16EEEZNS1_21segmented_reduce_implIS3_PKS6_PS6_PKiS6_N6hipcub16HIPCUB_304000_NS6detail27convert_result_type_wrapperISA_SB_N2at6native12_GLOBAL__N_19CustomSumEEEEE10hipError_tPvRmT0_T1_jT2_SS_T4_T3_P12ihipStream_tbEUlT_E_NS1_11comp_targetILNS1_3genE5ELNS1_11target_archE942ELNS1_3gpuE9ELNS1_3repE0EEENS1_30default_config_static_selectorELNS0_4arch9wavefront6targetE0EEEvSR_
	.p2align	8
	.type	_ZN7rocprim17ROCPRIM_400000_NS6detail17trampoline_kernelINS0_14default_configENS1_32segmented_reduce_config_selectorIN3c108BFloat16EEEZNS1_21segmented_reduce_implIS3_PKS6_PS6_PKiS6_N6hipcub16HIPCUB_304000_NS6detail27convert_result_type_wrapperISA_SB_N2at6native12_GLOBAL__N_19CustomSumEEEEE10hipError_tPvRmT0_T1_jT2_SS_T4_T3_P12ihipStream_tbEUlT_E_NS1_11comp_targetILNS1_3genE5ELNS1_11target_archE942ELNS1_3gpuE9ELNS1_3repE0EEENS1_30default_config_static_selectorELNS0_4arch9wavefront6targetE0EEEvSR_,@function
_ZN7rocprim17ROCPRIM_400000_NS6detail17trampoline_kernelINS0_14default_configENS1_32segmented_reduce_config_selectorIN3c108BFloat16EEEZNS1_21segmented_reduce_implIS3_PKS6_PS6_PKiS6_N6hipcub16HIPCUB_304000_NS6detail27convert_result_type_wrapperISA_SB_N2at6native12_GLOBAL__N_19CustomSumEEEEE10hipError_tPvRmT0_T1_jT2_SS_T4_T3_P12ihipStream_tbEUlT_E_NS1_11comp_targetILNS1_3genE5ELNS1_11target_archE942ELNS1_3gpuE9ELNS1_3repE0EEENS1_30default_config_static_selectorELNS0_4arch9wavefront6targetE0EEEvSR_: ; @_ZN7rocprim17ROCPRIM_400000_NS6detail17trampoline_kernelINS0_14default_configENS1_32segmented_reduce_config_selectorIN3c108BFloat16EEEZNS1_21segmented_reduce_implIS3_PKS6_PS6_PKiS6_N6hipcub16HIPCUB_304000_NS6detail27convert_result_type_wrapperISA_SB_N2at6native12_GLOBAL__N_19CustomSumEEEEE10hipError_tPvRmT0_T1_jT2_SS_T4_T3_P12ihipStream_tbEUlT_E_NS1_11comp_targetILNS1_3genE5ELNS1_11target_archE942ELNS1_3gpuE9ELNS1_3repE0EEENS1_30default_config_static_selectorELNS0_4arch9wavefront6targetE0EEEvSR_
; %bb.0:
	.section	.rodata,"a",@progbits
	.p2align	6, 0x0
	.amdhsa_kernel _ZN7rocprim17ROCPRIM_400000_NS6detail17trampoline_kernelINS0_14default_configENS1_32segmented_reduce_config_selectorIN3c108BFloat16EEEZNS1_21segmented_reduce_implIS3_PKS6_PS6_PKiS6_N6hipcub16HIPCUB_304000_NS6detail27convert_result_type_wrapperISA_SB_N2at6native12_GLOBAL__N_19CustomSumEEEEE10hipError_tPvRmT0_T1_jT2_SS_T4_T3_P12ihipStream_tbEUlT_E_NS1_11comp_targetILNS1_3genE5ELNS1_11target_archE942ELNS1_3gpuE9ELNS1_3repE0EEENS1_30default_config_static_selectorELNS0_4arch9wavefront6targetE0EEEvSR_
		.amdhsa_group_segment_fixed_size 0
		.amdhsa_private_segment_fixed_size 0
		.amdhsa_kernarg_size 48
		.amdhsa_user_sgpr_count 15
		.amdhsa_user_sgpr_dispatch_ptr 0
		.amdhsa_user_sgpr_queue_ptr 0
		.amdhsa_user_sgpr_kernarg_segment_ptr 1
		.amdhsa_user_sgpr_dispatch_id 0
		.amdhsa_user_sgpr_private_segment_size 0
		.amdhsa_wavefront_size32 1
		.amdhsa_uses_dynamic_stack 0
		.amdhsa_enable_private_segment 0
		.amdhsa_system_sgpr_workgroup_id_x 1
		.amdhsa_system_sgpr_workgroup_id_y 0
		.amdhsa_system_sgpr_workgroup_id_z 0
		.amdhsa_system_sgpr_workgroup_info 0
		.amdhsa_system_vgpr_workitem_id 0
		.amdhsa_next_free_vgpr 1
		.amdhsa_next_free_sgpr 1
		.amdhsa_reserve_vcc 0
		.amdhsa_float_round_mode_32 0
		.amdhsa_float_round_mode_16_64 0
		.amdhsa_float_denorm_mode_32 3
		.amdhsa_float_denorm_mode_16_64 3
		.amdhsa_dx10_clamp 1
		.amdhsa_ieee_mode 1
		.amdhsa_fp16_overflow 0
		.amdhsa_workgroup_processor_mode 1
		.amdhsa_memory_ordered 1
		.amdhsa_forward_progress 0
		.amdhsa_shared_vgpr_count 0
		.amdhsa_exception_fp_ieee_invalid_op 0
		.amdhsa_exception_fp_denorm_src 0
		.amdhsa_exception_fp_ieee_div_zero 0
		.amdhsa_exception_fp_ieee_overflow 0
		.amdhsa_exception_fp_ieee_underflow 0
		.amdhsa_exception_fp_ieee_inexact 0
		.amdhsa_exception_int_div_zero 0
	.end_amdhsa_kernel
	.section	.text._ZN7rocprim17ROCPRIM_400000_NS6detail17trampoline_kernelINS0_14default_configENS1_32segmented_reduce_config_selectorIN3c108BFloat16EEEZNS1_21segmented_reduce_implIS3_PKS6_PS6_PKiS6_N6hipcub16HIPCUB_304000_NS6detail27convert_result_type_wrapperISA_SB_N2at6native12_GLOBAL__N_19CustomSumEEEEE10hipError_tPvRmT0_T1_jT2_SS_T4_T3_P12ihipStream_tbEUlT_E_NS1_11comp_targetILNS1_3genE5ELNS1_11target_archE942ELNS1_3gpuE9ELNS1_3repE0EEENS1_30default_config_static_selectorELNS0_4arch9wavefront6targetE0EEEvSR_,"axG",@progbits,_ZN7rocprim17ROCPRIM_400000_NS6detail17trampoline_kernelINS0_14default_configENS1_32segmented_reduce_config_selectorIN3c108BFloat16EEEZNS1_21segmented_reduce_implIS3_PKS6_PS6_PKiS6_N6hipcub16HIPCUB_304000_NS6detail27convert_result_type_wrapperISA_SB_N2at6native12_GLOBAL__N_19CustomSumEEEEE10hipError_tPvRmT0_T1_jT2_SS_T4_T3_P12ihipStream_tbEUlT_E_NS1_11comp_targetILNS1_3genE5ELNS1_11target_archE942ELNS1_3gpuE9ELNS1_3repE0EEENS1_30default_config_static_selectorELNS0_4arch9wavefront6targetE0EEEvSR_,comdat
.Lfunc_end120:
	.size	_ZN7rocprim17ROCPRIM_400000_NS6detail17trampoline_kernelINS0_14default_configENS1_32segmented_reduce_config_selectorIN3c108BFloat16EEEZNS1_21segmented_reduce_implIS3_PKS6_PS6_PKiS6_N6hipcub16HIPCUB_304000_NS6detail27convert_result_type_wrapperISA_SB_N2at6native12_GLOBAL__N_19CustomSumEEEEE10hipError_tPvRmT0_T1_jT2_SS_T4_T3_P12ihipStream_tbEUlT_E_NS1_11comp_targetILNS1_3genE5ELNS1_11target_archE942ELNS1_3gpuE9ELNS1_3repE0EEENS1_30default_config_static_selectorELNS0_4arch9wavefront6targetE0EEEvSR_, .Lfunc_end120-_ZN7rocprim17ROCPRIM_400000_NS6detail17trampoline_kernelINS0_14default_configENS1_32segmented_reduce_config_selectorIN3c108BFloat16EEEZNS1_21segmented_reduce_implIS3_PKS6_PS6_PKiS6_N6hipcub16HIPCUB_304000_NS6detail27convert_result_type_wrapperISA_SB_N2at6native12_GLOBAL__N_19CustomSumEEEEE10hipError_tPvRmT0_T1_jT2_SS_T4_T3_P12ihipStream_tbEUlT_E_NS1_11comp_targetILNS1_3genE5ELNS1_11target_archE942ELNS1_3gpuE9ELNS1_3repE0EEENS1_30default_config_static_selectorELNS0_4arch9wavefront6targetE0EEEvSR_
                                        ; -- End function
	.section	.AMDGPU.csdata,"",@progbits
; Kernel info:
; codeLenInByte = 0
; NumSgprs: 0
; NumVgprs: 0
; ScratchSize: 0
; MemoryBound: 0
; FloatMode: 240
; IeeeMode: 1
; LDSByteSize: 0 bytes/workgroup (compile time only)
; SGPRBlocks: 0
; VGPRBlocks: 0
; NumSGPRsForWavesPerEU: 1
; NumVGPRsForWavesPerEU: 1
; Occupancy: 16
; WaveLimiterHint : 0
; COMPUTE_PGM_RSRC2:SCRATCH_EN: 0
; COMPUTE_PGM_RSRC2:USER_SGPR: 15
; COMPUTE_PGM_RSRC2:TRAP_HANDLER: 0
; COMPUTE_PGM_RSRC2:TGID_X_EN: 1
; COMPUTE_PGM_RSRC2:TGID_Y_EN: 0
; COMPUTE_PGM_RSRC2:TGID_Z_EN: 0
; COMPUTE_PGM_RSRC2:TIDIG_COMP_CNT: 0
	.section	.text._ZN7rocprim17ROCPRIM_400000_NS6detail17trampoline_kernelINS0_14default_configENS1_32segmented_reduce_config_selectorIN3c108BFloat16EEEZNS1_21segmented_reduce_implIS3_PKS6_PS6_PKiS6_N6hipcub16HIPCUB_304000_NS6detail27convert_result_type_wrapperISA_SB_N2at6native12_GLOBAL__N_19CustomSumEEEEE10hipError_tPvRmT0_T1_jT2_SS_T4_T3_P12ihipStream_tbEUlT_E_NS1_11comp_targetILNS1_3genE10ELNS1_11target_archE1201ELNS1_3gpuE5ELNS1_3repE0EEENS1_30default_config_static_selectorELNS0_4arch9wavefront6targetE0EEEvSR_,"axG",@progbits,_ZN7rocprim17ROCPRIM_400000_NS6detail17trampoline_kernelINS0_14default_configENS1_32segmented_reduce_config_selectorIN3c108BFloat16EEEZNS1_21segmented_reduce_implIS3_PKS6_PS6_PKiS6_N6hipcub16HIPCUB_304000_NS6detail27convert_result_type_wrapperISA_SB_N2at6native12_GLOBAL__N_19CustomSumEEEEE10hipError_tPvRmT0_T1_jT2_SS_T4_T3_P12ihipStream_tbEUlT_E_NS1_11comp_targetILNS1_3genE10ELNS1_11target_archE1201ELNS1_3gpuE5ELNS1_3repE0EEENS1_30default_config_static_selectorELNS0_4arch9wavefront6targetE0EEEvSR_,comdat
	.globl	_ZN7rocprim17ROCPRIM_400000_NS6detail17trampoline_kernelINS0_14default_configENS1_32segmented_reduce_config_selectorIN3c108BFloat16EEEZNS1_21segmented_reduce_implIS3_PKS6_PS6_PKiS6_N6hipcub16HIPCUB_304000_NS6detail27convert_result_type_wrapperISA_SB_N2at6native12_GLOBAL__N_19CustomSumEEEEE10hipError_tPvRmT0_T1_jT2_SS_T4_T3_P12ihipStream_tbEUlT_E_NS1_11comp_targetILNS1_3genE10ELNS1_11target_archE1201ELNS1_3gpuE5ELNS1_3repE0EEENS1_30default_config_static_selectorELNS0_4arch9wavefront6targetE0EEEvSR_ ; -- Begin function _ZN7rocprim17ROCPRIM_400000_NS6detail17trampoline_kernelINS0_14default_configENS1_32segmented_reduce_config_selectorIN3c108BFloat16EEEZNS1_21segmented_reduce_implIS3_PKS6_PS6_PKiS6_N6hipcub16HIPCUB_304000_NS6detail27convert_result_type_wrapperISA_SB_N2at6native12_GLOBAL__N_19CustomSumEEEEE10hipError_tPvRmT0_T1_jT2_SS_T4_T3_P12ihipStream_tbEUlT_E_NS1_11comp_targetILNS1_3genE10ELNS1_11target_archE1201ELNS1_3gpuE5ELNS1_3repE0EEENS1_30default_config_static_selectorELNS0_4arch9wavefront6targetE0EEEvSR_
	.p2align	8
	.type	_ZN7rocprim17ROCPRIM_400000_NS6detail17trampoline_kernelINS0_14default_configENS1_32segmented_reduce_config_selectorIN3c108BFloat16EEEZNS1_21segmented_reduce_implIS3_PKS6_PS6_PKiS6_N6hipcub16HIPCUB_304000_NS6detail27convert_result_type_wrapperISA_SB_N2at6native12_GLOBAL__N_19CustomSumEEEEE10hipError_tPvRmT0_T1_jT2_SS_T4_T3_P12ihipStream_tbEUlT_E_NS1_11comp_targetILNS1_3genE10ELNS1_11target_archE1201ELNS1_3gpuE5ELNS1_3repE0EEENS1_30default_config_static_selectorELNS0_4arch9wavefront6targetE0EEEvSR_,@function
_ZN7rocprim17ROCPRIM_400000_NS6detail17trampoline_kernelINS0_14default_configENS1_32segmented_reduce_config_selectorIN3c108BFloat16EEEZNS1_21segmented_reduce_implIS3_PKS6_PS6_PKiS6_N6hipcub16HIPCUB_304000_NS6detail27convert_result_type_wrapperISA_SB_N2at6native12_GLOBAL__N_19CustomSumEEEEE10hipError_tPvRmT0_T1_jT2_SS_T4_T3_P12ihipStream_tbEUlT_E_NS1_11comp_targetILNS1_3genE10ELNS1_11target_archE1201ELNS1_3gpuE5ELNS1_3repE0EEENS1_30default_config_static_selectorELNS0_4arch9wavefront6targetE0EEEvSR_: ; @_ZN7rocprim17ROCPRIM_400000_NS6detail17trampoline_kernelINS0_14default_configENS1_32segmented_reduce_config_selectorIN3c108BFloat16EEEZNS1_21segmented_reduce_implIS3_PKS6_PS6_PKiS6_N6hipcub16HIPCUB_304000_NS6detail27convert_result_type_wrapperISA_SB_N2at6native12_GLOBAL__N_19CustomSumEEEEE10hipError_tPvRmT0_T1_jT2_SS_T4_T3_P12ihipStream_tbEUlT_E_NS1_11comp_targetILNS1_3genE10ELNS1_11target_archE1201ELNS1_3gpuE5ELNS1_3repE0EEENS1_30default_config_static_selectorELNS0_4arch9wavefront6targetE0EEEvSR_
; %bb.0:
	.section	.rodata,"a",@progbits
	.p2align	6, 0x0
	.amdhsa_kernel _ZN7rocprim17ROCPRIM_400000_NS6detail17trampoline_kernelINS0_14default_configENS1_32segmented_reduce_config_selectorIN3c108BFloat16EEEZNS1_21segmented_reduce_implIS3_PKS6_PS6_PKiS6_N6hipcub16HIPCUB_304000_NS6detail27convert_result_type_wrapperISA_SB_N2at6native12_GLOBAL__N_19CustomSumEEEEE10hipError_tPvRmT0_T1_jT2_SS_T4_T3_P12ihipStream_tbEUlT_E_NS1_11comp_targetILNS1_3genE10ELNS1_11target_archE1201ELNS1_3gpuE5ELNS1_3repE0EEENS1_30default_config_static_selectorELNS0_4arch9wavefront6targetE0EEEvSR_
		.amdhsa_group_segment_fixed_size 0
		.amdhsa_private_segment_fixed_size 0
		.amdhsa_kernarg_size 48
		.amdhsa_user_sgpr_count 15
		.amdhsa_user_sgpr_dispatch_ptr 0
		.amdhsa_user_sgpr_queue_ptr 0
		.amdhsa_user_sgpr_kernarg_segment_ptr 1
		.amdhsa_user_sgpr_dispatch_id 0
		.amdhsa_user_sgpr_private_segment_size 0
		.amdhsa_wavefront_size32 1
		.amdhsa_uses_dynamic_stack 0
		.amdhsa_enable_private_segment 0
		.amdhsa_system_sgpr_workgroup_id_x 1
		.amdhsa_system_sgpr_workgroup_id_y 0
		.amdhsa_system_sgpr_workgroup_id_z 0
		.amdhsa_system_sgpr_workgroup_info 0
		.amdhsa_system_vgpr_workitem_id 0
		.amdhsa_next_free_vgpr 1
		.amdhsa_next_free_sgpr 1
		.amdhsa_reserve_vcc 0
		.amdhsa_float_round_mode_32 0
		.amdhsa_float_round_mode_16_64 0
		.amdhsa_float_denorm_mode_32 3
		.amdhsa_float_denorm_mode_16_64 3
		.amdhsa_dx10_clamp 1
		.amdhsa_ieee_mode 1
		.amdhsa_fp16_overflow 0
		.amdhsa_workgroup_processor_mode 1
		.amdhsa_memory_ordered 1
		.amdhsa_forward_progress 0
		.amdhsa_shared_vgpr_count 0
		.amdhsa_exception_fp_ieee_invalid_op 0
		.amdhsa_exception_fp_denorm_src 0
		.amdhsa_exception_fp_ieee_div_zero 0
		.amdhsa_exception_fp_ieee_overflow 0
		.amdhsa_exception_fp_ieee_underflow 0
		.amdhsa_exception_fp_ieee_inexact 0
		.amdhsa_exception_int_div_zero 0
	.end_amdhsa_kernel
	.section	.text._ZN7rocprim17ROCPRIM_400000_NS6detail17trampoline_kernelINS0_14default_configENS1_32segmented_reduce_config_selectorIN3c108BFloat16EEEZNS1_21segmented_reduce_implIS3_PKS6_PS6_PKiS6_N6hipcub16HIPCUB_304000_NS6detail27convert_result_type_wrapperISA_SB_N2at6native12_GLOBAL__N_19CustomSumEEEEE10hipError_tPvRmT0_T1_jT2_SS_T4_T3_P12ihipStream_tbEUlT_E_NS1_11comp_targetILNS1_3genE10ELNS1_11target_archE1201ELNS1_3gpuE5ELNS1_3repE0EEENS1_30default_config_static_selectorELNS0_4arch9wavefront6targetE0EEEvSR_,"axG",@progbits,_ZN7rocprim17ROCPRIM_400000_NS6detail17trampoline_kernelINS0_14default_configENS1_32segmented_reduce_config_selectorIN3c108BFloat16EEEZNS1_21segmented_reduce_implIS3_PKS6_PS6_PKiS6_N6hipcub16HIPCUB_304000_NS6detail27convert_result_type_wrapperISA_SB_N2at6native12_GLOBAL__N_19CustomSumEEEEE10hipError_tPvRmT0_T1_jT2_SS_T4_T3_P12ihipStream_tbEUlT_E_NS1_11comp_targetILNS1_3genE10ELNS1_11target_archE1201ELNS1_3gpuE5ELNS1_3repE0EEENS1_30default_config_static_selectorELNS0_4arch9wavefront6targetE0EEEvSR_,comdat
.Lfunc_end121:
	.size	_ZN7rocprim17ROCPRIM_400000_NS6detail17trampoline_kernelINS0_14default_configENS1_32segmented_reduce_config_selectorIN3c108BFloat16EEEZNS1_21segmented_reduce_implIS3_PKS6_PS6_PKiS6_N6hipcub16HIPCUB_304000_NS6detail27convert_result_type_wrapperISA_SB_N2at6native12_GLOBAL__N_19CustomSumEEEEE10hipError_tPvRmT0_T1_jT2_SS_T4_T3_P12ihipStream_tbEUlT_E_NS1_11comp_targetILNS1_3genE10ELNS1_11target_archE1201ELNS1_3gpuE5ELNS1_3repE0EEENS1_30default_config_static_selectorELNS0_4arch9wavefront6targetE0EEEvSR_, .Lfunc_end121-_ZN7rocprim17ROCPRIM_400000_NS6detail17trampoline_kernelINS0_14default_configENS1_32segmented_reduce_config_selectorIN3c108BFloat16EEEZNS1_21segmented_reduce_implIS3_PKS6_PS6_PKiS6_N6hipcub16HIPCUB_304000_NS6detail27convert_result_type_wrapperISA_SB_N2at6native12_GLOBAL__N_19CustomSumEEEEE10hipError_tPvRmT0_T1_jT2_SS_T4_T3_P12ihipStream_tbEUlT_E_NS1_11comp_targetILNS1_3genE10ELNS1_11target_archE1201ELNS1_3gpuE5ELNS1_3repE0EEENS1_30default_config_static_selectorELNS0_4arch9wavefront6targetE0EEEvSR_
                                        ; -- End function
	.section	.AMDGPU.csdata,"",@progbits
; Kernel info:
; codeLenInByte = 0
; NumSgprs: 0
; NumVgprs: 0
; ScratchSize: 0
; MemoryBound: 0
; FloatMode: 240
; IeeeMode: 1
; LDSByteSize: 0 bytes/workgroup (compile time only)
; SGPRBlocks: 0
; VGPRBlocks: 0
; NumSGPRsForWavesPerEU: 1
; NumVGPRsForWavesPerEU: 1
; Occupancy: 16
; WaveLimiterHint : 0
; COMPUTE_PGM_RSRC2:SCRATCH_EN: 0
; COMPUTE_PGM_RSRC2:USER_SGPR: 15
; COMPUTE_PGM_RSRC2:TRAP_HANDLER: 0
; COMPUTE_PGM_RSRC2:TGID_X_EN: 1
; COMPUTE_PGM_RSRC2:TGID_Y_EN: 0
; COMPUTE_PGM_RSRC2:TGID_Z_EN: 0
; COMPUTE_PGM_RSRC2:TIDIG_COMP_CNT: 0
	.section	.text._ZN7rocprim17ROCPRIM_400000_NS6detail17trampoline_kernelINS0_14default_configENS1_32segmented_reduce_config_selectorIN3c108BFloat16EEEZNS1_21segmented_reduce_implIS3_PKS6_PS6_PKiS6_N6hipcub16HIPCUB_304000_NS6detail27convert_result_type_wrapperISA_SB_N2at6native12_GLOBAL__N_19CustomSumEEEEE10hipError_tPvRmT0_T1_jT2_SS_T4_T3_P12ihipStream_tbEUlT_E_NS1_11comp_targetILNS1_3genE4ELNS1_11target_archE910ELNS1_3gpuE8ELNS1_3repE0EEENS1_30default_config_static_selectorELNS0_4arch9wavefront6targetE0EEEvSR_,"axG",@progbits,_ZN7rocprim17ROCPRIM_400000_NS6detail17trampoline_kernelINS0_14default_configENS1_32segmented_reduce_config_selectorIN3c108BFloat16EEEZNS1_21segmented_reduce_implIS3_PKS6_PS6_PKiS6_N6hipcub16HIPCUB_304000_NS6detail27convert_result_type_wrapperISA_SB_N2at6native12_GLOBAL__N_19CustomSumEEEEE10hipError_tPvRmT0_T1_jT2_SS_T4_T3_P12ihipStream_tbEUlT_E_NS1_11comp_targetILNS1_3genE4ELNS1_11target_archE910ELNS1_3gpuE8ELNS1_3repE0EEENS1_30default_config_static_selectorELNS0_4arch9wavefront6targetE0EEEvSR_,comdat
	.globl	_ZN7rocprim17ROCPRIM_400000_NS6detail17trampoline_kernelINS0_14default_configENS1_32segmented_reduce_config_selectorIN3c108BFloat16EEEZNS1_21segmented_reduce_implIS3_PKS6_PS6_PKiS6_N6hipcub16HIPCUB_304000_NS6detail27convert_result_type_wrapperISA_SB_N2at6native12_GLOBAL__N_19CustomSumEEEEE10hipError_tPvRmT0_T1_jT2_SS_T4_T3_P12ihipStream_tbEUlT_E_NS1_11comp_targetILNS1_3genE4ELNS1_11target_archE910ELNS1_3gpuE8ELNS1_3repE0EEENS1_30default_config_static_selectorELNS0_4arch9wavefront6targetE0EEEvSR_ ; -- Begin function _ZN7rocprim17ROCPRIM_400000_NS6detail17trampoline_kernelINS0_14default_configENS1_32segmented_reduce_config_selectorIN3c108BFloat16EEEZNS1_21segmented_reduce_implIS3_PKS6_PS6_PKiS6_N6hipcub16HIPCUB_304000_NS6detail27convert_result_type_wrapperISA_SB_N2at6native12_GLOBAL__N_19CustomSumEEEEE10hipError_tPvRmT0_T1_jT2_SS_T4_T3_P12ihipStream_tbEUlT_E_NS1_11comp_targetILNS1_3genE4ELNS1_11target_archE910ELNS1_3gpuE8ELNS1_3repE0EEENS1_30default_config_static_selectorELNS0_4arch9wavefront6targetE0EEEvSR_
	.p2align	8
	.type	_ZN7rocprim17ROCPRIM_400000_NS6detail17trampoline_kernelINS0_14default_configENS1_32segmented_reduce_config_selectorIN3c108BFloat16EEEZNS1_21segmented_reduce_implIS3_PKS6_PS6_PKiS6_N6hipcub16HIPCUB_304000_NS6detail27convert_result_type_wrapperISA_SB_N2at6native12_GLOBAL__N_19CustomSumEEEEE10hipError_tPvRmT0_T1_jT2_SS_T4_T3_P12ihipStream_tbEUlT_E_NS1_11comp_targetILNS1_3genE4ELNS1_11target_archE910ELNS1_3gpuE8ELNS1_3repE0EEENS1_30default_config_static_selectorELNS0_4arch9wavefront6targetE0EEEvSR_,@function
_ZN7rocprim17ROCPRIM_400000_NS6detail17trampoline_kernelINS0_14default_configENS1_32segmented_reduce_config_selectorIN3c108BFloat16EEEZNS1_21segmented_reduce_implIS3_PKS6_PS6_PKiS6_N6hipcub16HIPCUB_304000_NS6detail27convert_result_type_wrapperISA_SB_N2at6native12_GLOBAL__N_19CustomSumEEEEE10hipError_tPvRmT0_T1_jT2_SS_T4_T3_P12ihipStream_tbEUlT_E_NS1_11comp_targetILNS1_3genE4ELNS1_11target_archE910ELNS1_3gpuE8ELNS1_3repE0EEENS1_30default_config_static_selectorELNS0_4arch9wavefront6targetE0EEEvSR_: ; @_ZN7rocprim17ROCPRIM_400000_NS6detail17trampoline_kernelINS0_14default_configENS1_32segmented_reduce_config_selectorIN3c108BFloat16EEEZNS1_21segmented_reduce_implIS3_PKS6_PS6_PKiS6_N6hipcub16HIPCUB_304000_NS6detail27convert_result_type_wrapperISA_SB_N2at6native12_GLOBAL__N_19CustomSumEEEEE10hipError_tPvRmT0_T1_jT2_SS_T4_T3_P12ihipStream_tbEUlT_E_NS1_11comp_targetILNS1_3genE4ELNS1_11target_archE910ELNS1_3gpuE8ELNS1_3repE0EEENS1_30default_config_static_selectorELNS0_4arch9wavefront6targetE0EEEvSR_
; %bb.0:
	.section	.rodata,"a",@progbits
	.p2align	6, 0x0
	.amdhsa_kernel _ZN7rocprim17ROCPRIM_400000_NS6detail17trampoline_kernelINS0_14default_configENS1_32segmented_reduce_config_selectorIN3c108BFloat16EEEZNS1_21segmented_reduce_implIS3_PKS6_PS6_PKiS6_N6hipcub16HIPCUB_304000_NS6detail27convert_result_type_wrapperISA_SB_N2at6native12_GLOBAL__N_19CustomSumEEEEE10hipError_tPvRmT0_T1_jT2_SS_T4_T3_P12ihipStream_tbEUlT_E_NS1_11comp_targetILNS1_3genE4ELNS1_11target_archE910ELNS1_3gpuE8ELNS1_3repE0EEENS1_30default_config_static_selectorELNS0_4arch9wavefront6targetE0EEEvSR_
		.amdhsa_group_segment_fixed_size 0
		.amdhsa_private_segment_fixed_size 0
		.amdhsa_kernarg_size 48
		.amdhsa_user_sgpr_count 15
		.amdhsa_user_sgpr_dispatch_ptr 0
		.amdhsa_user_sgpr_queue_ptr 0
		.amdhsa_user_sgpr_kernarg_segment_ptr 1
		.amdhsa_user_sgpr_dispatch_id 0
		.amdhsa_user_sgpr_private_segment_size 0
		.amdhsa_wavefront_size32 1
		.amdhsa_uses_dynamic_stack 0
		.amdhsa_enable_private_segment 0
		.amdhsa_system_sgpr_workgroup_id_x 1
		.amdhsa_system_sgpr_workgroup_id_y 0
		.amdhsa_system_sgpr_workgroup_id_z 0
		.amdhsa_system_sgpr_workgroup_info 0
		.amdhsa_system_vgpr_workitem_id 0
		.amdhsa_next_free_vgpr 1
		.amdhsa_next_free_sgpr 1
		.amdhsa_reserve_vcc 0
		.amdhsa_float_round_mode_32 0
		.amdhsa_float_round_mode_16_64 0
		.amdhsa_float_denorm_mode_32 3
		.amdhsa_float_denorm_mode_16_64 3
		.amdhsa_dx10_clamp 1
		.amdhsa_ieee_mode 1
		.amdhsa_fp16_overflow 0
		.amdhsa_workgroup_processor_mode 1
		.amdhsa_memory_ordered 1
		.amdhsa_forward_progress 0
		.amdhsa_shared_vgpr_count 0
		.amdhsa_exception_fp_ieee_invalid_op 0
		.amdhsa_exception_fp_denorm_src 0
		.amdhsa_exception_fp_ieee_div_zero 0
		.amdhsa_exception_fp_ieee_overflow 0
		.amdhsa_exception_fp_ieee_underflow 0
		.amdhsa_exception_fp_ieee_inexact 0
		.amdhsa_exception_int_div_zero 0
	.end_amdhsa_kernel
	.section	.text._ZN7rocprim17ROCPRIM_400000_NS6detail17trampoline_kernelINS0_14default_configENS1_32segmented_reduce_config_selectorIN3c108BFloat16EEEZNS1_21segmented_reduce_implIS3_PKS6_PS6_PKiS6_N6hipcub16HIPCUB_304000_NS6detail27convert_result_type_wrapperISA_SB_N2at6native12_GLOBAL__N_19CustomSumEEEEE10hipError_tPvRmT0_T1_jT2_SS_T4_T3_P12ihipStream_tbEUlT_E_NS1_11comp_targetILNS1_3genE4ELNS1_11target_archE910ELNS1_3gpuE8ELNS1_3repE0EEENS1_30default_config_static_selectorELNS0_4arch9wavefront6targetE0EEEvSR_,"axG",@progbits,_ZN7rocprim17ROCPRIM_400000_NS6detail17trampoline_kernelINS0_14default_configENS1_32segmented_reduce_config_selectorIN3c108BFloat16EEEZNS1_21segmented_reduce_implIS3_PKS6_PS6_PKiS6_N6hipcub16HIPCUB_304000_NS6detail27convert_result_type_wrapperISA_SB_N2at6native12_GLOBAL__N_19CustomSumEEEEE10hipError_tPvRmT0_T1_jT2_SS_T4_T3_P12ihipStream_tbEUlT_E_NS1_11comp_targetILNS1_3genE4ELNS1_11target_archE910ELNS1_3gpuE8ELNS1_3repE0EEENS1_30default_config_static_selectorELNS0_4arch9wavefront6targetE0EEEvSR_,comdat
.Lfunc_end122:
	.size	_ZN7rocprim17ROCPRIM_400000_NS6detail17trampoline_kernelINS0_14default_configENS1_32segmented_reduce_config_selectorIN3c108BFloat16EEEZNS1_21segmented_reduce_implIS3_PKS6_PS6_PKiS6_N6hipcub16HIPCUB_304000_NS6detail27convert_result_type_wrapperISA_SB_N2at6native12_GLOBAL__N_19CustomSumEEEEE10hipError_tPvRmT0_T1_jT2_SS_T4_T3_P12ihipStream_tbEUlT_E_NS1_11comp_targetILNS1_3genE4ELNS1_11target_archE910ELNS1_3gpuE8ELNS1_3repE0EEENS1_30default_config_static_selectorELNS0_4arch9wavefront6targetE0EEEvSR_, .Lfunc_end122-_ZN7rocprim17ROCPRIM_400000_NS6detail17trampoline_kernelINS0_14default_configENS1_32segmented_reduce_config_selectorIN3c108BFloat16EEEZNS1_21segmented_reduce_implIS3_PKS6_PS6_PKiS6_N6hipcub16HIPCUB_304000_NS6detail27convert_result_type_wrapperISA_SB_N2at6native12_GLOBAL__N_19CustomSumEEEEE10hipError_tPvRmT0_T1_jT2_SS_T4_T3_P12ihipStream_tbEUlT_E_NS1_11comp_targetILNS1_3genE4ELNS1_11target_archE910ELNS1_3gpuE8ELNS1_3repE0EEENS1_30default_config_static_selectorELNS0_4arch9wavefront6targetE0EEEvSR_
                                        ; -- End function
	.section	.AMDGPU.csdata,"",@progbits
; Kernel info:
; codeLenInByte = 0
; NumSgprs: 0
; NumVgprs: 0
; ScratchSize: 0
; MemoryBound: 0
; FloatMode: 240
; IeeeMode: 1
; LDSByteSize: 0 bytes/workgroup (compile time only)
; SGPRBlocks: 0
; VGPRBlocks: 0
; NumSGPRsForWavesPerEU: 1
; NumVGPRsForWavesPerEU: 1
; Occupancy: 16
; WaveLimiterHint : 0
; COMPUTE_PGM_RSRC2:SCRATCH_EN: 0
; COMPUTE_PGM_RSRC2:USER_SGPR: 15
; COMPUTE_PGM_RSRC2:TRAP_HANDLER: 0
; COMPUTE_PGM_RSRC2:TGID_X_EN: 1
; COMPUTE_PGM_RSRC2:TGID_Y_EN: 0
; COMPUTE_PGM_RSRC2:TGID_Z_EN: 0
; COMPUTE_PGM_RSRC2:TIDIG_COMP_CNT: 0
	.section	.text._ZN7rocprim17ROCPRIM_400000_NS6detail17trampoline_kernelINS0_14default_configENS1_32segmented_reduce_config_selectorIN3c108BFloat16EEEZNS1_21segmented_reduce_implIS3_PKS6_PS6_PKiS6_N6hipcub16HIPCUB_304000_NS6detail27convert_result_type_wrapperISA_SB_N2at6native12_GLOBAL__N_19CustomSumEEEEE10hipError_tPvRmT0_T1_jT2_SS_T4_T3_P12ihipStream_tbEUlT_E_NS1_11comp_targetILNS1_3genE3ELNS1_11target_archE908ELNS1_3gpuE7ELNS1_3repE0EEENS1_30default_config_static_selectorELNS0_4arch9wavefront6targetE0EEEvSR_,"axG",@progbits,_ZN7rocprim17ROCPRIM_400000_NS6detail17trampoline_kernelINS0_14default_configENS1_32segmented_reduce_config_selectorIN3c108BFloat16EEEZNS1_21segmented_reduce_implIS3_PKS6_PS6_PKiS6_N6hipcub16HIPCUB_304000_NS6detail27convert_result_type_wrapperISA_SB_N2at6native12_GLOBAL__N_19CustomSumEEEEE10hipError_tPvRmT0_T1_jT2_SS_T4_T3_P12ihipStream_tbEUlT_E_NS1_11comp_targetILNS1_3genE3ELNS1_11target_archE908ELNS1_3gpuE7ELNS1_3repE0EEENS1_30default_config_static_selectorELNS0_4arch9wavefront6targetE0EEEvSR_,comdat
	.globl	_ZN7rocprim17ROCPRIM_400000_NS6detail17trampoline_kernelINS0_14default_configENS1_32segmented_reduce_config_selectorIN3c108BFloat16EEEZNS1_21segmented_reduce_implIS3_PKS6_PS6_PKiS6_N6hipcub16HIPCUB_304000_NS6detail27convert_result_type_wrapperISA_SB_N2at6native12_GLOBAL__N_19CustomSumEEEEE10hipError_tPvRmT0_T1_jT2_SS_T4_T3_P12ihipStream_tbEUlT_E_NS1_11comp_targetILNS1_3genE3ELNS1_11target_archE908ELNS1_3gpuE7ELNS1_3repE0EEENS1_30default_config_static_selectorELNS0_4arch9wavefront6targetE0EEEvSR_ ; -- Begin function _ZN7rocprim17ROCPRIM_400000_NS6detail17trampoline_kernelINS0_14default_configENS1_32segmented_reduce_config_selectorIN3c108BFloat16EEEZNS1_21segmented_reduce_implIS3_PKS6_PS6_PKiS6_N6hipcub16HIPCUB_304000_NS6detail27convert_result_type_wrapperISA_SB_N2at6native12_GLOBAL__N_19CustomSumEEEEE10hipError_tPvRmT0_T1_jT2_SS_T4_T3_P12ihipStream_tbEUlT_E_NS1_11comp_targetILNS1_3genE3ELNS1_11target_archE908ELNS1_3gpuE7ELNS1_3repE0EEENS1_30default_config_static_selectorELNS0_4arch9wavefront6targetE0EEEvSR_
	.p2align	8
	.type	_ZN7rocprim17ROCPRIM_400000_NS6detail17trampoline_kernelINS0_14default_configENS1_32segmented_reduce_config_selectorIN3c108BFloat16EEEZNS1_21segmented_reduce_implIS3_PKS6_PS6_PKiS6_N6hipcub16HIPCUB_304000_NS6detail27convert_result_type_wrapperISA_SB_N2at6native12_GLOBAL__N_19CustomSumEEEEE10hipError_tPvRmT0_T1_jT2_SS_T4_T3_P12ihipStream_tbEUlT_E_NS1_11comp_targetILNS1_3genE3ELNS1_11target_archE908ELNS1_3gpuE7ELNS1_3repE0EEENS1_30default_config_static_selectorELNS0_4arch9wavefront6targetE0EEEvSR_,@function
_ZN7rocprim17ROCPRIM_400000_NS6detail17trampoline_kernelINS0_14default_configENS1_32segmented_reduce_config_selectorIN3c108BFloat16EEEZNS1_21segmented_reduce_implIS3_PKS6_PS6_PKiS6_N6hipcub16HIPCUB_304000_NS6detail27convert_result_type_wrapperISA_SB_N2at6native12_GLOBAL__N_19CustomSumEEEEE10hipError_tPvRmT0_T1_jT2_SS_T4_T3_P12ihipStream_tbEUlT_E_NS1_11comp_targetILNS1_3genE3ELNS1_11target_archE908ELNS1_3gpuE7ELNS1_3repE0EEENS1_30default_config_static_selectorELNS0_4arch9wavefront6targetE0EEEvSR_: ; @_ZN7rocprim17ROCPRIM_400000_NS6detail17trampoline_kernelINS0_14default_configENS1_32segmented_reduce_config_selectorIN3c108BFloat16EEEZNS1_21segmented_reduce_implIS3_PKS6_PS6_PKiS6_N6hipcub16HIPCUB_304000_NS6detail27convert_result_type_wrapperISA_SB_N2at6native12_GLOBAL__N_19CustomSumEEEEE10hipError_tPvRmT0_T1_jT2_SS_T4_T3_P12ihipStream_tbEUlT_E_NS1_11comp_targetILNS1_3genE3ELNS1_11target_archE908ELNS1_3gpuE7ELNS1_3repE0EEENS1_30default_config_static_selectorELNS0_4arch9wavefront6targetE0EEEvSR_
; %bb.0:
	.section	.rodata,"a",@progbits
	.p2align	6, 0x0
	.amdhsa_kernel _ZN7rocprim17ROCPRIM_400000_NS6detail17trampoline_kernelINS0_14default_configENS1_32segmented_reduce_config_selectorIN3c108BFloat16EEEZNS1_21segmented_reduce_implIS3_PKS6_PS6_PKiS6_N6hipcub16HIPCUB_304000_NS6detail27convert_result_type_wrapperISA_SB_N2at6native12_GLOBAL__N_19CustomSumEEEEE10hipError_tPvRmT0_T1_jT2_SS_T4_T3_P12ihipStream_tbEUlT_E_NS1_11comp_targetILNS1_3genE3ELNS1_11target_archE908ELNS1_3gpuE7ELNS1_3repE0EEENS1_30default_config_static_selectorELNS0_4arch9wavefront6targetE0EEEvSR_
		.amdhsa_group_segment_fixed_size 0
		.amdhsa_private_segment_fixed_size 0
		.amdhsa_kernarg_size 48
		.amdhsa_user_sgpr_count 15
		.amdhsa_user_sgpr_dispatch_ptr 0
		.amdhsa_user_sgpr_queue_ptr 0
		.amdhsa_user_sgpr_kernarg_segment_ptr 1
		.amdhsa_user_sgpr_dispatch_id 0
		.amdhsa_user_sgpr_private_segment_size 0
		.amdhsa_wavefront_size32 1
		.amdhsa_uses_dynamic_stack 0
		.amdhsa_enable_private_segment 0
		.amdhsa_system_sgpr_workgroup_id_x 1
		.amdhsa_system_sgpr_workgroup_id_y 0
		.amdhsa_system_sgpr_workgroup_id_z 0
		.amdhsa_system_sgpr_workgroup_info 0
		.amdhsa_system_vgpr_workitem_id 0
		.amdhsa_next_free_vgpr 1
		.amdhsa_next_free_sgpr 1
		.amdhsa_reserve_vcc 0
		.amdhsa_float_round_mode_32 0
		.amdhsa_float_round_mode_16_64 0
		.amdhsa_float_denorm_mode_32 3
		.amdhsa_float_denorm_mode_16_64 3
		.amdhsa_dx10_clamp 1
		.amdhsa_ieee_mode 1
		.amdhsa_fp16_overflow 0
		.amdhsa_workgroup_processor_mode 1
		.amdhsa_memory_ordered 1
		.amdhsa_forward_progress 0
		.amdhsa_shared_vgpr_count 0
		.amdhsa_exception_fp_ieee_invalid_op 0
		.amdhsa_exception_fp_denorm_src 0
		.amdhsa_exception_fp_ieee_div_zero 0
		.amdhsa_exception_fp_ieee_overflow 0
		.amdhsa_exception_fp_ieee_underflow 0
		.amdhsa_exception_fp_ieee_inexact 0
		.amdhsa_exception_int_div_zero 0
	.end_amdhsa_kernel
	.section	.text._ZN7rocprim17ROCPRIM_400000_NS6detail17trampoline_kernelINS0_14default_configENS1_32segmented_reduce_config_selectorIN3c108BFloat16EEEZNS1_21segmented_reduce_implIS3_PKS6_PS6_PKiS6_N6hipcub16HIPCUB_304000_NS6detail27convert_result_type_wrapperISA_SB_N2at6native12_GLOBAL__N_19CustomSumEEEEE10hipError_tPvRmT0_T1_jT2_SS_T4_T3_P12ihipStream_tbEUlT_E_NS1_11comp_targetILNS1_3genE3ELNS1_11target_archE908ELNS1_3gpuE7ELNS1_3repE0EEENS1_30default_config_static_selectorELNS0_4arch9wavefront6targetE0EEEvSR_,"axG",@progbits,_ZN7rocprim17ROCPRIM_400000_NS6detail17trampoline_kernelINS0_14default_configENS1_32segmented_reduce_config_selectorIN3c108BFloat16EEEZNS1_21segmented_reduce_implIS3_PKS6_PS6_PKiS6_N6hipcub16HIPCUB_304000_NS6detail27convert_result_type_wrapperISA_SB_N2at6native12_GLOBAL__N_19CustomSumEEEEE10hipError_tPvRmT0_T1_jT2_SS_T4_T3_P12ihipStream_tbEUlT_E_NS1_11comp_targetILNS1_3genE3ELNS1_11target_archE908ELNS1_3gpuE7ELNS1_3repE0EEENS1_30default_config_static_selectorELNS0_4arch9wavefront6targetE0EEEvSR_,comdat
.Lfunc_end123:
	.size	_ZN7rocprim17ROCPRIM_400000_NS6detail17trampoline_kernelINS0_14default_configENS1_32segmented_reduce_config_selectorIN3c108BFloat16EEEZNS1_21segmented_reduce_implIS3_PKS6_PS6_PKiS6_N6hipcub16HIPCUB_304000_NS6detail27convert_result_type_wrapperISA_SB_N2at6native12_GLOBAL__N_19CustomSumEEEEE10hipError_tPvRmT0_T1_jT2_SS_T4_T3_P12ihipStream_tbEUlT_E_NS1_11comp_targetILNS1_3genE3ELNS1_11target_archE908ELNS1_3gpuE7ELNS1_3repE0EEENS1_30default_config_static_selectorELNS0_4arch9wavefront6targetE0EEEvSR_, .Lfunc_end123-_ZN7rocprim17ROCPRIM_400000_NS6detail17trampoline_kernelINS0_14default_configENS1_32segmented_reduce_config_selectorIN3c108BFloat16EEEZNS1_21segmented_reduce_implIS3_PKS6_PS6_PKiS6_N6hipcub16HIPCUB_304000_NS6detail27convert_result_type_wrapperISA_SB_N2at6native12_GLOBAL__N_19CustomSumEEEEE10hipError_tPvRmT0_T1_jT2_SS_T4_T3_P12ihipStream_tbEUlT_E_NS1_11comp_targetILNS1_3genE3ELNS1_11target_archE908ELNS1_3gpuE7ELNS1_3repE0EEENS1_30default_config_static_selectorELNS0_4arch9wavefront6targetE0EEEvSR_
                                        ; -- End function
	.section	.AMDGPU.csdata,"",@progbits
; Kernel info:
; codeLenInByte = 0
; NumSgprs: 0
; NumVgprs: 0
; ScratchSize: 0
; MemoryBound: 0
; FloatMode: 240
; IeeeMode: 1
; LDSByteSize: 0 bytes/workgroup (compile time only)
; SGPRBlocks: 0
; VGPRBlocks: 0
; NumSGPRsForWavesPerEU: 1
; NumVGPRsForWavesPerEU: 1
; Occupancy: 16
; WaveLimiterHint : 0
; COMPUTE_PGM_RSRC2:SCRATCH_EN: 0
; COMPUTE_PGM_RSRC2:USER_SGPR: 15
; COMPUTE_PGM_RSRC2:TRAP_HANDLER: 0
; COMPUTE_PGM_RSRC2:TGID_X_EN: 1
; COMPUTE_PGM_RSRC2:TGID_Y_EN: 0
; COMPUTE_PGM_RSRC2:TGID_Z_EN: 0
; COMPUTE_PGM_RSRC2:TIDIG_COMP_CNT: 0
	.section	.text._ZN7rocprim17ROCPRIM_400000_NS6detail17trampoline_kernelINS0_14default_configENS1_32segmented_reduce_config_selectorIN3c108BFloat16EEEZNS1_21segmented_reduce_implIS3_PKS6_PS6_PKiS6_N6hipcub16HIPCUB_304000_NS6detail27convert_result_type_wrapperISA_SB_N2at6native12_GLOBAL__N_19CustomSumEEEEE10hipError_tPvRmT0_T1_jT2_SS_T4_T3_P12ihipStream_tbEUlT_E_NS1_11comp_targetILNS1_3genE2ELNS1_11target_archE906ELNS1_3gpuE6ELNS1_3repE0EEENS1_30default_config_static_selectorELNS0_4arch9wavefront6targetE0EEEvSR_,"axG",@progbits,_ZN7rocprim17ROCPRIM_400000_NS6detail17trampoline_kernelINS0_14default_configENS1_32segmented_reduce_config_selectorIN3c108BFloat16EEEZNS1_21segmented_reduce_implIS3_PKS6_PS6_PKiS6_N6hipcub16HIPCUB_304000_NS6detail27convert_result_type_wrapperISA_SB_N2at6native12_GLOBAL__N_19CustomSumEEEEE10hipError_tPvRmT0_T1_jT2_SS_T4_T3_P12ihipStream_tbEUlT_E_NS1_11comp_targetILNS1_3genE2ELNS1_11target_archE906ELNS1_3gpuE6ELNS1_3repE0EEENS1_30default_config_static_selectorELNS0_4arch9wavefront6targetE0EEEvSR_,comdat
	.globl	_ZN7rocprim17ROCPRIM_400000_NS6detail17trampoline_kernelINS0_14default_configENS1_32segmented_reduce_config_selectorIN3c108BFloat16EEEZNS1_21segmented_reduce_implIS3_PKS6_PS6_PKiS6_N6hipcub16HIPCUB_304000_NS6detail27convert_result_type_wrapperISA_SB_N2at6native12_GLOBAL__N_19CustomSumEEEEE10hipError_tPvRmT0_T1_jT2_SS_T4_T3_P12ihipStream_tbEUlT_E_NS1_11comp_targetILNS1_3genE2ELNS1_11target_archE906ELNS1_3gpuE6ELNS1_3repE0EEENS1_30default_config_static_selectorELNS0_4arch9wavefront6targetE0EEEvSR_ ; -- Begin function _ZN7rocprim17ROCPRIM_400000_NS6detail17trampoline_kernelINS0_14default_configENS1_32segmented_reduce_config_selectorIN3c108BFloat16EEEZNS1_21segmented_reduce_implIS3_PKS6_PS6_PKiS6_N6hipcub16HIPCUB_304000_NS6detail27convert_result_type_wrapperISA_SB_N2at6native12_GLOBAL__N_19CustomSumEEEEE10hipError_tPvRmT0_T1_jT2_SS_T4_T3_P12ihipStream_tbEUlT_E_NS1_11comp_targetILNS1_3genE2ELNS1_11target_archE906ELNS1_3gpuE6ELNS1_3repE0EEENS1_30default_config_static_selectorELNS0_4arch9wavefront6targetE0EEEvSR_
	.p2align	8
	.type	_ZN7rocprim17ROCPRIM_400000_NS6detail17trampoline_kernelINS0_14default_configENS1_32segmented_reduce_config_selectorIN3c108BFloat16EEEZNS1_21segmented_reduce_implIS3_PKS6_PS6_PKiS6_N6hipcub16HIPCUB_304000_NS6detail27convert_result_type_wrapperISA_SB_N2at6native12_GLOBAL__N_19CustomSumEEEEE10hipError_tPvRmT0_T1_jT2_SS_T4_T3_P12ihipStream_tbEUlT_E_NS1_11comp_targetILNS1_3genE2ELNS1_11target_archE906ELNS1_3gpuE6ELNS1_3repE0EEENS1_30default_config_static_selectorELNS0_4arch9wavefront6targetE0EEEvSR_,@function
_ZN7rocprim17ROCPRIM_400000_NS6detail17trampoline_kernelINS0_14default_configENS1_32segmented_reduce_config_selectorIN3c108BFloat16EEEZNS1_21segmented_reduce_implIS3_PKS6_PS6_PKiS6_N6hipcub16HIPCUB_304000_NS6detail27convert_result_type_wrapperISA_SB_N2at6native12_GLOBAL__N_19CustomSumEEEEE10hipError_tPvRmT0_T1_jT2_SS_T4_T3_P12ihipStream_tbEUlT_E_NS1_11comp_targetILNS1_3genE2ELNS1_11target_archE906ELNS1_3gpuE6ELNS1_3repE0EEENS1_30default_config_static_selectorELNS0_4arch9wavefront6targetE0EEEvSR_: ; @_ZN7rocprim17ROCPRIM_400000_NS6detail17trampoline_kernelINS0_14default_configENS1_32segmented_reduce_config_selectorIN3c108BFloat16EEEZNS1_21segmented_reduce_implIS3_PKS6_PS6_PKiS6_N6hipcub16HIPCUB_304000_NS6detail27convert_result_type_wrapperISA_SB_N2at6native12_GLOBAL__N_19CustomSumEEEEE10hipError_tPvRmT0_T1_jT2_SS_T4_T3_P12ihipStream_tbEUlT_E_NS1_11comp_targetILNS1_3genE2ELNS1_11target_archE906ELNS1_3gpuE6ELNS1_3repE0EEENS1_30default_config_static_selectorELNS0_4arch9wavefront6targetE0EEEvSR_
; %bb.0:
	.section	.rodata,"a",@progbits
	.p2align	6, 0x0
	.amdhsa_kernel _ZN7rocprim17ROCPRIM_400000_NS6detail17trampoline_kernelINS0_14default_configENS1_32segmented_reduce_config_selectorIN3c108BFloat16EEEZNS1_21segmented_reduce_implIS3_PKS6_PS6_PKiS6_N6hipcub16HIPCUB_304000_NS6detail27convert_result_type_wrapperISA_SB_N2at6native12_GLOBAL__N_19CustomSumEEEEE10hipError_tPvRmT0_T1_jT2_SS_T4_T3_P12ihipStream_tbEUlT_E_NS1_11comp_targetILNS1_3genE2ELNS1_11target_archE906ELNS1_3gpuE6ELNS1_3repE0EEENS1_30default_config_static_selectorELNS0_4arch9wavefront6targetE0EEEvSR_
		.amdhsa_group_segment_fixed_size 0
		.amdhsa_private_segment_fixed_size 0
		.amdhsa_kernarg_size 48
		.amdhsa_user_sgpr_count 15
		.amdhsa_user_sgpr_dispatch_ptr 0
		.amdhsa_user_sgpr_queue_ptr 0
		.amdhsa_user_sgpr_kernarg_segment_ptr 1
		.amdhsa_user_sgpr_dispatch_id 0
		.amdhsa_user_sgpr_private_segment_size 0
		.amdhsa_wavefront_size32 1
		.amdhsa_uses_dynamic_stack 0
		.amdhsa_enable_private_segment 0
		.amdhsa_system_sgpr_workgroup_id_x 1
		.amdhsa_system_sgpr_workgroup_id_y 0
		.amdhsa_system_sgpr_workgroup_id_z 0
		.amdhsa_system_sgpr_workgroup_info 0
		.amdhsa_system_vgpr_workitem_id 0
		.amdhsa_next_free_vgpr 1
		.amdhsa_next_free_sgpr 1
		.amdhsa_reserve_vcc 0
		.amdhsa_float_round_mode_32 0
		.amdhsa_float_round_mode_16_64 0
		.amdhsa_float_denorm_mode_32 3
		.amdhsa_float_denorm_mode_16_64 3
		.amdhsa_dx10_clamp 1
		.amdhsa_ieee_mode 1
		.amdhsa_fp16_overflow 0
		.amdhsa_workgroup_processor_mode 1
		.amdhsa_memory_ordered 1
		.amdhsa_forward_progress 0
		.amdhsa_shared_vgpr_count 0
		.amdhsa_exception_fp_ieee_invalid_op 0
		.amdhsa_exception_fp_denorm_src 0
		.amdhsa_exception_fp_ieee_div_zero 0
		.amdhsa_exception_fp_ieee_overflow 0
		.amdhsa_exception_fp_ieee_underflow 0
		.amdhsa_exception_fp_ieee_inexact 0
		.amdhsa_exception_int_div_zero 0
	.end_amdhsa_kernel
	.section	.text._ZN7rocprim17ROCPRIM_400000_NS6detail17trampoline_kernelINS0_14default_configENS1_32segmented_reduce_config_selectorIN3c108BFloat16EEEZNS1_21segmented_reduce_implIS3_PKS6_PS6_PKiS6_N6hipcub16HIPCUB_304000_NS6detail27convert_result_type_wrapperISA_SB_N2at6native12_GLOBAL__N_19CustomSumEEEEE10hipError_tPvRmT0_T1_jT2_SS_T4_T3_P12ihipStream_tbEUlT_E_NS1_11comp_targetILNS1_3genE2ELNS1_11target_archE906ELNS1_3gpuE6ELNS1_3repE0EEENS1_30default_config_static_selectorELNS0_4arch9wavefront6targetE0EEEvSR_,"axG",@progbits,_ZN7rocprim17ROCPRIM_400000_NS6detail17trampoline_kernelINS0_14default_configENS1_32segmented_reduce_config_selectorIN3c108BFloat16EEEZNS1_21segmented_reduce_implIS3_PKS6_PS6_PKiS6_N6hipcub16HIPCUB_304000_NS6detail27convert_result_type_wrapperISA_SB_N2at6native12_GLOBAL__N_19CustomSumEEEEE10hipError_tPvRmT0_T1_jT2_SS_T4_T3_P12ihipStream_tbEUlT_E_NS1_11comp_targetILNS1_3genE2ELNS1_11target_archE906ELNS1_3gpuE6ELNS1_3repE0EEENS1_30default_config_static_selectorELNS0_4arch9wavefront6targetE0EEEvSR_,comdat
.Lfunc_end124:
	.size	_ZN7rocprim17ROCPRIM_400000_NS6detail17trampoline_kernelINS0_14default_configENS1_32segmented_reduce_config_selectorIN3c108BFloat16EEEZNS1_21segmented_reduce_implIS3_PKS6_PS6_PKiS6_N6hipcub16HIPCUB_304000_NS6detail27convert_result_type_wrapperISA_SB_N2at6native12_GLOBAL__N_19CustomSumEEEEE10hipError_tPvRmT0_T1_jT2_SS_T4_T3_P12ihipStream_tbEUlT_E_NS1_11comp_targetILNS1_3genE2ELNS1_11target_archE906ELNS1_3gpuE6ELNS1_3repE0EEENS1_30default_config_static_selectorELNS0_4arch9wavefront6targetE0EEEvSR_, .Lfunc_end124-_ZN7rocprim17ROCPRIM_400000_NS6detail17trampoline_kernelINS0_14default_configENS1_32segmented_reduce_config_selectorIN3c108BFloat16EEEZNS1_21segmented_reduce_implIS3_PKS6_PS6_PKiS6_N6hipcub16HIPCUB_304000_NS6detail27convert_result_type_wrapperISA_SB_N2at6native12_GLOBAL__N_19CustomSumEEEEE10hipError_tPvRmT0_T1_jT2_SS_T4_T3_P12ihipStream_tbEUlT_E_NS1_11comp_targetILNS1_3genE2ELNS1_11target_archE906ELNS1_3gpuE6ELNS1_3repE0EEENS1_30default_config_static_selectorELNS0_4arch9wavefront6targetE0EEEvSR_
                                        ; -- End function
	.section	.AMDGPU.csdata,"",@progbits
; Kernel info:
; codeLenInByte = 0
; NumSgprs: 0
; NumVgprs: 0
; ScratchSize: 0
; MemoryBound: 0
; FloatMode: 240
; IeeeMode: 1
; LDSByteSize: 0 bytes/workgroup (compile time only)
; SGPRBlocks: 0
; VGPRBlocks: 0
; NumSGPRsForWavesPerEU: 1
; NumVGPRsForWavesPerEU: 1
; Occupancy: 16
; WaveLimiterHint : 0
; COMPUTE_PGM_RSRC2:SCRATCH_EN: 0
; COMPUTE_PGM_RSRC2:USER_SGPR: 15
; COMPUTE_PGM_RSRC2:TRAP_HANDLER: 0
; COMPUTE_PGM_RSRC2:TGID_X_EN: 1
; COMPUTE_PGM_RSRC2:TGID_Y_EN: 0
; COMPUTE_PGM_RSRC2:TGID_Z_EN: 0
; COMPUTE_PGM_RSRC2:TIDIG_COMP_CNT: 0
	.section	.text._ZN7rocprim17ROCPRIM_400000_NS6detail17trampoline_kernelINS0_14default_configENS1_32segmented_reduce_config_selectorIN3c108BFloat16EEEZNS1_21segmented_reduce_implIS3_PKS6_PS6_PKiS6_N6hipcub16HIPCUB_304000_NS6detail27convert_result_type_wrapperISA_SB_N2at6native12_GLOBAL__N_19CustomSumEEEEE10hipError_tPvRmT0_T1_jT2_SS_T4_T3_P12ihipStream_tbEUlT_E_NS1_11comp_targetILNS1_3genE9ELNS1_11target_archE1100ELNS1_3gpuE3ELNS1_3repE0EEENS1_30default_config_static_selectorELNS0_4arch9wavefront6targetE0EEEvSR_,"axG",@progbits,_ZN7rocprim17ROCPRIM_400000_NS6detail17trampoline_kernelINS0_14default_configENS1_32segmented_reduce_config_selectorIN3c108BFloat16EEEZNS1_21segmented_reduce_implIS3_PKS6_PS6_PKiS6_N6hipcub16HIPCUB_304000_NS6detail27convert_result_type_wrapperISA_SB_N2at6native12_GLOBAL__N_19CustomSumEEEEE10hipError_tPvRmT0_T1_jT2_SS_T4_T3_P12ihipStream_tbEUlT_E_NS1_11comp_targetILNS1_3genE9ELNS1_11target_archE1100ELNS1_3gpuE3ELNS1_3repE0EEENS1_30default_config_static_selectorELNS0_4arch9wavefront6targetE0EEEvSR_,comdat
	.globl	_ZN7rocprim17ROCPRIM_400000_NS6detail17trampoline_kernelINS0_14default_configENS1_32segmented_reduce_config_selectorIN3c108BFloat16EEEZNS1_21segmented_reduce_implIS3_PKS6_PS6_PKiS6_N6hipcub16HIPCUB_304000_NS6detail27convert_result_type_wrapperISA_SB_N2at6native12_GLOBAL__N_19CustomSumEEEEE10hipError_tPvRmT0_T1_jT2_SS_T4_T3_P12ihipStream_tbEUlT_E_NS1_11comp_targetILNS1_3genE9ELNS1_11target_archE1100ELNS1_3gpuE3ELNS1_3repE0EEENS1_30default_config_static_selectorELNS0_4arch9wavefront6targetE0EEEvSR_ ; -- Begin function _ZN7rocprim17ROCPRIM_400000_NS6detail17trampoline_kernelINS0_14default_configENS1_32segmented_reduce_config_selectorIN3c108BFloat16EEEZNS1_21segmented_reduce_implIS3_PKS6_PS6_PKiS6_N6hipcub16HIPCUB_304000_NS6detail27convert_result_type_wrapperISA_SB_N2at6native12_GLOBAL__N_19CustomSumEEEEE10hipError_tPvRmT0_T1_jT2_SS_T4_T3_P12ihipStream_tbEUlT_E_NS1_11comp_targetILNS1_3genE9ELNS1_11target_archE1100ELNS1_3gpuE3ELNS1_3repE0EEENS1_30default_config_static_selectorELNS0_4arch9wavefront6targetE0EEEvSR_
	.p2align	8
	.type	_ZN7rocprim17ROCPRIM_400000_NS6detail17trampoline_kernelINS0_14default_configENS1_32segmented_reduce_config_selectorIN3c108BFloat16EEEZNS1_21segmented_reduce_implIS3_PKS6_PS6_PKiS6_N6hipcub16HIPCUB_304000_NS6detail27convert_result_type_wrapperISA_SB_N2at6native12_GLOBAL__N_19CustomSumEEEEE10hipError_tPvRmT0_T1_jT2_SS_T4_T3_P12ihipStream_tbEUlT_E_NS1_11comp_targetILNS1_3genE9ELNS1_11target_archE1100ELNS1_3gpuE3ELNS1_3repE0EEENS1_30default_config_static_selectorELNS0_4arch9wavefront6targetE0EEEvSR_,@function
_ZN7rocprim17ROCPRIM_400000_NS6detail17trampoline_kernelINS0_14default_configENS1_32segmented_reduce_config_selectorIN3c108BFloat16EEEZNS1_21segmented_reduce_implIS3_PKS6_PS6_PKiS6_N6hipcub16HIPCUB_304000_NS6detail27convert_result_type_wrapperISA_SB_N2at6native12_GLOBAL__N_19CustomSumEEEEE10hipError_tPvRmT0_T1_jT2_SS_T4_T3_P12ihipStream_tbEUlT_E_NS1_11comp_targetILNS1_3genE9ELNS1_11target_archE1100ELNS1_3gpuE3ELNS1_3repE0EEENS1_30default_config_static_selectorELNS0_4arch9wavefront6targetE0EEEvSR_: ; @_ZN7rocprim17ROCPRIM_400000_NS6detail17trampoline_kernelINS0_14default_configENS1_32segmented_reduce_config_selectorIN3c108BFloat16EEEZNS1_21segmented_reduce_implIS3_PKS6_PS6_PKiS6_N6hipcub16HIPCUB_304000_NS6detail27convert_result_type_wrapperISA_SB_N2at6native12_GLOBAL__N_19CustomSumEEEEE10hipError_tPvRmT0_T1_jT2_SS_T4_T3_P12ihipStream_tbEUlT_E_NS1_11comp_targetILNS1_3genE9ELNS1_11target_archE1100ELNS1_3gpuE3ELNS1_3repE0EEENS1_30default_config_static_selectorELNS0_4arch9wavefront6targetE0EEEvSR_
; %bb.0:
	s_clause 0x2
	s_load_b256 s[16:23], s[0:1], 0x0
	s_load_b32 s4, s[0:1], 0x28
	s_load_b64 s[0:1], s[0:1], 0x20
	s_mov_b32 s24, s15
	s_mov_b32 s25, 0
	v_cmp_eq_u32_e32 vcc_lo, 0, v0
	s_waitcnt lgkmcnt(0)
	s_lshl_b64 s[2:3], s[20:21], 2
	s_lshr_b32 s15, s4, 16
	s_add_u32 s4, s22, s2
	s_addc_u32 s5, s23, s3
	s_add_u32 s6, s0, s2
	s_addc_u32 s7, s1, s3
	s_lshl_b64 s[0:1], s[24:25], 2
	s_delay_alu instid0(SALU_CYCLE_1)
	s_add_u32 s2, s4, s0
	s_addc_u32 s3, s5, s1
	s_add_u32 s0, s6, s0
	s_addc_u32 s1, s7, s1
	s_load_b32 s22, s[2:3], 0x0
	s_load_b32 s29, s[0:1], 0x0
	s_waitcnt lgkmcnt(0)
	s_cmp_gt_i32 s29, s22
	s_cbranch_scc1 .LBB125_3
; %bb.1:
	s_and_b32 s28, vcc_lo, exec_lo
	s_cbranch_execz .LBB125_4
; %bb.2:
	v_mov_b32_e32 v1, s15
	s_and_saveexec_b32 s0, s28
	s_cbranch_execnz .LBB125_115
	s_branch .LBB125_116
.LBB125_3:
	s_mov_b32 s28, s25
.LBB125_4:
	s_add_i32 s0, s22, 0x1000
	s_delay_alu instid0(SALU_CYCLE_1)
	s_cmp_le_i32 s0, s29
	s_cbranch_scc0 .LBB125_61
; %bb.5:
	s_ashr_i32 s23, s22, 31
	v_lshlrev_b32_e32 v18, 1, v0
	s_lshl_b64 s[2:3], s[22:23], 1
	s_delay_alu instid0(SALU_CYCLE_1) | instskip(SKIP_1) | instid1(VALU_DEP_1)
	s_add_u32 s2, s16, s2
	s_addc_u32 s3, s17, s3
	v_add_co_u32 v1, s1, s2, v18
	s_clause 0x7
	global_load_u16 v15, v18, s[2:3] offset:512
	global_load_u16 v16, v18, s[2:3]
	global_load_u16 v14, v18, s[2:3] offset:1024
	global_load_u16 v13, v18, s[2:3] offset:1536
	;; [unrolled: 1-line block ×6, first 2 shown]
	v_add_co_ci_u32_e64 v2, null, s3, 0, s1
	v_add_co_u32 v19, vcc_lo, 0x1000, v1
	s_add_i32 s1, s22, 0x2000
	s_delay_alu instid0(VALU_DEP_2)
	v_add_co_ci_u32_e32 v20, vcc_lo, 0, v2, vcc_lo
	s_cmp_ge_i32 s1, s29
	s_clause 0x6
	global_load_u16 v8, v[19:20], off
	global_load_u16 v7, v[19:20], off offset:512
	global_load_u16 v6, v[19:20], off offset:1024
	;; [unrolled: 1-line block ×6, first 2 shown]
	s_waitcnt vmcnt(13)
	v_lshlrev_b32_e32 v17, 16, v16
	s_waitcnt vmcnt(12)
	v_lshlrev_b32_e32 v21, 16, v14
	v_lshlrev_b32_e32 v2, 16, v15
	s_delay_alu instid0(VALU_DEP_1) | instskip(NEXT) | instid1(VALU_DEP_1)
	v_add_f32_e32 v2, v17, v2
	v_bfe_u32 v17, v2, 16, 1
	s_delay_alu instid0(VALU_DEP_1) | instskip(NEXT) | instid1(VALU_DEP_1)
	v_add3_u32 v17, v2, v17, 0x7fff
	v_and_b32_e32 v17, 0xffff0000, v17
	v_cmp_o_f32_e32 vcc_lo, v2, v2
	global_load_u16 v2, v[19:20], off offset:3584
	v_cndmask_b32_e32 v17, 0x7fc00000, v17, vcc_lo
	s_delay_alu instid0(VALU_DEP_1) | instskip(NEXT) | instid1(VALU_DEP_1)
	v_add_f32_e32 v17, v17, v21
	v_bfe_u32 v19, v17, 16, 1
	v_cmp_o_f32_e32 vcc_lo, v17, v17
	s_delay_alu instid0(VALU_DEP_2) | instskip(NEXT) | instid1(VALU_DEP_1)
	v_add3_u32 v19, v17, v19, 0x7fff
	v_and_b32_e32 v19, 0xffff0000, v19
	s_waitcnt vmcnt(12)
	s_delay_alu instid0(VALU_DEP_1) | instskip(NEXT) | instid1(VALU_DEP_1)
	v_dual_cndmask_b32 v17, 0x7fc00000, v19 :: v_dual_lshlrev_b32 v20, 16, v13
	v_add_f32_e32 v17, v17, v20
	s_delay_alu instid0(VALU_DEP_1) | instskip(SKIP_1) | instid1(VALU_DEP_2)
	v_bfe_u32 v19, v17, 16, 1
	v_cmp_o_f32_e32 vcc_lo, v17, v17
	v_add3_u32 v19, v17, v19, 0x7fff
	s_delay_alu instid0(VALU_DEP_1) | instskip(SKIP_1) | instid1(VALU_DEP_1)
	v_and_b32_e32 v19, 0xffff0000, v19
	s_waitcnt vmcnt(11)
	v_dual_cndmask_b32 v17, 0x7fc00000, v19 :: v_dual_lshlrev_b32 v20, 16, v12
	s_waitcnt vmcnt(10)
	s_delay_alu instid0(VALU_DEP_1) | instskip(NEXT) | instid1(VALU_DEP_1)
	v_dual_add_f32 v17, v17, v20 :: v_dual_lshlrev_b32 v20, 16, v11
	v_bfe_u32 v19, v17, 16, 1
	v_cmp_o_f32_e32 vcc_lo, v17, v17
	s_delay_alu instid0(VALU_DEP_2) | instskip(NEXT) | instid1(VALU_DEP_1)
	v_add3_u32 v19, v17, v19, 0x7fff
	v_and_b32_e32 v19, 0xffff0000, v19
	s_delay_alu instid0(VALU_DEP_1) | instskip(SKIP_1) | instid1(VALU_DEP_1)
	v_cndmask_b32_e32 v17, 0x7fc00000, v19, vcc_lo
	s_waitcnt vmcnt(9)
	v_dual_add_f32 v17, v17, v20 :: v_dual_lshlrev_b32 v20, 16, v10
	s_delay_alu instid0(VALU_DEP_1) | instskip(SKIP_1) | instid1(VALU_DEP_2)
	v_bfe_u32 v19, v17, 16, 1
	v_cmp_o_f32_e32 vcc_lo, v17, v17
	v_add3_u32 v19, v17, v19, 0x7fff
	s_delay_alu instid0(VALU_DEP_1) | instskip(NEXT) | instid1(VALU_DEP_1)
	v_and_b32_e32 v19, 0xffff0000, v19
	v_cndmask_b32_e32 v17, 0x7fc00000, v19, vcc_lo
	s_waitcnt vmcnt(8)
	s_delay_alu instid0(VALU_DEP_1) | instskip(NEXT) | instid1(VALU_DEP_1)
	v_dual_add_f32 v17, v17, v20 :: v_dual_lshlrev_b32 v20, 16, v9
	v_bfe_u32 v19, v17, 16, 1
	v_cmp_o_f32_e32 vcc_lo, v17, v17
	s_delay_alu instid0(VALU_DEP_2) | instskip(NEXT) | instid1(VALU_DEP_1)
	v_add3_u32 v19, v17, v19, 0x7fff
	v_and_b32_e32 v19, 0xffff0000, v19
	s_delay_alu instid0(VALU_DEP_1) | instskip(NEXT) | instid1(VALU_DEP_1)
	v_cndmask_b32_e32 v17, 0x7fc00000, v19, vcc_lo
	v_add_f32_e32 v17, v17, v20
	s_waitcnt vmcnt(7)
	v_lshlrev_b32_e32 v20, 16, v8
	s_delay_alu instid0(VALU_DEP_2) | instskip(SKIP_1) | instid1(VALU_DEP_2)
	v_bfe_u32 v19, v17, 16, 1
	v_cmp_o_f32_e32 vcc_lo, v17, v17
	v_add3_u32 v19, v17, v19, 0x7fff
	s_delay_alu instid0(VALU_DEP_1) | instskip(NEXT) | instid1(VALU_DEP_1)
	v_and_b32_e32 v19, 0xffff0000, v19
	v_cndmask_b32_e32 v17, 0x7fc00000, v19, vcc_lo
	s_waitcnt vmcnt(6)
	s_delay_alu instid0(VALU_DEP_1) | instskip(NEXT) | instid1(VALU_DEP_1)
	v_dual_add_f32 v17, v17, v20 :: v_dual_lshlrev_b32 v20, 16, v7
	v_bfe_u32 v19, v17, 16, 1
	v_cmp_o_f32_e32 vcc_lo, v17, v17
	s_delay_alu instid0(VALU_DEP_2) | instskip(NEXT) | instid1(VALU_DEP_1)
	v_add3_u32 v19, v17, v19, 0x7fff
	v_and_b32_e32 v19, 0xffff0000, v19
	s_delay_alu instid0(VALU_DEP_1) | instskip(SKIP_1) | instid1(VALU_DEP_1)
	v_cndmask_b32_e32 v17, 0x7fc00000, v19, vcc_lo
	s_waitcnt vmcnt(5)
	v_dual_add_f32 v17, v17, v20 :: v_dual_lshlrev_b32 v20, 16, v6
	s_delay_alu instid0(VALU_DEP_1) | instskip(SKIP_1) | instid1(VALU_DEP_2)
	v_bfe_u32 v19, v17, 16, 1
	v_cmp_o_f32_e32 vcc_lo, v17, v17
	v_add3_u32 v19, v17, v19, 0x7fff
	s_delay_alu instid0(VALU_DEP_1) | instskip(NEXT) | instid1(VALU_DEP_1)
	v_and_b32_e32 v19, 0xffff0000, v19
	v_cndmask_b32_e32 v17, 0x7fc00000, v19, vcc_lo
	s_waitcnt vmcnt(4)
	s_delay_alu instid0(VALU_DEP_1) | instskip(NEXT) | instid1(VALU_DEP_1)
	v_dual_add_f32 v17, v17, v20 :: v_dual_lshlrev_b32 v20, 16, v5
	v_bfe_u32 v19, v17, 16, 1
	v_cmp_o_f32_e32 vcc_lo, v17, v17
	s_delay_alu instid0(VALU_DEP_2) | instskip(NEXT) | instid1(VALU_DEP_1)
	v_add3_u32 v19, v17, v19, 0x7fff
	v_and_b32_e32 v19, 0xffff0000, v19
	s_delay_alu instid0(VALU_DEP_1) | instskip(NEXT) | instid1(VALU_DEP_1)
	v_cndmask_b32_e32 v17, 0x7fc00000, v19, vcc_lo
	v_add_f32_e32 v17, v17, v20
	s_waitcnt vmcnt(3)
	v_lshlrev_b32_e32 v20, 16, v4
	s_delay_alu instid0(VALU_DEP_2) | instskip(SKIP_1) | instid1(VALU_DEP_2)
	v_bfe_u32 v19, v17, 16, 1
	v_cmp_o_f32_e32 vcc_lo, v17, v17
	v_add3_u32 v19, v17, v19, 0x7fff
	s_delay_alu instid0(VALU_DEP_1) | instskip(NEXT) | instid1(VALU_DEP_1)
	v_and_b32_e32 v19, 0xffff0000, v19
	v_cndmask_b32_e32 v17, 0x7fc00000, v19, vcc_lo
	s_waitcnt vmcnt(2)
	s_delay_alu instid0(VALU_DEP_1) | instskip(NEXT) | instid1(VALU_DEP_1)
	v_dual_add_f32 v17, v17, v20 :: v_dual_lshlrev_b32 v20, 16, v3
	v_bfe_u32 v19, v17, 16, 1
	v_cmp_o_f32_e32 vcc_lo, v17, v17
	s_delay_alu instid0(VALU_DEP_2) | instskip(NEXT) | instid1(VALU_DEP_1)
	v_add3_u32 v19, v17, v19, 0x7fff
	v_and_b32_e32 v19, 0xffff0000, v19
	s_delay_alu instid0(VALU_DEP_1) | instskip(SKIP_1) | instid1(VALU_DEP_1)
	v_cndmask_b32_e32 v17, 0x7fc00000, v19, vcc_lo
	s_waitcnt vmcnt(1)
	v_dual_add_f32 v17, v17, v20 :: v_dual_lshlrev_b32 v20, 16, v1
	s_delay_alu instid0(VALU_DEP_1) | instskip(SKIP_1) | instid1(VALU_DEP_2)
	v_bfe_u32 v19, v17, 16, 1
	v_cmp_o_f32_e32 vcc_lo, v17, v17
	v_add3_u32 v19, v17, v19, 0x7fff
	s_delay_alu instid0(VALU_DEP_1) | instskip(NEXT) | instid1(VALU_DEP_1)
	v_and_b32_e32 v19, 0xffff0000, v19
	v_cndmask_b32_e32 v17, 0x7fc00000, v19, vcc_lo
	s_delay_alu instid0(VALU_DEP_1) | instskip(NEXT) | instid1(VALU_DEP_1)
	v_add_f32_e32 v17, v17, v20
	v_bfe_u32 v19, v17, 16, 1
	v_cmp_o_f32_e32 vcc_lo, v17, v17
	s_delay_alu instid0(VALU_DEP_2) | instskip(SKIP_2) | instid1(VALU_DEP_2)
	v_add3_u32 v19, v17, v19, 0x7fff
	s_waitcnt vmcnt(0)
	v_lshlrev_b32_e32 v20, 16, v2
	v_and_b32_e32 v19, 0xffff0000, v19
	s_delay_alu instid0(VALU_DEP_1) | instskip(NEXT) | instid1(VALU_DEP_1)
	v_cndmask_b32_e32 v17, 0x7fc00000, v19, vcc_lo
	v_add_f32_e32 v17, v17, v20
	s_delay_alu instid0(VALU_DEP_1) | instskip(SKIP_1) | instid1(VALU_DEP_2)
	v_bfe_u32 v19, v17, 16, 1
	v_cmp_o_f32_e32 vcc_lo, v17, v17
	v_add3_u32 v19, v17, v19, 0x7fff
	s_delay_alu instid0(VALU_DEP_1) | instskip(NEXT) | instid1(VALU_DEP_1)
	v_lshrrev_b32_e32 v19, 16, v19
	v_cndmask_b32_e32 v17, 0x7fc0, v19, vcc_lo
	s_cbranch_scc1 .LBB125_8
; %bb.6:
	v_add_co_u32 v19, s1, s16, v18
	s_delay_alu instid0(VALU_DEP_1)
	v_add_co_ci_u32_e64 v20, null, s17, 0, s1
.LBB125_7:                              ; =>This Inner Loop Header: Depth=1
	s_ashr_i32 s1, s0, 31
	s_delay_alu instid0(SALU_CYCLE_1) | instskip(SKIP_4) | instid1(VALU_DEP_2)
	s_lshl_b64 s[2:3], s[0:1], 1
	s_add_i32 s1, s0, 0x2000
	v_add_co_u32 v1, vcc_lo, v19, s2
	v_add_co_ci_u32_e32 v2, vcc_lo, s3, v20, vcc_lo
	s_addk_i32 s0, 0x1000
	v_add_co_u32 v21, vcc_lo, 0x1000, v1
	s_clause 0x7
	global_load_u16 v16, v[1:2], off
	global_load_u16 v15, v[1:2], off offset:512
	global_load_u16 v14, v[1:2], off offset:1024
	;; [unrolled: 1-line block ×7, first 2 shown]
	v_add_co_ci_u32_e32 v22, vcc_lo, 0, v2, vcc_lo
	v_lshlrev_b32_e32 v1, 16, v17
	s_cmp_lt_i32 s1, s29
	s_clause 0x5
	global_load_u16 v8, v[21:22], off
	global_load_u16 v7, v[21:22], off offset:512
	global_load_u16 v6, v[21:22], off offset:1024
	;; [unrolled: 1-line block ×5, first 2 shown]
	s_waitcnt vmcnt(13)
	v_lshlrev_b32_e32 v2, 16, v16
	s_waitcnt vmcnt(12)
	v_lshlrev_b32_e32 v17, 16, v15
	;; [unrolled: 2-line block ×3, first 2 shown]
	v_add_f32_e32 v1, v1, v2
	s_delay_alu instid0(VALU_DEP_1) | instskip(SKIP_1) | instid1(VALU_DEP_2)
	v_bfe_u32 v2, v1, 16, 1
	v_cmp_o_f32_e32 vcc_lo, v1, v1
	v_add3_u32 v2, v1, v2, 0x7fff
	global_load_u16 v1, v[21:22], off offset:3072
	v_and_b32_e32 v2, 0xffff0000, v2
	s_delay_alu instid0(VALU_DEP_1) | instskip(NEXT) | instid1(VALU_DEP_1)
	v_cndmask_b32_e32 v2, 0x7fc00000, v2, vcc_lo
	v_add_f32_e32 v2, v2, v17
	s_delay_alu instid0(VALU_DEP_1) | instskip(SKIP_1) | instid1(VALU_DEP_2)
	v_bfe_u32 v17, v2, 16, 1
	v_cmp_o_f32_e32 vcc_lo, v2, v2
	v_add3_u32 v17, v2, v17, 0x7fff
	global_load_u16 v2, v[21:22], off offset:3584
	s_waitcnt vmcnt(12)
	v_lshlrev_b32_e32 v22, 16, v13
	v_and_b32_e32 v17, 0xffff0000, v17
	s_delay_alu instid0(VALU_DEP_1) | instskip(NEXT) | instid1(VALU_DEP_1)
	v_cndmask_b32_e32 v17, 0x7fc00000, v17, vcc_lo
	v_add_f32_e32 v17, v17, v23
	s_delay_alu instid0(VALU_DEP_1) | instskip(SKIP_1) | instid1(VALU_DEP_2)
	v_bfe_u32 v21, v17, 16, 1
	v_cmp_o_f32_e32 vcc_lo, v17, v17
	v_add3_u32 v21, v17, v21, 0x7fff
	s_delay_alu instid0(VALU_DEP_1) | instskip(NEXT) | instid1(VALU_DEP_1)
	v_and_b32_e32 v21, 0xffff0000, v21
	v_cndmask_b32_e32 v17, 0x7fc00000, v21, vcc_lo
	s_waitcnt vmcnt(11)
	s_delay_alu instid0(VALU_DEP_1) | instskip(NEXT) | instid1(VALU_DEP_1)
	v_dual_add_f32 v17, v17, v22 :: v_dual_lshlrev_b32 v22, 16, v12
	v_bfe_u32 v21, v17, 16, 1
	v_cmp_o_f32_e32 vcc_lo, v17, v17
	s_delay_alu instid0(VALU_DEP_2) | instskip(NEXT) | instid1(VALU_DEP_1)
	v_add3_u32 v21, v17, v21, 0x7fff
	v_and_b32_e32 v21, 0xffff0000, v21
	s_delay_alu instid0(VALU_DEP_1) | instskip(SKIP_1) | instid1(VALU_DEP_1)
	v_cndmask_b32_e32 v17, 0x7fc00000, v21, vcc_lo
	s_waitcnt vmcnt(10)
	v_dual_add_f32 v17, v17, v22 :: v_dual_lshlrev_b32 v22, 16, v11
	s_delay_alu instid0(VALU_DEP_1) | instskip(SKIP_1) | instid1(VALU_DEP_2)
	v_bfe_u32 v21, v17, 16, 1
	v_cmp_o_f32_e32 vcc_lo, v17, v17
	v_add3_u32 v21, v17, v21, 0x7fff
	s_delay_alu instid0(VALU_DEP_1) | instskip(NEXT) | instid1(VALU_DEP_1)
	v_and_b32_e32 v21, 0xffff0000, v21
	v_cndmask_b32_e32 v17, 0x7fc00000, v21, vcc_lo
	s_delay_alu instid0(VALU_DEP_1) | instskip(SKIP_2) | instid1(VALU_DEP_2)
	v_add_f32_e32 v17, v17, v22
	s_waitcnt vmcnt(9)
	v_lshlrev_b32_e32 v22, 16, v10
	v_bfe_u32 v21, v17, 16, 1
	v_cmp_o_f32_e32 vcc_lo, v17, v17
	s_delay_alu instid0(VALU_DEP_2) | instskip(NEXT) | instid1(VALU_DEP_1)
	v_add3_u32 v21, v17, v21, 0x7fff
	v_and_b32_e32 v21, 0xffff0000, v21
	s_delay_alu instid0(VALU_DEP_1) | instskip(SKIP_1) | instid1(VALU_DEP_1)
	v_cndmask_b32_e32 v17, 0x7fc00000, v21, vcc_lo
	s_waitcnt vmcnt(8)
	v_dual_add_f32 v17, v17, v22 :: v_dual_lshlrev_b32 v22, 16, v9
	s_delay_alu instid0(VALU_DEP_1) | instskip(SKIP_1) | instid1(VALU_DEP_2)
	v_bfe_u32 v21, v17, 16, 1
	v_cmp_o_f32_e32 vcc_lo, v17, v17
	v_add3_u32 v21, v17, v21, 0x7fff
	s_delay_alu instid0(VALU_DEP_1) | instskip(NEXT) | instid1(VALU_DEP_1)
	v_and_b32_e32 v21, 0xffff0000, v21
	v_cndmask_b32_e32 v17, 0x7fc00000, v21, vcc_lo
	s_waitcnt vmcnt(7)
	s_delay_alu instid0(VALU_DEP_1) | instskip(NEXT) | instid1(VALU_DEP_1)
	v_dual_add_f32 v17, v17, v22 :: v_dual_lshlrev_b32 v22, 16, v8
	v_bfe_u32 v21, v17, 16, 1
	v_cmp_o_f32_e32 vcc_lo, v17, v17
	s_delay_alu instid0(VALU_DEP_2) | instskip(NEXT) | instid1(VALU_DEP_1)
	v_add3_u32 v21, v17, v21, 0x7fff
	v_and_b32_e32 v21, 0xffff0000, v21
	s_delay_alu instid0(VALU_DEP_1) | instskip(SKIP_1) | instid1(VALU_DEP_1)
	v_cndmask_b32_e32 v17, 0x7fc00000, v21, vcc_lo
	s_waitcnt vmcnt(6)
	v_dual_add_f32 v17, v17, v22 :: v_dual_lshlrev_b32 v22, 16, v7
	s_delay_alu instid0(VALU_DEP_1) | instskip(SKIP_1) | instid1(VALU_DEP_2)
	v_bfe_u32 v21, v17, 16, 1
	v_cmp_o_f32_e32 vcc_lo, v17, v17
	v_add3_u32 v21, v17, v21, 0x7fff
	s_delay_alu instid0(VALU_DEP_1) | instskip(NEXT) | instid1(VALU_DEP_1)
	v_and_b32_e32 v21, 0xffff0000, v21
	v_cndmask_b32_e32 v17, 0x7fc00000, v21, vcc_lo
	s_delay_alu instid0(VALU_DEP_1) | instskip(SKIP_2) | instid1(VALU_DEP_2)
	v_add_f32_e32 v17, v17, v22
	s_waitcnt vmcnt(5)
	v_lshlrev_b32_e32 v22, 16, v6
	v_bfe_u32 v21, v17, 16, 1
	v_cmp_o_f32_e32 vcc_lo, v17, v17
	s_delay_alu instid0(VALU_DEP_2) | instskip(NEXT) | instid1(VALU_DEP_1)
	v_add3_u32 v21, v17, v21, 0x7fff
	v_and_b32_e32 v21, 0xffff0000, v21
	s_delay_alu instid0(VALU_DEP_1) | instskip(SKIP_1) | instid1(VALU_DEP_1)
	v_cndmask_b32_e32 v17, 0x7fc00000, v21, vcc_lo
	s_waitcnt vmcnt(4)
	v_dual_add_f32 v17, v17, v22 :: v_dual_lshlrev_b32 v22, 16, v5
	s_delay_alu instid0(VALU_DEP_1) | instskip(SKIP_1) | instid1(VALU_DEP_2)
	v_bfe_u32 v21, v17, 16, 1
	v_cmp_o_f32_e32 vcc_lo, v17, v17
	v_add3_u32 v21, v17, v21, 0x7fff
	s_delay_alu instid0(VALU_DEP_1) | instskip(NEXT) | instid1(VALU_DEP_1)
	v_and_b32_e32 v21, 0xffff0000, v21
	v_cndmask_b32_e32 v17, 0x7fc00000, v21, vcc_lo
	s_waitcnt vmcnt(3)
	s_delay_alu instid0(VALU_DEP_1) | instskip(NEXT) | instid1(VALU_DEP_1)
	v_dual_add_f32 v17, v17, v22 :: v_dual_lshlrev_b32 v22, 16, v4
	v_bfe_u32 v21, v17, 16, 1
	v_cmp_o_f32_e32 vcc_lo, v17, v17
	s_delay_alu instid0(VALU_DEP_2) | instskip(NEXT) | instid1(VALU_DEP_1)
	v_add3_u32 v21, v17, v21, 0x7fff
	v_and_b32_e32 v21, 0xffff0000, v21
	s_delay_alu instid0(VALU_DEP_1) | instskip(SKIP_1) | instid1(VALU_DEP_1)
	v_cndmask_b32_e32 v17, 0x7fc00000, v21, vcc_lo
	s_waitcnt vmcnt(2)
	v_dual_add_f32 v17, v17, v22 :: v_dual_lshlrev_b32 v22, 16, v3
	s_delay_alu instid0(VALU_DEP_1) | instskip(SKIP_1) | instid1(VALU_DEP_2)
	v_bfe_u32 v21, v17, 16, 1
	v_cmp_o_f32_e32 vcc_lo, v17, v17
	v_add3_u32 v21, v17, v21, 0x7fff
	s_delay_alu instid0(VALU_DEP_1) | instskip(NEXT) | instid1(VALU_DEP_1)
	v_and_b32_e32 v21, 0xffff0000, v21
	v_cndmask_b32_e32 v17, 0x7fc00000, v21, vcc_lo
	s_delay_alu instid0(VALU_DEP_1) | instskip(NEXT) | instid1(VALU_DEP_1)
	v_add_f32_e32 v17, v17, v22
	v_bfe_u32 v21, v17, 16, 1
	s_waitcnt vmcnt(1)
	v_lshlrev_b32_e32 v22, 16, v1
	v_cmp_o_f32_e32 vcc_lo, v17, v17
	s_delay_alu instid0(VALU_DEP_3) | instskip(NEXT) | instid1(VALU_DEP_1)
	v_add3_u32 v21, v17, v21, 0x7fff
	v_and_b32_e32 v21, 0xffff0000, v21
	s_delay_alu instid0(VALU_DEP_1) | instskip(NEXT) | instid1(VALU_DEP_1)
	v_cndmask_b32_e32 v17, 0x7fc00000, v21, vcc_lo
	v_add_f32_e32 v17, v17, v22
	s_delay_alu instid0(VALU_DEP_1) | instskip(SKIP_3) | instid1(VALU_DEP_3)
	v_bfe_u32 v21, v17, 16, 1
	v_cmp_o_f32_e32 vcc_lo, v17, v17
	s_waitcnt vmcnt(0)
	v_lshlrev_b32_e32 v22, 16, v2
	v_add3_u32 v21, v17, v21, 0x7fff
	s_delay_alu instid0(VALU_DEP_1) | instskip(NEXT) | instid1(VALU_DEP_1)
	v_and_b32_e32 v21, 0xffff0000, v21
	v_cndmask_b32_e32 v17, 0x7fc00000, v21, vcc_lo
	s_delay_alu instid0(VALU_DEP_1) | instskip(NEXT) | instid1(VALU_DEP_1)
	v_add_f32_e32 v17, v17, v22
	v_bfe_u32 v21, v17, 16, 1
	v_cmp_o_f32_e32 vcc_lo, v17, v17
	s_delay_alu instid0(VALU_DEP_2) | instskip(NEXT) | instid1(VALU_DEP_1)
	v_add3_u32 v21, v17, v21, 0x7fff
	v_lshrrev_b32_e32 v21, 16, v21
	s_delay_alu instid0(VALU_DEP_1)
	v_cndmask_b32_e32 v17, 0x7fc0, v21, vcc_lo
	s_cbranch_scc1 .LBB125_7
.LBB125_8:
	s_ashr_i32 s1, s0, 31
	s_sub_i32 s23, s29, s0
	s_lshl_b64 s[0:1], s[0:1], 1
	v_cmp_gt_u32_e64 s14, s23, v0
	s_add_u32 s26, s16, s0
	s_addc_u32 s27, s17, s1
	s_delay_alu instid0(VALU_DEP_1)
	s_and_saveexec_b32 s0, s14
	s_cbranch_execz .LBB125_10
; %bb.9:
	global_load_u16 v16, v18, s[26:27]
.LBB125_10:
	s_or_b32 exec_lo, exec_lo, s0
	v_or_b32_e32 v19, 0x100, v0
	s_delay_alu instid0(VALU_DEP_1) | instskip(NEXT) | instid1(VALU_DEP_1)
	v_cmp_gt_u32_e64 s13, s23, v19
	s_and_saveexec_b32 s0, s13
	s_cbranch_execz .LBB125_12
; %bb.11:
	global_load_u16 v15, v18, s[26:27] offset:512
.LBB125_12:
	s_or_b32 exec_lo, exec_lo, s0
	v_or_b32_e32 v19, 0x200, v0
	s_delay_alu instid0(VALU_DEP_1) | instskip(NEXT) | instid1(VALU_DEP_1)
	v_cmp_gt_u32_e64 s12, s23, v19
	s_and_saveexec_b32 s0, s12
	s_cbranch_execz .LBB125_14
; %bb.13:
	global_load_u16 v14, v18, s[26:27] offset:1024
.LBB125_14:
	;; [unrolled: 9-line block ×7, first 2 shown]
	s_or_b32 exec_lo, exec_lo, s0
	v_or_b32_e32 v18, 0x800, v0
	s_delay_alu instid0(VALU_DEP_1) | instskip(NEXT) | instid1(VALU_DEP_1)
	v_cmp_gt_u32_e64 s6, s23, v18
	s_and_saveexec_b32 s0, s6
	s_cbranch_execz .LBB125_26
; %bb.25:
	v_lshlrev_b32_e32 v8, 1, v18
	global_load_u16 v8, v8, s[26:27]
.LBB125_26:
	s_or_b32 exec_lo, exec_lo, s0
	v_or_b32_e32 v18, 0x900, v0
	s_delay_alu instid0(VALU_DEP_1) | instskip(NEXT) | instid1(VALU_DEP_1)
	v_cmp_gt_u32_e64 s5, s23, v18
	s_and_saveexec_b32 s0, s5
	s_cbranch_execz .LBB125_28
; %bb.27:
	v_lshlrev_b32_e32 v7, 1, v18
	global_load_u16 v7, v7, s[26:27]
.LBB125_28:
	;; [unrolled: 10-line block ×7, first 2 shown]
	s_or_b32 exec_lo, exec_lo, s30
	v_or_b32_e32 v18, 0xf00, v0
	s_delay_alu instid0(VALU_DEP_1)
	v_cmp_gt_u32_e32 vcc_lo, s23, v18
	s_and_saveexec_b32 s23, vcc_lo
	s_cbranch_execnz .LBB125_90
; %bb.39:
	s_or_b32 exec_lo, exec_lo, s23
	s_and_saveexec_b32 s23, s14
	s_cbranch_execnz .LBB125_91
.LBB125_40:
	s_or_b32 exec_lo, exec_lo, s23
	s_and_saveexec_b32 s14, s13
	s_cbranch_execnz .LBB125_92
.LBB125_41:
	s_or_b32 exec_lo, exec_lo, s14
	s_and_saveexec_b32 s13, s12
	s_cbranch_execnz .LBB125_93
.LBB125_42:
	s_or_b32 exec_lo, exec_lo, s13
	s_and_saveexec_b32 s12, s11
	s_cbranch_execnz .LBB125_94
.LBB125_43:
	s_or_b32 exec_lo, exec_lo, s12
	s_and_saveexec_b32 s11, s10
	s_cbranch_execnz .LBB125_95
.LBB125_44:
	s_or_b32 exec_lo, exec_lo, s11
	s_and_saveexec_b32 s10, s9
	s_cbranch_execnz .LBB125_96
.LBB125_45:
	s_or_b32 exec_lo, exec_lo, s10
	s_and_saveexec_b32 s9, s8
	s_cbranch_execnz .LBB125_97
.LBB125_46:
	s_or_b32 exec_lo, exec_lo, s9
	s_and_saveexec_b32 s8, s7
	s_cbranch_execnz .LBB125_98
.LBB125_47:
	s_or_b32 exec_lo, exec_lo, s8
	s_and_saveexec_b32 s7, s6
	s_cbranch_execnz .LBB125_99
.LBB125_48:
	s_or_b32 exec_lo, exec_lo, s7
	s_and_saveexec_b32 s6, s5
	s_cbranch_execnz .LBB125_100
.LBB125_49:
	s_or_b32 exec_lo, exec_lo, s6
	s_and_saveexec_b32 s5, s4
	s_cbranch_execnz .LBB125_101
.LBB125_50:
	s_or_b32 exec_lo, exec_lo, s5
	s_and_saveexec_b32 s4, s3
	s_cbranch_execnz .LBB125_102
.LBB125_51:
	s_or_b32 exec_lo, exec_lo, s4
	s_and_saveexec_b32 s3, s2
	s_cbranch_execnz .LBB125_103
.LBB125_52:
	s_or_b32 exec_lo, exec_lo, s3
	s_and_saveexec_b32 s2, s1
	s_cbranch_execnz .LBB125_104
.LBB125_53:
	s_or_b32 exec_lo, exec_lo, s2
	s_and_saveexec_b32 s1, s0
	s_cbranch_execnz .LBB125_105
.LBB125_54:
	s_or_b32 exec_lo, exec_lo, s1
	s_and_saveexec_b32 s0, vcc_lo
	s_cbranch_execz .LBB125_56
.LBB125_55:
	s_waitcnt vmcnt(0)
	v_lshlrev_b32_e32 v1, 16, v17
	v_lshlrev_b32_e32 v2, 16, v2
	s_delay_alu instid0(VALU_DEP_1) | instskip(NEXT) | instid1(VALU_DEP_1)
	v_add_f32_e32 v1, v2, v1
	v_bfe_u32 v2, v1, 16, 1
	v_cmp_o_f32_e32 vcc_lo, v1, v1
	s_delay_alu instid0(VALU_DEP_2) | instskip(NEXT) | instid1(VALU_DEP_1)
	v_add3_u32 v2, v1, v2, 0x7fff
	v_lshrrev_b32_e32 v2, 16, v2
	s_delay_alu instid0(VALU_DEP_1)
	v_cndmask_b32_e32 v17, 0x7fc0, v2, vcc_lo
.LBB125_56:
	s_or_b32 exec_lo, exec_lo, s0
	s_waitcnt vmcnt(0)
	s_delay_alu instid0(VALU_DEP_1) | instskip(SKIP_2) | instid1(VALU_DEP_2)
	v_and_b32_e32 v1, 0xffff, v17
	v_lshlrev_b32_e32 v2, 16, v17
	s_mov_b32 s0, exec_lo
	v_mov_b32_dpp v1, v1 quad_perm:[1,0,3,2] row_mask:0xf bank_mask:0xf
	s_delay_alu instid0(VALU_DEP_1) | instskip(NEXT) | instid1(VALU_DEP_1)
	v_lshlrev_b32_e32 v1, 16, v1
	v_add_f32_e32 v1, v2, v1
	s_delay_alu instid0(VALU_DEP_1) | instskip(SKIP_1) | instid1(VALU_DEP_2)
	v_bfe_u32 v2, v1, 16, 1
	v_cmp_o_f32_e32 vcc_lo, v1, v1
	v_add3_u32 v2, v1, v2, 0x7fff
	s_delay_alu instid0(VALU_DEP_1) | instskip(NEXT) | instid1(VALU_DEP_1)
	v_lshrrev_b32_e32 v2, 16, v2
	v_cndmask_b32_e32 v1, 0x7fc0, v2, vcc_lo
	s_delay_alu instid0(VALU_DEP_1) | instskip(SKIP_1) | instid1(VALU_DEP_2)
	v_mov_b32_dpp v2, v1 quad_perm:[2,3,0,1] row_mask:0xf bank_mask:0xf
	v_lshlrev_b32_e32 v1, 16, v1
	v_lshlrev_b32_e32 v2, 16, v2
	s_delay_alu instid0(VALU_DEP_1) | instskip(NEXT) | instid1(VALU_DEP_1)
	v_add_f32_e32 v1, v2, v1
	v_bfe_u32 v2, v1, 16, 1
	v_cmp_o_f32_e32 vcc_lo, v1, v1
	s_delay_alu instid0(VALU_DEP_2) | instskip(NEXT) | instid1(VALU_DEP_1)
	v_add3_u32 v2, v1, v2, 0x7fff
	v_lshrrev_b32_e32 v2, 16, v2
	s_delay_alu instid0(VALU_DEP_1) | instskip(NEXT) | instid1(VALU_DEP_1)
	v_cndmask_b32_e32 v1, 0x7fc0, v2, vcc_lo
	v_mov_b32_dpp v2, v1 row_ror:4 row_mask:0xf bank_mask:0xf
	v_lshlrev_b32_e32 v1, 16, v1
	s_delay_alu instid0(VALU_DEP_2) | instskip(NEXT) | instid1(VALU_DEP_1)
	v_lshlrev_b32_e32 v2, 16, v2
	v_add_f32_e32 v1, v2, v1
	s_delay_alu instid0(VALU_DEP_1) | instskip(SKIP_1) | instid1(VALU_DEP_2)
	v_bfe_u32 v2, v1, 16, 1
	v_cmp_o_f32_e32 vcc_lo, v1, v1
	v_add3_u32 v2, v1, v2, 0x7fff
	s_delay_alu instid0(VALU_DEP_1) | instskip(NEXT) | instid1(VALU_DEP_1)
	v_lshrrev_b32_e32 v2, 16, v2
	v_cndmask_b32_e32 v1, 0x7fc0, v2, vcc_lo
	s_delay_alu instid0(VALU_DEP_1) | instskip(SKIP_1) | instid1(VALU_DEP_2)
	v_mov_b32_dpp v2, v1 row_ror:8 row_mask:0xf bank_mask:0xf
	v_lshlrev_b32_e32 v1, 16, v1
	v_lshlrev_b32_e32 v2, 16, v2
	s_delay_alu instid0(VALU_DEP_1) | instskip(NEXT) | instid1(VALU_DEP_1)
	v_add_f32_e32 v1, v2, v1
	v_bfe_u32 v2, v1, 16, 1
	v_cmp_o_f32_e32 vcc_lo, v1, v1
	s_delay_alu instid0(VALU_DEP_2) | instskip(NEXT) | instid1(VALU_DEP_1)
	v_add3_u32 v2, v1, v2, 0x7fff
	v_lshrrev_b32_e32 v2, 16, v2
	s_delay_alu instid0(VALU_DEP_1) | instskip(SKIP_4) | instid1(VALU_DEP_1)
	v_cndmask_b32_e32 v1, 0x7fc0, v2, vcc_lo
	ds_swizzle_b32 v2, v1 offset:swizzle(BROADCAST,32,15)
	v_lshlrev_b32_e32 v1, 16, v1
	s_waitcnt lgkmcnt(0)
	v_lshlrev_b32_e32 v2, 16, v2
	v_add_f32_e32 v1, v2, v1
	s_delay_alu instid0(VALU_DEP_1) | instskip(SKIP_1) | instid1(VALU_DEP_2)
	v_bfe_u32 v2, v1, 16, 1
	v_cmp_o_f32_e32 vcc_lo, v1, v1
	v_add3_u32 v2, v1, v2, 0x7fff
	s_delay_alu instid0(VALU_DEP_1) | instskip(NEXT) | instid1(VALU_DEP_1)
	v_lshrrev_b32_e32 v2, 16, v2
	v_dual_cndmask_b32 v1, 0x7fc0, v2 :: v_dual_mov_b32 v2, 0
	ds_bpermute_b32 v2, v2, v1 offset:124
	v_mbcnt_lo_u32_b32 v1, -1, 0
	s_delay_alu instid0(VALU_DEP_1)
	v_cmpx_eq_u32_e32 0, v1
	s_xor_b32 s0, exec_lo, s0
	s_cbranch_execz .LBB125_58
; %bb.57:
	v_lshrrev_b32_e32 v3, 4, v0
	s_delay_alu instid0(VALU_DEP_1)
	v_and_b32_e32 v3, 14, v3
	s_waitcnt lgkmcnt(0)
	ds_store_b16 v3, v2
.LBB125_58:
	s_or_b32 exec_lo, exec_lo, s0
	s_delay_alu instid0(SALU_CYCLE_1)
	s_mov_b32 s0, exec_lo
	s_waitcnt lgkmcnt(0)
	s_barrier
	buffer_gl0_inv
	v_cmpx_gt_u32_e32 32, v0
	s_cbranch_execz .LBB125_60
; %bb.59:
	v_and_b32_e32 v2, 7, v1
	s_delay_alu instid0(VALU_DEP_1) | instskip(SKIP_3) | instid1(VALU_DEP_1)
	v_lshlrev_b32_e32 v3, 1, v2
	v_cmp_ne_u32_e32 vcc_lo, 7, v2
	ds_load_u16 v3, v3
	v_add_co_ci_u32_e32 v4, vcc_lo, 0, v1, vcc_lo
	v_lshlrev_b32_e32 v4, 2, v4
	s_waitcnt lgkmcnt(0)
	ds_bpermute_b32 v4, v4, v3
	v_lshlrev_b32_e32 v3, 16, v3
	s_waitcnt lgkmcnt(0)
	v_lshlrev_b32_e32 v4, 16, v4
	s_delay_alu instid0(VALU_DEP_1) | instskip(SKIP_1) | instid1(VALU_DEP_2)
	v_add_f32_e32 v3, v3, v4
	v_cmp_gt_u32_e32 vcc_lo, 6, v2
	v_bfe_u32 v4, v3, 16, 1
	v_cndmask_b32_e64 v5, 0, 1, vcc_lo
	v_cmp_o_f32_e32 vcc_lo, v3, v3
	s_delay_alu instid0(VALU_DEP_3) | instskip(NEXT) | instid1(VALU_DEP_3)
	v_add3_u32 v4, v3, v4, 0x7fff
	v_lshlrev_b32_e32 v5, 1, v5
	s_delay_alu instid0(VALU_DEP_2) | instskip(NEXT) | instid1(VALU_DEP_2)
	v_lshrrev_b32_e32 v4, 16, v4
	v_add_lshl_u32 v5, v5, v1, 2
	s_delay_alu instid0(VALU_DEP_2) | instskip(SKIP_2) | instid1(VALU_DEP_1)
	v_cndmask_b32_e32 v3, 0x7fc0, v4, vcc_lo
	v_cmp_gt_u32_e32 vcc_lo, 4, v2
	v_cndmask_b32_e64 v2, 0, 1, vcc_lo
	v_lshlrev_b32_e32 v2, 2, v2
	ds_bpermute_b32 v4, v5, v3
	v_lshlrev_b32_e32 v3, 16, v3
	v_add_lshl_u32 v1, v2, v1, 2
	s_waitcnt lgkmcnt(0)
	v_lshlrev_b32_e32 v4, 16, v4
	s_delay_alu instid0(VALU_DEP_1) | instskip(NEXT) | instid1(VALU_DEP_1)
	v_add_f32_e32 v3, v4, v3
	v_bfe_u32 v4, v3, 16, 1
	v_cmp_o_f32_e32 vcc_lo, v3, v3
	s_delay_alu instid0(VALU_DEP_2) | instskip(NEXT) | instid1(VALU_DEP_1)
	v_add3_u32 v4, v3, v4, 0x7fff
	v_lshrrev_b32_e32 v4, 16, v4
	s_delay_alu instid0(VALU_DEP_1) | instskip(SKIP_4) | instid1(VALU_DEP_1)
	v_cndmask_b32_e32 v3, 0x7fc0, v4, vcc_lo
	ds_bpermute_b32 v1, v1, v3
	v_lshlrev_b32_e32 v2, 16, v3
	s_waitcnt lgkmcnt(0)
	v_lshlrev_b32_e32 v1, 16, v1
	v_add_f32_e32 v1, v1, v2
	s_delay_alu instid0(VALU_DEP_1) | instskip(SKIP_1) | instid1(VALU_DEP_2)
	v_bfe_u32 v2, v1, 16, 1
	v_cmp_o_f32_e32 vcc_lo, v1, v1
	v_add3_u32 v2, v1, v2, 0x7fff
	s_delay_alu instid0(VALU_DEP_1) | instskip(NEXT) | instid1(VALU_DEP_1)
	v_lshrrev_b32_e32 v2, 16, v2
	v_cndmask_b32_e32 v2, 0x7fc0, v2, vcc_lo
.LBB125_60:
	s_or_b32 exec_lo, exec_lo, s0
	s_branch .LBB125_112
.LBB125_61:
                                        ; implicit-def: $vgpr2
	s_cbranch_execz .LBB125_112
; %bb.62:
	s_sub_i32 s1, s29, s22
	s_mov_b32 s2, exec_lo
                                        ; implicit-def: $vgpr3
	v_cmpx_gt_u32_e64 s1, v0
	s_cbranch_execz .LBB125_68
; %bb.63:
	v_add_nc_u32_e32 v1, s22, v0
	s_mov_b32 s3, exec_lo
	s_delay_alu instid0(VALU_DEP_1) | instskip(NEXT) | instid1(VALU_DEP_1)
	v_ashrrev_i32_e32 v2, 31, v1
	v_lshlrev_b64 v[2:3], 1, v[1:2]
	v_add_nc_u32_e32 v1, 0x100, v1
	s_delay_alu instid0(VALU_DEP_2) | instskip(NEXT) | instid1(VALU_DEP_3)
	v_add_co_u32 v2, vcc_lo, s16, v2
	v_add_co_ci_u32_e32 v3, vcc_lo, s17, v3, vcc_lo
	global_load_u16 v3, v[2:3], off
	v_cmpx_gt_i32_e64 s29, v1
	s_cbranch_execz .LBB125_67
; %bb.64:
	s_mov_b32 s4, 0
	.p2align	6
.LBB125_65:                             ; =>This Inner Loop Header: Depth=1
	v_ashrrev_i32_e32 v2, 31, v1
	s_waitcnt vmcnt(0)
	v_lshlrev_b32_e32 v3, 16, v3
	s_delay_alu instid0(VALU_DEP_2) | instskip(SKIP_1) | instid1(VALU_DEP_2)
	v_lshlrev_b64 v[4:5], 1, v[1:2]
	v_add_nc_u32_e32 v1, 0x100, v1
	v_add_co_u32 v4, vcc_lo, s16, v4
	s_delay_alu instid0(VALU_DEP_3) | instskip(NEXT) | instid1(VALU_DEP_3)
	v_add_co_ci_u32_e32 v5, vcc_lo, s17, v5, vcc_lo
	v_cmp_le_i32_e32 vcc_lo, s29, v1
	global_load_u16 v2, v[4:5], off
	s_or_b32 s4, vcc_lo, s4
	s_waitcnt vmcnt(0)
	v_lshlrev_b32_e32 v2, 16, v2
	s_delay_alu instid0(VALU_DEP_1) | instskip(NEXT) | instid1(VALU_DEP_1)
	v_add_f32_e32 v2, v3, v2
	v_bfe_u32 v3, v2, 16, 1
	v_cmp_o_f32_e64 s0, v2, v2
	s_delay_alu instid0(VALU_DEP_2) | instskip(NEXT) | instid1(VALU_DEP_1)
	v_add3_u32 v3, v2, v3, 0x7fff
	v_lshrrev_b32_e32 v3, 16, v3
	s_delay_alu instid0(VALU_DEP_1)
	v_cndmask_b32_e64 v3, 0x7fc0, v3, s0
	s_and_not1_b32 exec_lo, exec_lo, s4
	s_cbranch_execnz .LBB125_65
; %bb.66:
	s_or_b32 exec_lo, exec_lo, s4
.LBB125_67:
	s_delay_alu instid0(SALU_CYCLE_1)
	s_or_b32 exec_lo, exec_lo, s3
.LBB125_68:
	s_delay_alu instid0(SALU_CYCLE_1)
	s_or_b32 exec_lo, exec_lo, s2
	v_mbcnt_lo_u32_b32 v1, -1, 0
	s_waitcnt vmcnt(0)
	v_and_b32_e32 v4, 0xffff, v3
	s_cmpk_lt_u32 s1, 0x100
	s_cbranch_scc0 .LBB125_106
; %bb.69:
	v_cmp_ne_u32_e32 vcc_lo, 31, v1
	s_delay_alu instid0(VALU_DEP_2) | instskip(SKIP_1) | instid1(VALU_DEP_1)
	v_mov_b32_e32 v6, v4
	v_add_co_ci_u32_e32 v2, vcc_lo, 0, v1, vcc_lo
	v_lshlrev_b32_e32 v2, 2, v2
	ds_bpermute_b32 v7, v2, v4
	v_and_b32_e32 v2, 0xe0, v0
	s_delay_alu instid0(VALU_DEP_1) | instskip(SKIP_1) | instid1(VALU_DEP_1)
	v_sub_nc_u32_e64 v5, s1, v2 clamp
	v_add_nc_u32_e32 v2, 1, v1
	v_cmp_lt_u32_e32 vcc_lo, v2, v5
	v_mov_b32_e32 v2, v3
	s_and_saveexec_b32 s0, vcc_lo
	s_cbranch_execz .LBB125_71
; %bb.70:
	v_lshlrev_b32_e32 v2, 16, v4
	s_waitcnt lgkmcnt(0)
	v_lshlrev_b32_e32 v6, 16, v7
	s_delay_alu instid0(VALU_DEP_1) | instskip(NEXT) | instid1(VALU_DEP_1)
	v_add_f32_e32 v2, v2, v6
	v_bfe_u32 v6, v2, 16, 1
	v_cmp_o_f32_e32 vcc_lo, v2, v2
	s_delay_alu instid0(VALU_DEP_2) | instskip(NEXT) | instid1(VALU_DEP_1)
	v_add3_u32 v6, v2, v6, 0x7fff
	v_lshrrev_b32_e32 v6, 16, v6
	s_delay_alu instid0(VALU_DEP_1) | instskip(NEXT) | instid1(VALU_DEP_1)
	v_cndmask_b32_e32 v2, 0x7fc0, v6, vcc_lo
	v_and_b32_e32 v6, 0xffff, v2
.LBB125_71:
	s_or_b32 exec_lo, exec_lo, s0
	v_cmp_gt_u32_e32 vcc_lo, 30, v1
	v_add_nc_u32_e32 v8, 2, v1
	s_mov_b32 s0, exec_lo
	s_waitcnt lgkmcnt(0)
	v_cndmask_b32_e64 v7, 0, 1, vcc_lo
	s_delay_alu instid0(VALU_DEP_1) | instskip(NEXT) | instid1(VALU_DEP_1)
	v_lshlrev_b32_e32 v7, 1, v7
	v_add_lshl_u32 v7, v7, v1, 2
	ds_bpermute_b32 v7, v7, v6
	v_cmpx_lt_u32_e64 v8, v5
	s_cbranch_execz .LBB125_73
; %bb.72:
	v_lshlrev_b32_e32 v2, 16, v6
	s_waitcnt lgkmcnt(0)
	v_lshlrev_b32_e32 v6, 16, v7
	s_delay_alu instid0(VALU_DEP_1) | instskip(NEXT) | instid1(VALU_DEP_1)
	v_add_f32_e32 v2, v2, v6
	v_bfe_u32 v6, v2, 16, 1
	v_cmp_o_f32_e32 vcc_lo, v2, v2
	s_delay_alu instid0(VALU_DEP_2) | instskip(NEXT) | instid1(VALU_DEP_1)
	v_add3_u32 v6, v2, v6, 0x7fff
	v_lshrrev_b32_e32 v6, 16, v6
	s_delay_alu instid0(VALU_DEP_1) | instskip(NEXT) | instid1(VALU_DEP_1)
	v_cndmask_b32_e32 v2, 0x7fc0, v6, vcc_lo
	v_and_b32_e32 v6, 0xffff, v2
.LBB125_73:
	s_or_b32 exec_lo, exec_lo, s0
	v_cmp_gt_u32_e32 vcc_lo, 28, v1
	v_add_nc_u32_e32 v8, 4, v1
	s_mov_b32 s0, exec_lo
	s_waitcnt lgkmcnt(0)
	v_cndmask_b32_e64 v7, 0, 1, vcc_lo
	s_delay_alu instid0(VALU_DEP_1) | instskip(NEXT) | instid1(VALU_DEP_1)
	v_lshlrev_b32_e32 v7, 2, v7
	v_add_lshl_u32 v7, v7, v1, 2
	ds_bpermute_b32 v7, v7, v6
	v_cmpx_lt_u32_e64 v8, v5
	s_cbranch_execz .LBB125_75
; %bb.74:
	v_lshlrev_b32_e32 v2, 16, v6
	s_waitcnt lgkmcnt(0)
	v_lshlrev_b32_e32 v6, 16, v7
	s_delay_alu instid0(VALU_DEP_1) | instskip(NEXT) | instid1(VALU_DEP_1)
	v_add_f32_e32 v2, v2, v6
	v_bfe_u32 v6, v2, 16, 1
	v_cmp_o_f32_e32 vcc_lo, v2, v2
	s_delay_alu instid0(VALU_DEP_2) | instskip(NEXT) | instid1(VALU_DEP_1)
	v_add3_u32 v6, v2, v6, 0x7fff
	v_lshrrev_b32_e32 v6, 16, v6
	s_delay_alu instid0(VALU_DEP_1) | instskip(NEXT) | instid1(VALU_DEP_1)
	v_cndmask_b32_e32 v2, 0x7fc0, v6, vcc_lo
	v_and_b32_e32 v6, 0xffff, v2
.LBB125_75:
	s_or_b32 exec_lo, exec_lo, s0
	v_cmp_gt_u32_e32 vcc_lo, 24, v1
	v_add_nc_u32_e32 v8, 8, v1
	s_mov_b32 s0, exec_lo
	s_waitcnt lgkmcnt(0)
	v_cndmask_b32_e64 v7, 0, 1, vcc_lo
	s_delay_alu instid0(VALU_DEP_1) | instskip(NEXT) | instid1(VALU_DEP_1)
	v_lshlrev_b32_e32 v7, 3, v7
	v_add_lshl_u32 v7, v7, v1, 2
	ds_bpermute_b32 v7, v7, v6
	v_cmpx_lt_u32_e64 v8, v5
	s_cbranch_execz .LBB125_77
; %bb.76:
	v_lshlrev_b32_e32 v2, 16, v6
	s_waitcnt lgkmcnt(0)
	v_lshlrev_b32_e32 v6, 16, v7
	s_delay_alu instid0(VALU_DEP_1) | instskip(NEXT) | instid1(VALU_DEP_1)
	v_add_f32_e32 v2, v2, v6
	v_bfe_u32 v6, v2, 16, 1
	v_cmp_o_f32_e32 vcc_lo, v2, v2
	s_delay_alu instid0(VALU_DEP_2) | instskip(NEXT) | instid1(VALU_DEP_1)
	v_add3_u32 v6, v2, v6, 0x7fff
	v_lshrrev_b32_e32 v6, 16, v6
	s_delay_alu instid0(VALU_DEP_1) | instskip(NEXT) | instid1(VALU_DEP_1)
	v_cndmask_b32_e32 v2, 0x7fc0, v6, vcc_lo
	v_and_b32_e32 v6, 0xffff, v2
.LBB125_77:
	s_or_b32 exec_lo, exec_lo, s0
	v_cmp_gt_u32_e32 vcc_lo, 16, v1
	v_add_nc_u32_e32 v8, 16, v1
	s_mov_b32 s0, exec_lo
	s_waitcnt lgkmcnt(0)
	v_cndmask_b32_e64 v7, 0, 1, vcc_lo
	s_delay_alu instid0(VALU_DEP_1) | instskip(NEXT) | instid1(VALU_DEP_1)
	v_lshlrev_b32_e32 v7, 4, v7
	v_add_lshl_u32 v7, v7, v1, 2
	ds_bpermute_b32 v7, v7, v6
	v_cmpx_lt_u32_e64 v8, v5
	s_cbranch_execz .LBB125_79
; %bb.78:
	v_lshlrev_b32_e32 v2, 16, v6
	s_waitcnt lgkmcnt(0)
	v_lshlrev_b32_e32 v5, 16, v7
	s_delay_alu instid0(VALU_DEP_1) | instskip(NEXT) | instid1(VALU_DEP_1)
	v_add_f32_e32 v2, v2, v5
	v_bfe_u32 v5, v2, 16, 1
	v_cmp_o_f32_e32 vcc_lo, v2, v2
	s_delay_alu instid0(VALU_DEP_2) | instskip(NEXT) | instid1(VALU_DEP_1)
	v_add3_u32 v5, v2, v5, 0x7fff
	v_lshrrev_b32_e32 v5, 16, v5
	s_delay_alu instid0(VALU_DEP_1)
	v_cndmask_b32_e32 v2, 0x7fc0, v5, vcc_lo
.LBB125_79:
	s_or_b32 exec_lo, exec_lo, s0
	s_delay_alu instid0(SALU_CYCLE_1)
	s_mov_b32 s0, exec_lo
	v_cmpx_eq_u32_e32 0, v1
	s_cbranch_execz .LBB125_81
; %bb.80:
	v_lshrrev_b32_e32 v5, 4, v0
	s_delay_alu instid0(VALU_DEP_1)
	v_and_b32_e32 v5, 14, v5
	ds_store_b16 v5, v2
.LBB125_81:
	s_or_b32 exec_lo, exec_lo, s0
	s_delay_alu instid0(SALU_CYCLE_1)
	s_mov_b32 s0, exec_lo
	s_waitcnt lgkmcnt(0)
	s_barrier
	buffer_gl0_inv
	v_cmpx_gt_u32_e32 8, v0
	s_cbranch_execz .LBB125_89
; %bb.82:
	v_lshlrev_b32_e32 v2, 1, v1
	v_and_b32_e32 v5, 7, v1
	s_add_i32 s1, s1, 31
	s_mov_b32 s2, exec_lo
	s_lshr_b32 s1, s1, 5
	ds_load_u16 v2, v2
	v_cmp_ne_u32_e32 vcc_lo, 7, v5
	v_add_nc_u32_e32 v8, 1, v5
	v_add_co_ci_u32_e32 v7, vcc_lo, 0, v1, vcc_lo
	s_delay_alu instid0(VALU_DEP_1)
	v_lshlrev_b32_e32 v7, 2, v7
	s_waitcnt lgkmcnt(0)
	v_and_b32_e32 v6, 0xffff, v2
	ds_bpermute_b32 v7, v7, v6
	v_cmpx_gt_u32_e64 s1, v8
	s_cbranch_execz .LBB125_84
; %bb.83:
	v_lshlrev_b32_e32 v2, 16, v6
	s_waitcnt lgkmcnt(0)
	v_lshlrev_b32_e32 v6, 16, v7
	s_delay_alu instid0(VALU_DEP_1) | instskip(NEXT) | instid1(VALU_DEP_1)
	v_add_f32_e32 v2, v2, v6
	v_bfe_u32 v6, v2, 16, 1
	v_cmp_o_f32_e32 vcc_lo, v2, v2
	s_delay_alu instid0(VALU_DEP_2) | instskip(NEXT) | instid1(VALU_DEP_1)
	v_add3_u32 v6, v2, v6, 0x7fff
	v_lshrrev_b32_e32 v6, 16, v6
	s_delay_alu instid0(VALU_DEP_1) | instskip(NEXT) | instid1(VALU_DEP_1)
	v_cndmask_b32_e32 v2, 0x7fc0, v6, vcc_lo
	v_and_b32_e32 v6, 0xffff, v2
.LBB125_84:
	s_or_b32 exec_lo, exec_lo, s2
	v_cmp_gt_u32_e32 vcc_lo, 6, v5
	v_add_nc_u32_e32 v8, 2, v5
	s_mov_b32 s2, exec_lo
	s_waitcnt lgkmcnt(0)
	v_cndmask_b32_e64 v7, 0, 1, vcc_lo
	s_delay_alu instid0(VALU_DEP_1) | instskip(NEXT) | instid1(VALU_DEP_1)
	v_lshlrev_b32_e32 v7, 1, v7
	v_add_lshl_u32 v7, v7, v1, 2
	ds_bpermute_b32 v7, v7, v6
	v_cmpx_gt_u32_e64 s1, v8
	s_cbranch_execz .LBB125_86
; %bb.85:
	v_lshlrev_b32_e32 v2, 16, v6
	s_waitcnt lgkmcnt(0)
	v_lshlrev_b32_e32 v6, 16, v7
	s_delay_alu instid0(VALU_DEP_1) | instskip(NEXT) | instid1(VALU_DEP_1)
	v_add_f32_e32 v2, v2, v6
	v_bfe_u32 v6, v2, 16, 1
	v_cmp_o_f32_e32 vcc_lo, v2, v2
	s_delay_alu instid0(VALU_DEP_2) | instskip(NEXT) | instid1(VALU_DEP_1)
	v_add3_u32 v6, v2, v6, 0x7fff
	v_lshrrev_b32_e32 v6, 16, v6
	s_delay_alu instid0(VALU_DEP_1) | instskip(NEXT) | instid1(VALU_DEP_1)
	v_cndmask_b32_e32 v2, 0x7fc0, v6, vcc_lo
	v_and_b32_e32 v6, 0xffff, v2
.LBB125_86:
	s_or_b32 exec_lo, exec_lo, s2
	v_cmp_gt_u32_e32 vcc_lo, 4, v5
	v_add_nc_u32_e32 v5, 4, v5
	s_waitcnt lgkmcnt(0)
	v_cndmask_b32_e64 v7, 0, 1, vcc_lo
	s_delay_alu instid0(VALU_DEP_2) | instskip(NEXT) | instid1(VALU_DEP_2)
	v_cmp_gt_u32_e32 vcc_lo, s1, v5
	v_lshlrev_b32_e32 v7, 2, v7
	s_delay_alu instid0(VALU_DEP_1)
	v_add_lshl_u32 v7, v7, v1, 2
	ds_bpermute_b32 v7, v7, v6
	s_and_saveexec_b32 s1, vcc_lo
	s_cbranch_execz .LBB125_88
; %bb.87:
	v_lshlrev_b32_e32 v2, 16, v6
	s_waitcnt lgkmcnt(0)
	v_lshlrev_b32_e32 v5, 16, v7
	s_delay_alu instid0(VALU_DEP_1) | instskip(NEXT) | instid1(VALU_DEP_1)
	v_add_f32_e32 v2, v2, v5
	v_bfe_u32 v5, v2, 16, 1
	v_cmp_o_f32_e32 vcc_lo, v2, v2
	s_delay_alu instid0(VALU_DEP_2) | instskip(NEXT) | instid1(VALU_DEP_1)
	v_add3_u32 v5, v2, v5, 0x7fff
	v_lshrrev_b32_e32 v5, 16, v5
	s_delay_alu instid0(VALU_DEP_1)
	v_cndmask_b32_e32 v2, 0x7fc0, v5, vcc_lo
.LBB125_88:
	s_or_b32 exec_lo, exec_lo, s1
.LBB125_89:
	s_delay_alu instid0(SALU_CYCLE_1)
	s_or_b32 exec_lo, exec_lo, s0
	s_branch .LBB125_112
.LBB125_90:
	v_lshlrev_b32_e32 v2, 1, v18
	global_load_u16 v2, v2, s[26:27]
	s_or_b32 exec_lo, exec_lo, s23
	s_and_saveexec_b32 s23, s14
	s_cbranch_execz .LBB125_40
.LBB125_91:
	v_lshlrev_b32_e32 v17, 16, v17
	s_waitcnt vmcnt(0)
	v_lshlrev_b32_e32 v16, 16, v16
	s_delay_alu instid0(VALU_DEP_1) | instskip(NEXT) | instid1(VALU_DEP_1)
	v_add_f32_e32 v16, v17, v16
	v_bfe_u32 v17, v16, 16, 1
	v_cmp_o_f32_e64 s14, v16, v16
	s_delay_alu instid0(VALU_DEP_2) | instskip(NEXT) | instid1(VALU_DEP_1)
	v_add3_u32 v17, v16, v17, 0x7fff
	v_lshrrev_b32_e32 v17, 16, v17
	s_delay_alu instid0(VALU_DEP_1)
	v_cndmask_b32_e64 v17, 0x7fc0, v17, s14
	s_or_b32 exec_lo, exec_lo, s23
	s_and_saveexec_b32 s14, s13
	s_cbranch_execz .LBB125_41
.LBB125_92:
	s_waitcnt vmcnt(0)
	v_lshlrev_b32_e32 v16, 16, v17
	v_lshlrev_b32_e32 v15, 16, v15
	s_delay_alu instid0(VALU_DEP_1) | instskip(NEXT) | instid1(VALU_DEP_1)
	v_add_f32_e32 v15, v15, v16
	v_bfe_u32 v16, v15, 16, 1
	v_cmp_o_f32_e64 s13, v15, v15
	s_delay_alu instid0(VALU_DEP_2) | instskip(NEXT) | instid1(VALU_DEP_1)
	v_add3_u32 v16, v15, v16, 0x7fff
	v_lshrrev_b32_e32 v16, 16, v16
	s_delay_alu instid0(VALU_DEP_1)
	v_cndmask_b32_e64 v17, 0x7fc0, v16, s13
	s_or_b32 exec_lo, exec_lo, s14
	s_and_saveexec_b32 s13, s12
	s_cbranch_execz .LBB125_42
.LBB125_93:
	s_waitcnt vmcnt(0)
	v_lshlrev_b32_e32 v15, 16, v17
	v_lshlrev_b32_e32 v14, 16, v14
	s_delay_alu instid0(VALU_DEP_1) | instskip(NEXT) | instid1(VALU_DEP_1)
	v_add_f32_e32 v14, v14, v15
	v_bfe_u32 v15, v14, 16, 1
	v_cmp_o_f32_e64 s12, v14, v14
	s_delay_alu instid0(VALU_DEP_2) | instskip(NEXT) | instid1(VALU_DEP_1)
	v_add3_u32 v15, v14, v15, 0x7fff
	v_lshrrev_b32_e32 v15, 16, v15
	s_delay_alu instid0(VALU_DEP_1)
	v_cndmask_b32_e64 v17, 0x7fc0, v15, s12
	s_or_b32 exec_lo, exec_lo, s13
	s_and_saveexec_b32 s12, s11
	s_cbranch_execz .LBB125_43
.LBB125_94:
	s_waitcnt vmcnt(0)
	v_lshlrev_b32_e32 v14, 16, v17
	v_lshlrev_b32_e32 v13, 16, v13
	s_delay_alu instid0(VALU_DEP_1) | instskip(NEXT) | instid1(VALU_DEP_1)
	v_add_f32_e32 v13, v13, v14
	v_bfe_u32 v14, v13, 16, 1
	v_cmp_o_f32_e64 s11, v13, v13
	s_delay_alu instid0(VALU_DEP_2) | instskip(NEXT) | instid1(VALU_DEP_1)
	v_add3_u32 v14, v13, v14, 0x7fff
	v_lshrrev_b32_e32 v14, 16, v14
	s_delay_alu instid0(VALU_DEP_1)
	v_cndmask_b32_e64 v17, 0x7fc0, v14, s11
	s_or_b32 exec_lo, exec_lo, s12
	s_and_saveexec_b32 s11, s10
	s_cbranch_execz .LBB125_44
.LBB125_95:
	s_waitcnt vmcnt(0)
	v_lshlrev_b32_e32 v13, 16, v17
	v_lshlrev_b32_e32 v12, 16, v12
	s_delay_alu instid0(VALU_DEP_1) | instskip(NEXT) | instid1(VALU_DEP_1)
	v_add_f32_e32 v12, v12, v13
	v_bfe_u32 v13, v12, 16, 1
	v_cmp_o_f32_e64 s10, v12, v12
	s_delay_alu instid0(VALU_DEP_2) | instskip(NEXT) | instid1(VALU_DEP_1)
	v_add3_u32 v13, v12, v13, 0x7fff
	v_lshrrev_b32_e32 v13, 16, v13
	s_delay_alu instid0(VALU_DEP_1)
	v_cndmask_b32_e64 v17, 0x7fc0, v13, s10
	s_or_b32 exec_lo, exec_lo, s11
	s_and_saveexec_b32 s10, s9
	s_cbranch_execz .LBB125_45
.LBB125_96:
	s_waitcnt vmcnt(0)
	v_lshlrev_b32_e32 v12, 16, v17
	v_lshlrev_b32_e32 v11, 16, v11
	s_delay_alu instid0(VALU_DEP_1) | instskip(NEXT) | instid1(VALU_DEP_1)
	v_add_f32_e32 v11, v11, v12
	v_bfe_u32 v12, v11, 16, 1
	v_cmp_o_f32_e64 s9, v11, v11
	s_delay_alu instid0(VALU_DEP_2) | instskip(NEXT) | instid1(VALU_DEP_1)
	v_add3_u32 v12, v11, v12, 0x7fff
	v_lshrrev_b32_e32 v12, 16, v12
	s_delay_alu instid0(VALU_DEP_1)
	v_cndmask_b32_e64 v17, 0x7fc0, v12, s9
	s_or_b32 exec_lo, exec_lo, s10
	s_and_saveexec_b32 s9, s8
	s_cbranch_execz .LBB125_46
.LBB125_97:
	s_waitcnt vmcnt(0)
	v_lshlrev_b32_e32 v11, 16, v17
	v_lshlrev_b32_e32 v10, 16, v10
	s_delay_alu instid0(VALU_DEP_1) | instskip(NEXT) | instid1(VALU_DEP_1)
	v_add_f32_e32 v10, v10, v11
	v_bfe_u32 v11, v10, 16, 1
	v_cmp_o_f32_e64 s8, v10, v10
	s_delay_alu instid0(VALU_DEP_2) | instskip(NEXT) | instid1(VALU_DEP_1)
	v_add3_u32 v11, v10, v11, 0x7fff
	v_lshrrev_b32_e32 v11, 16, v11
	s_delay_alu instid0(VALU_DEP_1)
	v_cndmask_b32_e64 v17, 0x7fc0, v11, s8
	s_or_b32 exec_lo, exec_lo, s9
	s_and_saveexec_b32 s8, s7
	s_cbranch_execz .LBB125_47
.LBB125_98:
	s_waitcnt vmcnt(0)
	v_lshlrev_b32_e32 v10, 16, v17
	v_lshlrev_b32_e32 v9, 16, v9
	s_delay_alu instid0(VALU_DEP_1) | instskip(NEXT) | instid1(VALU_DEP_1)
	v_add_f32_e32 v9, v9, v10
	v_bfe_u32 v10, v9, 16, 1
	v_cmp_o_f32_e64 s7, v9, v9
	s_delay_alu instid0(VALU_DEP_2) | instskip(NEXT) | instid1(VALU_DEP_1)
	v_add3_u32 v10, v9, v10, 0x7fff
	v_lshrrev_b32_e32 v10, 16, v10
	s_delay_alu instid0(VALU_DEP_1)
	v_cndmask_b32_e64 v17, 0x7fc0, v10, s7
	s_or_b32 exec_lo, exec_lo, s8
	s_and_saveexec_b32 s7, s6
	s_cbranch_execz .LBB125_48
.LBB125_99:
	s_waitcnt vmcnt(0)
	v_lshlrev_b32_e32 v9, 16, v17
	v_lshlrev_b32_e32 v8, 16, v8
	s_delay_alu instid0(VALU_DEP_1) | instskip(NEXT) | instid1(VALU_DEP_1)
	v_add_f32_e32 v8, v8, v9
	v_bfe_u32 v9, v8, 16, 1
	v_cmp_o_f32_e64 s6, v8, v8
	s_delay_alu instid0(VALU_DEP_2) | instskip(NEXT) | instid1(VALU_DEP_1)
	v_add3_u32 v9, v8, v9, 0x7fff
	v_lshrrev_b32_e32 v9, 16, v9
	s_delay_alu instid0(VALU_DEP_1)
	v_cndmask_b32_e64 v17, 0x7fc0, v9, s6
	s_or_b32 exec_lo, exec_lo, s7
	s_and_saveexec_b32 s6, s5
	s_cbranch_execz .LBB125_49
.LBB125_100:
	s_waitcnt vmcnt(0)
	v_lshlrev_b32_e32 v8, 16, v17
	v_lshlrev_b32_e32 v7, 16, v7
	s_delay_alu instid0(VALU_DEP_1) | instskip(NEXT) | instid1(VALU_DEP_1)
	v_add_f32_e32 v7, v7, v8
	v_bfe_u32 v8, v7, 16, 1
	v_cmp_o_f32_e64 s5, v7, v7
	s_delay_alu instid0(VALU_DEP_2) | instskip(NEXT) | instid1(VALU_DEP_1)
	v_add3_u32 v8, v7, v8, 0x7fff
	v_lshrrev_b32_e32 v8, 16, v8
	s_delay_alu instid0(VALU_DEP_1)
	v_cndmask_b32_e64 v17, 0x7fc0, v8, s5
	s_or_b32 exec_lo, exec_lo, s6
	s_and_saveexec_b32 s5, s4
	s_cbranch_execz .LBB125_50
.LBB125_101:
	s_waitcnt vmcnt(0)
	v_lshlrev_b32_e32 v7, 16, v17
	v_lshlrev_b32_e32 v6, 16, v6
	s_delay_alu instid0(VALU_DEP_1) | instskip(NEXT) | instid1(VALU_DEP_1)
	v_add_f32_e32 v6, v6, v7
	v_bfe_u32 v7, v6, 16, 1
	v_cmp_o_f32_e64 s4, v6, v6
	s_delay_alu instid0(VALU_DEP_2) | instskip(NEXT) | instid1(VALU_DEP_1)
	v_add3_u32 v7, v6, v7, 0x7fff
	v_lshrrev_b32_e32 v7, 16, v7
	s_delay_alu instid0(VALU_DEP_1)
	v_cndmask_b32_e64 v17, 0x7fc0, v7, s4
	s_or_b32 exec_lo, exec_lo, s5
	s_and_saveexec_b32 s4, s3
	s_cbranch_execz .LBB125_51
.LBB125_102:
	s_waitcnt vmcnt(0)
	v_lshlrev_b32_e32 v6, 16, v17
	v_lshlrev_b32_e32 v5, 16, v5
	s_delay_alu instid0(VALU_DEP_1) | instskip(NEXT) | instid1(VALU_DEP_1)
	v_add_f32_e32 v5, v5, v6
	v_bfe_u32 v6, v5, 16, 1
	v_cmp_o_f32_e64 s3, v5, v5
	s_delay_alu instid0(VALU_DEP_2) | instskip(NEXT) | instid1(VALU_DEP_1)
	v_add3_u32 v6, v5, v6, 0x7fff
	v_lshrrev_b32_e32 v6, 16, v6
	s_delay_alu instid0(VALU_DEP_1)
	v_cndmask_b32_e64 v17, 0x7fc0, v6, s3
	s_or_b32 exec_lo, exec_lo, s4
	s_and_saveexec_b32 s3, s2
	s_cbranch_execz .LBB125_52
.LBB125_103:
	s_waitcnt vmcnt(0)
	v_lshlrev_b32_e32 v5, 16, v17
	v_lshlrev_b32_e32 v4, 16, v4
	s_delay_alu instid0(VALU_DEP_1) | instskip(NEXT) | instid1(VALU_DEP_1)
	v_add_f32_e32 v4, v4, v5
	v_bfe_u32 v5, v4, 16, 1
	v_cmp_o_f32_e64 s2, v4, v4
	s_delay_alu instid0(VALU_DEP_2) | instskip(NEXT) | instid1(VALU_DEP_1)
	v_add3_u32 v5, v4, v5, 0x7fff
	v_lshrrev_b32_e32 v5, 16, v5
	s_delay_alu instid0(VALU_DEP_1)
	v_cndmask_b32_e64 v17, 0x7fc0, v5, s2
	s_or_b32 exec_lo, exec_lo, s3
	s_and_saveexec_b32 s2, s1
	s_cbranch_execz .LBB125_53
.LBB125_104:
	s_waitcnt vmcnt(0)
	v_lshlrev_b32_e32 v4, 16, v17
	v_lshlrev_b32_e32 v3, 16, v3
	s_delay_alu instid0(VALU_DEP_1) | instskip(NEXT) | instid1(VALU_DEP_1)
	v_add_f32_e32 v3, v3, v4
	v_bfe_u32 v4, v3, 16, 1
	v_cmp_o_f32_e64 s1, v3, v3
	s_delay_alu instid0(VALU_DEP_2) | instskip(NEXT) | instid1(VALU_DEP_1)
	v_add3_u32 v4, v3, v4, 0x7fff
	v_lshrrev_b32_e32 v4, 16, v4
	s_delay_alu instid0(VALU_DEP_1)
	v_cndmask_b32_e64 v17, 0x7fc0, v4, s1
	s_or_b32 exec_lo, exec_lo, s2
	s_and_saveexec_b32 s1, s0
	s_cbranch_execz .LBB125_54
.LBB125_105:
	s_waitcnt vmcnt(0)
	v_lshlrev_b32_e32 v3, 16, v17
	v_lshlrev_b32_e32 v1, 16, v1
	s_delay_alu instid0(VALU_DEP_1) | instskip(NEXT) | instid1(VALU_DEP_1)
	v_add_f32_e32 v1, v1, v3
	v_bfe_u32 v3, v1, 16, 1
	v_cmp_o_f32_e64 s0, v1, v1
	s_delay_alu instid0(VALU_DEP_2) | instskip(NEXT) | instid1(VALU_DEP_1)
	v_add3_u32 v3, v1, v3, 0x7fff
	v_lshrrev_b32_e32 v3, 16, v3
	s_delay_alu instid0(VALU_DEP_1)
	v_cndmask_b32_e64 v17, 0x7fc0, v3, s0
	s_or_b32 exec_lo, exec_lo, s1
	s_and_saveexec_b32 s0, vcc_lo
	s_cbranch_execnz .LBB125_55
	s_branch .LBB125_56
.LBB125_106:
                                        ; implicit-def: $vgpr2
	s_cbranch_execz .LBB125_112
; %bb.107:
	s_delay_alu instid0(VALU_DEP_1) | instskip(SKIP_2) | instid1(VALU_DEP_2)
	v_mov_b32_dpp v2, v4 quad_perm:[1,0,3,2] row_mask:0xf bank_mask:0xf
	v_lshlrev_b32_e32 v3, 16, v3
	s_mov_b32 s0, exec_lo
	v_lshlrev_b32_e32 v2, 16, v2
	s_delay_alu instid0(VALU_DEP_1) | instskip(NEXT) | instid1(VALU_DEP_1)
	v_add_f32_e32 v2, v3, v2
	v_bfe_u32 v3, v2, 16, 1
	v_cmp_o_f32_e32 vcc_lo, v2, v2
	s_delay_alu instid0(VALU_DEP_2) | instskip(NEXT) | instid1(VALU_DEP_1)
	v_add3_u32 v3, v2, v3, 0x7fff
	v_lshrrev_b32_e32 v3, 16, v3
	s_delay_alu instid0(VALU_DEP_1) | instskip(NEXT) | instid1(VALU_DEP_1)
	v_cndmask_b32_e32 v2, 0x7fc0, v3, vcc_lo
	v_mov_b32_dpp v3, v2 quad_perm:[2,3,0,1] row_mask:0xf bank_mask:0xf
	v_lshlrev_b32_e32 v2, 16, v2
	s_delay_alu instid0(VALU_DEP_2) | instskip(NEXT) | instid1(VALU_DEP_1)
	v_lshlrev_b32_e32 v3, 16, v3
	v_add_f32_e32 v2, v3, v2
	s_delay_alu instid0(VALU_DEP_1) | instskip(SKIP_1) | instid1(VALU_DEP_2)
	v_bfe_u32 v3, v2, 16, 1
	v_cmp_o_f32_e32 vcc_lo, v2, v2
	v_add3_u32 v3, v2, v3, 0x7fff
	s_delay_alu instid0(VALU_DEP_1) | instskip(NEXT) | instid1(VALU_DEP_1)
	v_lshrrev_b32_e32 v3, 16, v3
	v_cndmask_b32_e32 v2, 0x7fc0, v3, vcc_lo
	s_delay_alu instid0(VALU_DEP_1) | instskip(SKIP_1) | instid1(VALU_DEP_2)
	v_mov_b32_dpp v3, v2 row_ror:4 row_mask:0xf bank_mask:0xf
	v_lshlrev_b32_e32 v2, 16, v2
	v_lshlrev_b32_e32 v3, 16, v3
	s_delay_alu instid0(VALU_DEP_1) | instskip(NEXT) | instid1(VALU_DEP_1)
	v_add_f32_e32 v2, v3, v2
	v_bfe_u32 v3, v2, 16, 1
	v_cmp_o_f32_e32 vcc_lo, v2, v2
	s_delay_alu instid0(VALU_DEP_2) | instskip(NEXT) | instid1(VALU_DEP_1)
	v_add3_u32 v3, v2, v3, 0x7fff
	v_lshrrev_b32_e32 v3, 16, v3
	s_delay_alu instid0(VALU_DEP_1) | instskip(NEXT) | instid1(VALU_DEP_1)
	v_cndmask_b32_e32 v2, 0x7fc0, v3, vcc_lo
	v_mov_b32_dpp v3, v2 row_ror:8 row_mask:0xf bank_mask:0xf
	v_lshlrev_b32_e32 v2, 16, v2
	s_delay_alu instid0(VALU_DEP_2) | instskip(NEXT) | instid1(VALU_DEP_1)
	v_lshlrev_b32_e32 v3, 16, v3
	v_add_f32_e32 v2, v3, v2
	s_delay_alu instid0(VALU_DEP_1) | instskip(SKIP_1) | instid1(VALU_DEP_2)
	v_bfe_u32 v3, v2, 16, 1
	v_cmp_o_f32_e32 vcc_lo, v2, v2
	v_add3_u32 v3, v2, v3, 0x7fff
	s_delay_alu instid0(VALU_DEP_1) | instskip(NEXT) | instid1(VALU_DEP_1)
	v_lshrrev_b32_e32 v3, 16, v3
	v_cndmask_b32_e32 v2, 0x7fc0, v3, vcc_lo
	ds_swizzle_b32 v3, v2 offset:swizzle(BROADCAST,32,15)
	v_lshlrev_b32_e32 v2, 16, v2
	s_waitcnt lgkmcnt(0)
	v_lshlrev_b32_e32 v3, 16, v3
	s_delay_alu instid0(VALU_DEP_1) | instskip(NEXT) | instid1(VALU_DEP_1)
	v_add_f32_e32 v2, v3, v2
	v_bfe_u32 v3, v2, 16, 1
	v_cmp_o_f32_e32 vcc_lo, v2, v2
	s_delay_alu instid0(VALU_DEP_2) | instskip(NEXT) | instid1(VALU_DEP_1)
	v_add3_u32 v3, v2, v3, 0x7fff
	v_lshrrev_b32_e32 v3, 16, v3
	s_delay_alu instid0(VALU_DEP_1)
	v_dual_cndmask_b32 v2, 0x7fc0, v3 :: v_dual_mov_b32 v3, 0
	ds_bpermute_b32 v2, v3, v2 offset:124
	v_cmpx_eq_u32_e32 0, v1
	s_cbranch_execz .LBB125_109
; %bb.108:
	v_lshrrev_b32_e32 v3, 4, v0
	s_delay_alu instid0(VALU_DEP_1)
	v_and_b32_e32 v3, 14, v3
	s_waitcnt lgkmcnt(0)
	ds_store_b16 v3, v2
.LBB125_109:
	s_or_b32 exec_lo, exec_lo, s0
	s_delay_alu instid0(SALU_CYCLE_1)
	s_mov_b32 s0, exec_lo
	s_waitcnt lgkmcnt(0)
	s_barrier
	buffer_gl0_inv
	v_cmpx_gt_u32_e32 32, v0
	s_cbranch_execz .LBB125_111
; %bb.110:
	v_and_b32_e32 v2, 7, v1
	s_delay_alu instid0(VALU_DEP_1) | instskip(SKIP_3) | instid1(VALU_DEP_1)
	v_lshlrev_b32_e32 v3, 1, v2
	v_cmp_ne_u32_e32 vcc_lo, 7, v2
	ds_load_u16 v3, v3
	v_add_co_ci_u32_e32 v4, vcc_lo, 0, v1, vcc_lo
	v_lshlrev_b32_e32 v4, 2, v4
	s_waitcnt lgkmcnt(0)
	ds_bpermute_b32 v4, v4, v3
	v_lshlrev_b32_e32 v3, 16, v3
	s_waitcnt lgkmcnt(0)
	v_lshlrev_b32_e32 v4, 16, v4
	s_delay_alu instid0(VALU_DEP_1) | instskip(SKIP_1) | instid1(VALU_DEP_2)
	v_add_f32_e32 v3, v3, v4
	v_cmp_gt_u32_e32 vcc_lo, 6, v2
	v_bfe_u32 v4, v3, 16, 1
	v_cndmask_b32_e64 v5, 0, 1, vcc_lo
	v_cmp_o_f32_e32 vcc_lo, v3, v3
	s_delay_alu instid0(VALU_DEP_3) | instskip(NEXT) | instid1(VALU_DEP_3)
	v_add3_u32 v4, v3, v4, 0x7fff
	v_lshlrev_b32_e32 v5, 1, v5
	s_delay_alu instid0(VALU_DEP_2) | instskip(NEXT) | instid1(VALU_DEP_2)
	v_lshrrev_b32_e32 v4, 16, v4
	v_add_lshl_u32 v5, v5, v1, 2
	s_delay_alu instid0(VALU_DEP_2) | instskip(SKIP_2) | instid1(VALU_DEP_1)
	v_cndmask_b32_e32 v3, 0x7fc0, v4, vcc_lo
	v_cmp_gt_u32_e32 vcc_lo, 4, v2
	v_cndmask_b32_e64 v2, 0, 1, vcc_lo
	v_lshlrev_b32_e32 v2, 2, v2
	ds_bpermute_b32 v4, v5, v3
	v_lshlrev_b32_e32 v3, 16, v3
	v_add_lshl_u32 v1, v2, v1, 2
	s_waitcnt lgkmcnt(0)
	v_lshlrev_b32_e32 v4, 16, v4
	s_delay_alu instid0(VALU_DEP_1) | instskip(NEXT) | instid1(VALU_DEP_1)
	v_add_f32_e32 v3, v4, v3
	v_bfe_u32 v4, v3, 16, 1
	v_cmp_o_f32_e32 vcc_lo, v3, v3
	s_delay_alu instid0(VALU_DEP_2) | instskip(NEXT) | instid1(VALU_DEP_1)
	v_add3_u32 v4, v3, v4, 0x7fff
	v_lshrrev_b32_e32 v4, 16, v4
	s_delay_alu instid0(VALU_DEP_1) | instskip(SKIP_4) | instid1(VALU_DEP_1)
	v_cndmask_b32_e32 v3, 0x7fc0, v4, vcc_lo
	ds_bpermute_b32 v1, v1, v3
	v_lshlrev_b32_e32 v2, 16, v3
	s_waitcnt lgkmcnt(0)
	v_lshlrev_b32_e32 v1, 16, v1
	v_add_f32_e32 v1, v1, v2
	s_delay_alu instid0(VALU_DEP_1) | instskip(SKIP_1) | instid1(VALU_DEP_2)
	v_bfe_u32 v2, v1, 16, 1
	v_cmp_o_f32_e32 vcc_lo, v1, v1
	v_add3_u32 v2, v1, v2, 0x7fff
	s_delay_alu instid0(VALU_DEP_1) | instskip(NEXT) | instid1(VALU_DEP_1)
	v_lshrrev_b32_e32 v2, 16, v2
	v_cndmask_b32_e32 v2, 0x7fc0, v2, vcc_lo
.LBB125_111:
	s_or_b32 exec_lo, exec_lo, s0
.LBB125_112:
	s_delay_alu instid0(SALU_CYCLE_1)
	s_mov_b32 s0, exec_lo
                                        ; implicit-def: $vgpr1
	v_cmpx_eq_u32_e32 0, v0
; %bb.113:
	s_delay_alu instid0(VALU_DEP_2) | instskip(SKIP_2) | instid1(VALU_DEP_1)
	v_lshlrev_b32_e32 v0, 16, v2
	s_lshl_b32 s1, s15, 16
	s_or_b32 s28, s28, exec_lo
	v_add_f32_e32 v0, s1, v0
	s_delay_alu instid0(VALU_DEP_1) | instskip(SKIP_1) | instid1(VALU_DEP_2)
	v_bfe_u32 v1, v0, 16, 1
	v_cmp_o_f32_e32 vcc_lo, v0, v0
	v_add3_u32 v1, v0, v1, 0x7fff
	s_delay_alu instid0(VALU_DEP_1) | instskip(NEXT) | instid1(VALU_DEP_1)
	v_lshrrev_b32_e32 v1, 16, v1
	v_cndmask_b32_e32 v1, 0x7fc0, v1, vcc_lo
; %bb.114:
	s_or_b32 exec_lo, exec_lo, s0
	s_and_saveexec_b32 s0, s28
	s_cbranch_execz .LBB125_116
.LBB125_115:
	s_lshl_b64 s[0:1], s[20:21], 1
	v_mov_b32_e32 v0, 0
	s_add_u32 s2, s18, s0
	s_addc_u32 s3, s19, s1
	s_lshl_b64 s[0:1], s[24:25], 1
	s_delay_alu instid0(SALU_CYCLE_1)
	s_add_u32 s0, s2, s0
	s_addc_u32 s1, s3, s1
	global_store_b16 v0, v1, s[0:1]
.LBB125_116:
	s_nop 0
	s_sendmsg sendmsg(MSG_DEALLOC_VGPRS)
	s_endpgm
	.section	.rodata,"a",@progbits
	.p2align	6, 0x0
	.amdhsa_kernel _ZN7rocprim17ROCPRIM_400000_NS6detail17trampoline_kernelINS0_14default_configENS1_32segmented_reduce_config_selectorIN3c108BFloat16EEEZNS1_21segmented_reduce_implIS3_PKS6_PS6_PKiS6_N6hipcub16HIPCUB_304000_NS6detail27convert_result_type_wrapperISA_SB_N2at6native12_GLOBAL__N_19CustomSumEEEEE10hipError_tPvRmT0_T1_jT2_SS_T4_T3_P12ihipStream_tbEUlT_E_NS1_11comp_targetILNS1_3genE9ELNS1_11target_archE1100ELNS1_3gpuE3ELNS1_3repE0EEENS1_30default_config_static_selectorELNS0_4arch9wavefront6targetE0EEEvSR_
		.amdhsa_group_segment_fixed_size 16
		.amdhsa_private_segment_fixed_size 0
		.amdhsa_kernarg_size 48
		.amdhsa_user_sgpr_count 15
		.amdhsa_user_sgpr_dispatch_ptr 0
		.amdhsa_user_sgpr_queue_ptr 0
		.amdhsa_user_sgpr_kernarg_segment_ptr 1
		.amdhsa_user_sgpr_dispatch_id 0
		.amdhsa_user_sgpr_private_segment_size 0
		.amdhsa_wavefront_size32 1
		.amdhsa_uses_dynamic_stack 0
		.amdhsa_enable_private_segment 0
		.amdhsa_system_sgpr_workgroup_id_x 1
		.amdhsa_system_sgpr_workgroup_id_y 0
		.amdhsa_system_sgpr_workgroup_id_z 0
		.amdhsa_system_sgpr_workgroup_info 0
		.amdhsa_system_vgpr_workitem_id 0
		.amdhsa_next_free_vgpr 24
		.amdhsa_next_free_sgpr 31
		.amdhsa_reserve_vcc 1
		.amdhsa_float_round_mode_32 0
		.amdhsa_float_round_mode_16_64 0
		.amdhsa_float_denorm_mode_32 3
		.amdhsa_float_denorm_mode_16_64 3
		.amdhsa_dx10_clamp 1
		.amdhsa_ieee_mode 1
		.amdhsa_fp16_overflow 0
		.amdhsa_workgroup_processor_mode 1
		.amdhsa_memory_ordered 1
		.amdhsa_forward_progress 0
		.amdhsa_shared_vgpr_count 0
		.amdhsa_exception_fp_ieee_invalid_op 0
		.amdhsa_exception_fp_denorm_src 0
		.amdhsa_exception_fp_ieee_div_zero 0
		.amdhsa_exception_fp_ieee_overflow 0
		.amdhsa_exception_fp_ieee_underflow 0
		.amdhsa_exception_fp_ieee_inexact 0
		.amdhsa_exception_int_div_zero 0
	.end_amdhsa_kernel
	.section	.text._ZN7rocprim17ROCPRIM_400000_NS6detail17trampoline_kernelINS0_14default_configENS1_32segmented_reduce_config_selectorIN3c108BFloat16EEEZNS1_21segmented_reduce_implIS3_PKS6_PS6_PKiS6_N6hipcub16HIPCUB_304000_NS6detail27convert_result_type_wrapperISA_SB_N2at6native12_GLOBAL__N_19CustomSumEEEEE10hipError_tPvRmT0_T1_jT2_SS_T4_T3_P12ihipStream_tbEUlT_E_NS1_11comp_targetILNS1_3genE9ELNS1_11target_archE1100ELNS1_3gpuE3ELNS1_3repE0EEENS1_30default_config_static_selectorELNS0_4arch9wavefront6targetE0EEEvSR_,"axG",@progbits,_ZN7rocprim17ROCPRIM_400000_NS6detail17trampoline_kernelINS0_14default_configENS1_32segmented_reduce_config_selectorIN3c108BFloat16EEEZNS1_21segmented_reduce_implIS3_PKS6_PS6_PKiS6_N6hipcub16HIPCUB_304000_NS6detail27convert_result_type_wrapperISA_SB_N2at6native12_GLOBAL__N_19CustomSumEEEEE10hipError_tPvRmT0_T1_jT2_SS_T4_T3_P12ihipStream_tbEUlT_E_NS1_11comp_targetILNS1_3genE9ELNS1_11target_archE1100ELNS1_3gpuE3ELNS1_3repE0EEENS1_30default_config_static_selectorELNS0_4arch9wavefront6targetE0EEEvSR_,comdat
.Lfunc_end125:
	.size	_ZN7rocprim17ROCPRIM_400000_NS6detail17trampoline_kernelINS0_14default_configENS1_32segmented_reduce_config_selectorIN3c108BFloat16EEEZNS1_21segmented_reduce_implIS3_PKS6_PS6_PKiS6_N6hipcub16HIPCUB_304000_NS6detail27convert_result_type_wrapperISA_SB_N2at6native12_GLOBAL__N_19CustomSumEEEEE10hipError_tPvRmT0_T1_jT2_SS_T4_T3_P12ihipStream_tbEUlT_E_NS1_11comp_targetILNS1_3genE9ELNS1_11target_archE1100ELNS1_3gpuE3ELNS1_3repE0EEENS1_30default_config_static_selectorELNS0_4arch9wavefront6targetE0EEEvSR_, .Lfunc_end125-_ZN7rocprim17ROCPRIM_400000_NS6detail17trampoline_kernelINS0_14default_configENS1_32segmented_reduce_config_selectorIN3c108BFloat16EEEZNS1_21segmented_reduce_implIS3_PKS6_PS6_PKiS6_N6hipcub16HIPCUB_304000_NS6detail27convert_result_type_wrapperISA_SB_N2at6native12_GLOBAL__N_19CustomSumEEEEE10hipError_tPvRmT0_T1_jT2_SS_T4_T3_P12ihipStream_tbEUlT_E_NS1_11comp_targetILNS1_3genE9ELNS1_11target_archE1100ELNS1_3gpuE3ELNS1_3repE0EEENS1_30default_config_static_selectorELNS0_4arch9wavefront6targetE0EEEvSR_
                                        ; -- End function
	.section	.AMDGPU.csdata,"",@progbits
; Kernel info:
; codeLenInByte = 7848
; NumSgprs: 33
; NumVgprs: 24
; ScratchSize: 0
; MemoryBound: 0
; FloatMode: 240
; IeeeMode: 1
; LDSByteSize: 16 bytes/workgroup (compile time only)
; SGPRBlocks: 4
; VGPRBlocks: 2
; NumSGPRsForWavesPerEU: 33
; NumVGPRsForWavesPerEU: 24
; Occupancy: 16
; WaveLimiterHint : 1
; COMPUTE_PGM_RSRC2:SCRATCH_EN: 0
; COMPUTE_PGM_RSRC2:USER_SGPR: 15
; COMPUTE_PGM_RSRC2:TRAP_HANDLER: 0
; COMPUTE_PGM_RSRC2:TGID_X_EN: 1
; COMPUTE_PGM_RSRC2:TGID_Y_EN: 0
; COMPUTE_PGM_RSRC2:TGID_Z_EN: 0
; COMPUTE_PGM_RSRC2:TIDIG_COMP_CNT: 0
	.section	.text._ZN7rocprim17ROCPRIM_400000_NS6detail17trampoline_kernelINS0_14default_configENS1_32segmented_reduce_config_selectorIN3c108BFloat16EEEZNS1_21segmented_reduce_implIS3_PKS6_PS6_PKiS6_N6hipcub16HIPCUB_304000_NS6detail27convert_result_type_wrapperISA_SB_N2at6native12_GLOBAL__N_19CustomSumEEEEE10hipError_tPvRmT0_T1_jT2_SS_T4_T3_P12ihipStream_tbEUlT_E_NS1_11comp_targetILNS1_3genE8ELNS1_11target_archE1030ELNS1_3gpuE2ELNS1_3repE0EEENS1_30default_config_static_selectorELNS0_4arch9wavefront6targetE0EEEvSR_,"axG",@progbits,_ZN7rocprim17ROCPRIM_400000_NS6detail17trampoline_kernelINS0_14default_configENS1_32segmented_reduce_config_selectorIN3c108BFloat16EEEZNS1_21segmented_reduce_implIS3_PKS6_PS6_PKiS6_N6hipcub16HIPCUB_304000_NS6detail27convert_result_type_wrapperISA_SB_N2at6native12_GLOBAL__N_19CustomSumEEEEE10hipError_tPvRmT0_T1_jT2_SS_T4_T3_P12ihipStream_tbEUlT_E_NS1_11comp_targetILNS1_3genE8ELNS1_11target_archE1030ELNS1_3gpuE2ELNS1_3repE0EEENS1_30default_config_static_selectorELNS0_4arch9wavefront6targetE0EEEvSR_,comdat
	.globl	_ZN7rocprim17ROCPRIM_400000_NS6detail17trampoline_kernelINS0_14default_configENS1_32segmented_reduce_config_selectorIN3c108BFloat16EEEZNS1_21segmented_reduce_implIS3_PKS6_PS6_PKiS6_N6hipcub16HIPCUB_304000_NS6detail27convert_result_type_wrapperISA_SB_N2at6native12_GLOBAL__N_19CustomSumEEEEE10hipError_tPvRmT0_T1_jT2_SS_T4_T3_P12ihipStream_tbEUlT_E_NS1_11comp_targetILNS1_3genE8ELNS1_11target_archE1030ELNS1_3gpuE2ELNS1_3repE0EEENS1_30default_config_static_selectorELNS0_4arch9wavefront6targetE0EEEvSR_ ; -- Begin function _ZN7rocprim17ROCPRIM_400000_NS6detail17trampoline_kernelINS0_14default_configENS1_32segmented_reduce_config_selectorIN3c108BFloat16EEEZNS1_21segmented_reduce_implIS3_PKS6_PS6_PKiS6_N6hipcub16HIPCUB_304000_NS6detail27convert_result_type_wrapperISA_SB_N2at6native12_GLOBAL__N_19CustomSumEEEEE10hipError_tPvRmT0_T1_jT2_SS_T4_T3_P12ihipStream_tbEUlT_E_NS1_11comp_targetILNS1_3genE8ELNS1_11target_archE1030ELNS1_3gpuE2ELNS1_3repE0EEENS1_30default_config_static_selectorELNS0_4arch9wavefront6targetE0EEEvSR_
	.p2align	8
	.type	_ZN7rocprim17ROCPRIM_400000_NS6detail17trampoline_kernelINS0_14default_configENS1_32segmented_reduce_config_selectorIN3c108BFloat16EEEZNS1_21segmented_reduce_implIS3_PKS6_PS6_PKiS6_N6hipcub16HIPCUB_304000_NS6detail27convert_result_type_wrapperISA_SB_N2at6native12_GLOBAL__N_19CustomSumEEEEE10hipError_tPvRmT0_T1_jT2_SS_T4_T3_P12ihipStream_tbEUlT_E_NS1_11comp_targetILNS1_3genE8ELNS1_11target_archE1030ELNS1_3gpuE2ELNS1_3repE0EEENS1_30default_config_static_selectorELNS0_4arch9wavefront6targetE0EEEvSR_,@function
_ZN7rocprim17ROCPRIM_400000_NS6detail17trampoline_kernelINS0_14default_configENS1_32segmented_reduce_config_selectorIN3c108BFloat16EEEZNS1_21segmented_reduce_implIS3_PKS6_PS6_PKiS6_N6hipcub16HIPCUB_304000_NS6detail27convert_result_type_wrapperISA_SB_N2at6native12_GLOBAL__N_19CustomSumEEEEE10hipError_tPvRmT0_T1_jT2_SS_T4_T3_P12ihipStream_tbEUlT_E_NS1_11comp_targetILNS1_3genE8ELNS1_11target_archE1030ELNS1_3gpuE2ELNS1_3repE0EEENS1_30default_config_static_selectorELNS0_4arch9wavefront6targetE0EEEvSR_: ; @_ZN7rocprim17ROCPRIM_400000_NS6detail17trampoline_kernelINS0_14default_configENS1_32segmented_reduce_config_selectorIN3c108BFloat16EEEZNS1_21segmented_reduce_implIS3_PKS6_PS6_PKiS6_N6hipcub16HIPCUB_304000_NS6detail27convert_result_type_wrapperISA_SB_N2at6native12_GLOBAL__N_19CustomSumEEEEE10hipError_tPvRmT0_T1_jT2_SS_T4_T3_P12ihipStream_tbEUlT_E_NS1_11comp_targetILNS1_3genE8ELNS1_11target_archE1030ELNS1_3gpuE2ELNS1_3repE0EEENS1_30default_config_static_selectorELNS0_4arch9wavefront6targetE0EEEvSR_
; %bb.0:
	.section	.rodata,"a",@progbits
	.p2align	6, 0x0
	.amdhsa_kernel _ZN7rocprim17ROCPRIM_400000_NS6detail17trampoline_kernelINS0_14default_configENS1_32segmented_reduce_config_selectorIN3c108BFloat16EEEZNS1_21segmented_reduce_implIS3_PKS6_PS6_PKiS6_N6hipcub16HIPCUB_304000_NS6detail27convert_result_type_wrapperISA_SB_N2at6native12_GLOBAL__N_19CustomSumEEEEE10hipError_tPvRmT0_T1_jT2_SS_T4_T3_P12ihipStream_tbEUlT_E_NS1_11comp_targetILNS1_3genE8ELNS1_11target_archE1030ELNS1_3gpuE2ELNS1_3repE0EEENS1_30default_config_static_selectorELNS0_4arch9wavefront6targetE0EEEvSR_
		.amdhsa_group_segment_fixed_size 0
		.amdhsa_private_segment_fixed_size 0
		.amdhsa_kernarg_size 48
		.amdhsa_user_sgpr_count 15
		.amdhsa_user_sgpr_dispatch_ptr 0
		.amdhsa_user_sgpr_queue_ptr 0
		.amdhsa_user_sgpr_kernarg_segment_ptr 1
		.amdhsa_user_sgpr_dispatch_id 0
		.amdhsa_user_sgpr_private_segment_size 0
		.amdhsa_wavefront_size32 1
		.amdhsa_uses_dynamic_stack 0
		.amdhsa_enable_private_segment 0
		.amdhsa_system_sgpr_workgroup_id_x 1
		.amdhsa_system_sgpr_workgroup_id_y 0
		.amdhsa_system_sgpr_workgroup_id_z 0
		.amdhsa_system_sgpr_workgroup_info 0
		.amdhsa_system_vgpr_workitem_id 0
		.amdhsa_next_free_vgpr 1
		.amdhsa_next_free_sgpr 1
		.amdhsa_reserve_vcc 0
		.amdhsa_float_round_mode_32 0
		.amdhsa_float_round_mode_16_64 0
		.amdhsa_float_denorm_mode_32 3
		.amdhsa_float_denorm_mode_16_64 3
		.amdhsa_dx10_clamp 1
		.amdhsa_ieee_mode 1
		.amdhsa_fp16_overflow 0
		.amdhsa_workgroup_processor_mode 1
		.amdhsa_memory_ordered 1
		.amdhsa_forward_progress 0
		.amdhsa_shared_vgpr_count 0
		.amdhsa_exception_fp_ieee_invalid_op 0
		.amdhsa_exception_fp_denorm_src 0
		.amdhsa_exception_fp_ieee_div_zero 0
		.amdhsa_exception_fp_ieee_overflow 0
		.amdhsa_exception_fp_ieee_underflow 0
		.amdhsa_exception_fp_ieee_inexact 0
		.amdhsa_exception_int_div_zero 0
	.end_amdhsa_kernel
	.section	.text._ZN7rocprim17ROCPRIM_400000_NS6detail17trampoline_kernelINS0_14default_configENS1_32segmented_reduce_config_selectorIN3c108BFloat16EEEZNS1_21segmented_reduce_implIS3_PKS6_PS6_PKiS6_N6hipcub16HIPCUB_304000_NS6detail27convert_result_type_wrapperISA_SB_N2at6native12_GLOBAL__N_19CustomSumEEEEE10hipError_tPvRmT0_T1_jT2_SS_T4_T3_P12ihipStream_tbEUlT_E_NS1_11comp_targetILNS1_3genE8ELNS1_11target_archE1030ELNS1_3gpuE2ELNS1_3repE0EEENS1_30default_config_static_selectorELNS0_4arch9wavefront6targetE0EEEvSR_,"axG",@progbits,_ZN7rocprim17ROCPRIM_400000_NS6detail17trampoline_kernelINS0_14default_configENS1_32segmented_reduce_config_selectorIN3c108BFloat16EEEZNS1_21segmented_reduce_implIS3_PKS6_PS6_PKiS6_N6hipcub16HIPCUB_304000_NS6detail27convert_result_type_wrapperISA_SB_N2at6native12_GLOBAL__N_19CustomSumEEEEE10hipError_tPvRmT0_T1_jT2_SS_T4_T3_P12ihipStream_tbEUlT_E_NS1_11comp_targetILNS1_3genE8ELNS1_11target_archE1030ELNS1_3gpuE2ELNS1_3repE0EEENS1_30default_config_static_selectorELNS0_4arch9wavefront6targetE0EEEvSR_,comdat
.Lfunc_end126:
	.size	_ZN7rocprim17ROCPRIM_400000_NS6detail17trampoline_kernelINS0_14default_configENS1_32segmented_reduce_config_selectorIN3c108BFloat16EEEZNS1_21segmented_reduce_implIS3_PKS6_PS6_PKiS6_N6hipcub16HIPCUB_304000_NS6detail27convert_result_type_wrapperISA_SB_N2at6native12_GLOBAL__N_19CustomSumEEEEE10hipError_tPvRmT0_T1_jT2_SS_T4_T3_P12ihipStream_tbEUlT_E_NS1_11comp_targetILNS1_3genE8ELNS1_11target_archE1030ELNS1_3gpuE2ELNS1_3repE0EEENS1_30default_config_static_selectorELNS0_4arch9wavefront6targetE0EEEvSR_, .Lfunc_end126-_ZN7rocprim17ROCPRIM_400000_NS6detail17trampoline_kernelINS0_14default_configENS1_32segmented_reduce_config_selectorIN3c108BFloat16EEEZNS1_21segmented_reduce_implIS3_PKS6_PS6_PKiS6_N6hipcub16HIPCUB_304000_NS6detail27convert_result_type_wrapperISA_SB_N2at6native12_GLOBAL__N_19CustomSumEEEEE10hipError_tPvRmT0_T1_jT2_SS_T4_T3_P12ihipStream_tbEUlT_E_NS1_11comp_targetILNS1_3genE8ELNS1_11target_archE1030ELNS1_3gpuE2ELNS1_3repE0EEENS1_30default_config_static_selectorELNS0_4arch9wavefront6targetE0EEEvSR_
                                        ; -- End function
	.section	.AMDGPU.csdata,"",@progbits
; Kernel info:
; codeLenInByte = 0
; NumSgprs: 0
; NumVgprs: 0
; ScratchSize: 0
; MemoryBound: 0
; FloatMode: 240
; IeeeMode: 1
; LDSByteSize: 0 bytes/workgroup (compile time only)
; SGPRBlocks: 0
; VGPRBlocks: 0
; NumSGPRsForWavesPerEU: 1
; NumVGPRsForWavesPerEU: 1
; Occupancy: 16
; WaveLimiterHint : 0
; COMPUTE_PGM_RSRC2:SCRATCH_EN: 0
; COMPUTE_PGM_RSRC2:USER_SGPR: 15
; COMPUTE_PGM_RSRC2:TRAP_HANDLER: 0
; COMPUTE_PGM_RSRC2:TGID_X_EN: 1
; COMPUTE_PGM_RSRC2:TGID_Y_EN: 0
; COMPUTE_PGM_RSRC2:TGID_Z_EN: 0
; COMPUTE_PGM_RSRC2:TIDIG_COMP_CNT: 0
	.section	.text._ZN2at6native12_GLOBAL__N_119post_sum_div_kernelIN3c108BFloat16EiEEvPT_PKT0_lbS5_,"axG",@progbits,_ZN2at6native12_GLOBAL__N_119post_sum_div_kernelIN3c108BFloat16EiEEvPT_PKT0_lbS5_,comdat
	.globl	_ZN2at6native12_GLOBAL__N_119post_sum_div_kernelIN3c108BFloat16EiEEvPT_PKT0_lbS5_ ; -- Begin function _ZN2at6native12_GLOBAL__N_119post_sum_div_kernelIN3c108BFloat16EiEEvPT_PKT0_lbS5_
	.p2align	8
	.type	_ZN2at6native12_GLOBAL__N_119post_sum_div_kernelIN3c108BFloat16EiEEvPT_PKT0_lbS5_,@function
_ZN2at6native12_GLOBAL__N_119post_sum_div_kernelIN3c108BFloat16EiEEvPT_PKT0_lbS5_: ; @_ZN2at6native12_GLOBAL__N_119post_sum_div_kernelIN3c108BFloat16EiEEvPT_PKT0_lbS5_
; %bb.0:
	s_clause 0x1
	s_load_b32 s6, s[0:1], 0x2c
	s_load_b64 s[2:3], s[0:1], 0x10
	v_mov_b32_e32 v1, 0
	s_add_u32 s4, s0, 32
	s_addc_u32 s5, s1, 0
	s_waitcnt lgkmcnt(0)
	s_and_b32 s8, s6, 0xffff
	s_mov_b32 s6, exec_lo
	v_mad_u64_u32 v[2:3], null, s8, s15, v[0:1]
	s_delay_alu instid0(VALU_DEP_1)
	v_cmpx_gt_i64_e64 s[2:3], v[2:3]
	s_cbranch_execz .LBB127_12
; %bb.1:
	s_load_b32 s9, s[0:1], 0x18
	s_load_b32 s10, s[4:5], 0x0
	s_load_b128 s[4:7], s[0:1], 0x0
	v_dual_mov_b32 v0, v1 :: v_dual_mov_b32 v1, v2
	s_mov_b32 s1, 0
                                        ; implicit-def: $sgpr13
                                        ; implicit-def: $sgpr12
	s_waitcnt lgkmcnt(0)
	s_and_b32 s0, 1, s9
	s_lshr_b32 s9, s9, 16
	s_cmp_eq_u32 s0, 1
	s_mul_i32 s8, s10, s8
	s_cselect_b32 s9, s9, 0x7fc0
	s_mov_b32 s11, s8
                                        ; implicit-def: $sgpr10
	s_branch .LBB127_4
.LBB127_2:                              ;   in Loop: Header=BB127_4 Depth=1
	s_or_b32 exec_lo, exec_lo, s0
	v_add_co_u32 v2, vcc_lo, v2, s8
	v_add_co_ci_u32_e32 v3, vcc_lo, 0, v3, vcc_lo
	v_add_co_u32 v0, s0, v0, 0
	s_delay_alu instid0(VALU_DEP_1) | instskip(NEXT) | instid1(VALU_DEP_3)
	v_add_co_ci_u32_e64 v1, s0, s11, v1, s0
	v_cmp_le_i64_e32 vcc_lo, s[2:3], v[2:3]
	s_and_not1_b32 s0, s13, exec_lo
	s_and_not1_b32 s12, s12, exec_lo
	s_and_b32 s13, vcc_lo, exec_lo
	s_delay_alu instid0(SALU_CYCLE_1)
	s_or_b32 s13, s0, s13
.LBB127_3:                              ;   in Loop: Header=BB127_4 Depth=1
	s_or_b32 exec_lo, exec_lo, s14
	s_delay_alu instid0(SALU_CYCLE_1) | instskip(NEXT) | instid1(SALU_CYCLE_1)
	s_and_b32 s0, exec_lo, s13
	s_or_b32 s1, s0, s1
	s_and_not1_b32 s0, s10, exec_lo
	s_and_b32 s10, s12, exec_lo
	s_delay_alu instid0(SALU_CYCLE_1)
	s_or_b32 s10, s0, s10
	s_and_not1_b32 exec_lo, exec_lo, s1
	s_cbranch_execz .LBB127_11
.LBB127_4:                              ; =>This Inner Loop Header: Depth=1
	v_ashrrev_i64 v[4:5], 30, v[0:1]
	s_or_b32 s12, s12, exec_lo
	s_or_b32 s13, s13, exec_lo
	s_mov_b32 s14, exec_lo
	s_delay_alu instid0(VALU_DEP_1) | instskip(NEXT) | instid1(VALU_DEP_2)
	v_add_co_u32 v4, vcc_lo, s6, v4
	v_add_co_ci_u32_e32 v5, vcc_lo, s7, v5, vcc_lo
	global_load_b32 v6, v[4:5], off
	s_waitcnt vmcnt(0)
	v_cmpx_lt_i32_e32 -1, v6
	s_cbranch_execz .LBB127_3
; %bb.5:                                ;   in Loop: Header=BB127_4 Depth=1
	v_ashrrev_i32_e32 v5, 31, v1
	v_dual_mov_b32 v4, v1 :: v_dual_mov_b32 v7, s9
	s_mov_b32 s15, -1
	s_delay_alu instid0(VALU_DEP_1) | instskip(NEXT) | instid1(VALU_DEP_1)
	v_lshlrev_b64 v[4:5], 1, v[4:5]
	v_add_co_u32 v4, s0, s4, v4
	s_delay_alu instid0(VALU_DEP_1)
	v_add_co_ci_u32_e64 v5, s0, s5, v5, s0
	s_mov_b32 s0, exec_lo
	v_cmpx_ne_u32_e32 0, v6
	s_cbranch_execz .LBB127_9
; %bb.6:                                ;   in Loop: Header=BB127_4 Depth=1
	global_load_u16 v7, v[4:5], off
	s_mov_b32 s15, 0
	s_mov_b32 s16, exec_lo
	s_waitcnt vmcnt(0)
	v_lshlrev_b32_e32 v8, 16, v7
                                        ; implicit-def: $vgpr7
	s_delay_alu instid0(VALU_DEP_1)
	v_cmpx_o_f32_e32 v8, v8
	s_cbranch_execz .LBB127_8
; %bb.7:                                ;   in Loop: Header=BB127_4 Depth=1
	v_cvt_f32_u32_e32 v6, v6
	s_mov_b32 s15, exec_lo
	s_delay_alu instid0(VALU_DEP_1) | instskip(NEXT) | instid1(VALU_DEP_1)
	v_bfe_u32 v7, v6, 16, 1
	v_add3_u32 v6, v6, v7, 0x7fff
	s_delay_alu instid0(VALU_DEP_1) | instskip(NEXT) | instid1(VALU_DEP_1)
	v_and_b32_e32 v6, 0xffff0000, v6
	v_div_scale_f32 v7, null, v6, v6, v8
	s_delay_alu instid0(VALU_DEP_1) | instskip(SKIP_2) | instid1(VALU_DEP_1)
	v_rcp_f32_e32 v9, v7
	s_waitcnt_depctr 0xfff
	v_fma_f32 v10, -v7, v9, 1.0
	v_fmac_f32_e32 v9, v10, v9
	v_div_scale_f32 v10, vcc_lo, v8, v6, v8
	s_delay_alu instid0(VALU_DEP_1) | instskip(NEXT) | instid1(VALU_DEP_1)
	v_mul_f32_e32 v11, v10, v9
	v_fma_f32 v12, -v7, v11, v10
	s_delay_alu instid0(VALU_DEP_1) | instskip(NEXT) | instid1(VALU_DEP_1)
	v_fmac_f32_e32 v11, v12, v9
	v_fma_f32 v7, -v7, v11, v10
	s_delay_alu instid0(VALU_DEP_1) | instskip(NEXT) | instid1(VALU_DEP_1)
	v_div_fmas_f32 v7, v7, v9, v11
	v_div_fixup_f32 v6, v7, v6, v8
	s_delay_alu instid0(VALU_DEP_1) | instskip(SKIP_1) | instid1(VALU_DEP_2)
	v_bfe_u32 v7, v6, 16, 1
	v_cmp_o_f32_e32 vcc_lo, v6, v6
	v_add3_u32 v7, v6, v7, 0x7fff
	s_delay_alu instid0(VALU_DEP_1) | instskip(NEXT) | instid1(VALU_DEP_1)
	v_lshrrev_b32_e32 v7, 16, v7
	v_cndmask_b32_e32 v7, 0x7fc0, v7, vcc_lo
.LBB127_8:                              ;   in Loop: Header=BB127_4 Depth=1
	s_or_b32 exec_lo, exec_lo, s16
	s_delay_alu instid0(SALU_CYCLE_1)
	s_or_not1_b32 s15, s15, exec_lo
.LBB127_9:                              ;   in Loop: Header=BB127_4 Depth=1
	s_or_b32 exec_lo, exec_lo, s0
	s_and_saveexec_b32 s0, s15
	s_cbranch_execz .LBB127_2
; %bb.10:                               ;   in Loop: Header=BB127_4 Depth=1
	global_store_b16 v[4:5], v7, off
	s_branch .LBB127_2
.LBB127_11:
	s_or_b32 exec_lo, exec_lo, s1
	s_and_saveexec_b32 s0, s10
	s_delay_alu instid0(SALU_CYCLE_1)
	s_xor_b32 s0, exec_lo, s0
	s_cbranch_execnz .LBB127_13
.LBB127_12:
	s_nop 0
	s_sendmsg sendmsg(MSG_DEALLOC_VGPRS)
	s_endpgm
.LBB127_13:
	s_cbranch_execnz .LBB127_15
; %bb.14:
	; divergent unreachable
	s_nop 0
	s_sendmsg sendmsg(MSG_DEALLOC_VGPRS)
	s_endpgm
.LBB127_15:
	s_trap 2
	s_sendmsg_rtn_b32 s0, sendmsg(MSG_RTN_GET_DOORBELL)
	s_mov_b32 ttmp2, m0
	s_waitcnt lgkmcnt(0)
	s_and_b32 s0, s0, 0x3ff
	s_delay_alu instid0(SALU_CYCLE_1) | instskip(NEXT) | instid1(SALU_CYCLE_1)
	s_bitset1_b32 s0, 10
	s_mov_b32 m0, s0
	s_sendmsg sendmsg(MSG_INTERRUPT)
	s_mov_b32 m0, ttmp2
.LBB127_16:                             ; =>This Inner Loop Header: Depth=1
	s_sethalt 5
	s_branch .LBB127_16
	.section	.rodata,"a",@progbits
	.p2align	6, 0x0
	.amdhsa_kernel _ZN2at6native12_GLOBAL__N_119post_sum_div_kernelIN3c108BFloat16EiEEvPT_PKT0_lbS5_
		.amdhsa_group_segment_fixed_size 0
		.amdhsa_private_segment_fixed_size 0
		.amdhsa_kernarg_size 288
		.amdhsa_user_sgpr_count 15
		.amdhsa_user_sgpr_dispatch_ptr 0
		.amdhsa_user_sgpr_queue_ptr 0
		.amdhsa_user_sgpr_kernarg_segment_ptr 1
		.amdhsa_user_sgpr_dispatch_id 0
		.amdhsa_user_sgpr_private_segment_size 0
		.amdhsa_wavefront_size32 1
		.amdhsa_uses_dynamic_stack 0
		.amdhsa_enable_private_segment 0
		.amdhsa_system_sgpr_workgroup_id_x 1
		.amdhsa_system_sgpr_workgroup_id_y 0
		.amdhsa_system_sgpr_workgroup_id_z 0
		.amdhsa_system_sgpr_workgroup_info 0
		.amdhsa_system_vgpr_workitem_id 0
		.amdhsa_next_free_vgpr 13
		.amdhsa_next_free_sgpr 17
		.amdhsa_reserve_vcc 1
		.amdhsa_float_round_mode_32 0
		.amdhsa_float_round_mode_16_64 0
		.amdhsa_float_denorm_mode_32 3
		.amdhsa_float_denorm_mode_16_64 3
		.amdhsa_dx10_clamp 1
		.amdhsa_ieee_mode 1
		.amdhsa_fp16_overflow 0
		.amdhsa_workgroup_processor_mode 1
		.amdhsa_memory_ordered 1
		.amdhsa_forward_progress 0
		.amdhsa_shared_vgpr_count 0
		.amdhsa_exception_fp_ieee_invalid_op 0
		.amdhsa_exception_fp_denorm_src 0
		.amdhsa_exception_fp_ieee_div_zero 0
		.amdhsa_exception_fp_ieee_overflow 0
		.amdhsa_exception_fp_ieee_underflow 0
		.amdhsa_exception_fp_ieee_inexact 0
		.amdhsa_exception_int_div_zero 0
	.end_amdhsa_kernel
	.section	.text._ZN2at6native12_GLOBAL__N_119post_sum_div_kernelIN3c108BFloat16EiEEvPT_PKT0_lbS5_,"axG",@progbits,_ZN2at6native12_GLOBAL__N_119post_sum_div_kernelIN3c108BFloat16EiEEvPT_PKT0_lbS5_,comdat
.Lfunc_end127:
	.size	_ZN2at6native12_GLOBAL__N_119post_sum_div_kernelIN3c108BFloat16EiEEvPT_PKT0_lbS5_, .Lfunc_end127-_ZN2at6native12_GLOBAL__N_119post_sum_div_kernelIN3c108BFloat16EiEEvPT_PKT0_lbS5_
                                        ; -- End function
	.section	.AMDGPU.csdata,"",@progbits
; Kernel info:
; codeLenInByte = 712
; NumSgprs: 19
; NumVgprs: 13
; ScratchSize: 0
; MemoryBound: 0
; FloatMode: 240
; IeeeMode: 1
; LDSByteSize: 0 bytes/workgroup (compile time only)
; SGPRBlocks: 2
; VGPRBlocks: 1
; NumSGPRsForWavesPerEU: 19
; NumVGPRsForWavesPerEU: 13
; Occupancy: 16
; WaveLimiterHint : 0
; COMPUTE_PGM_RSRC2:SCRATCH_EN: 0
; COMPUTE_PGM_RSRC2:USER_SGPR: 15
; COMPUTE_PGM_RSRC2:TRAP_HANDLER: 0
; COMPUTE_PGM_RSRC2:TGID_X_EN: 1
; COMPUTE_PGM_RSRC2:TGID_Y_EN: 0
; COMPUTE_PGM_RSRC2:TGID_Z_EN: 0
; COMPUTE_PGM_RSRC2:TIDIG_COMP_CNT: 0
	.section	.text._ZN7rocprim17ROCPRIM_400000_NS6detail17trampoline_kernelINS0_14default_configENS1_32segmented_reduce_config_selectorIN3c108BFloat16EEEZNS1_21segmented_reduce_implIS3_PKS6_PS6_PKiS6_N6hipcub16HIPCUB_304000_NS6detail27convert_result_type_wrapperISA_SB_N2at6native12_GLOBAL__N_19CustomMinEEEEE10hipError_tPvRmT0_T1_jT2_SS_T4_T3_P12ihipStream_tbEUlT_E_NS1_11comp_targetILNS1_3genE0ELNS1_11target_archE4294967295ELNS1_3gpuE0ELNS1_3repE0EEENS1_30default_config_static_selectorELNS0_4arch9wavefront6targetE0EEEvSR_,"axG",@progbits,_ZN7rocprim17ROCPRIM_400000_NS6detail17trampoline_kernelINS0_14default_configENS1_32segmented_reduce_config_selectorIN3c108BFloat16EEEZNS1_21segmented_reduce_implIS3_PKS6_PS6_PKiS6_N6hipcub16HIPCUB_304000_NS6detail27convert_result_type_wrapperISA_SB_N2at6native12_GLOBAL__N_19CustomMinEEEEE10hipError_tPvRmT0_T1_jT2_SS_T4_T3_P12ihipStream_tbEUlT_E_NS1_11comp_targetILNS1_3genE0ELNS1_11target_archE4294967295ELNS1_3gpuE0ELNS1_3repE0EEENS1_30default_config_static_selectorELNS0_4arch9wavefront6targetE0EEEvSR_,comdat
	.globl	_ZN7rocprim17ROCPRIM_400000_NS6detail17trampoline_kernelINS0_14default_configENS1_32segmented_reduce_config_selectorIN3c108BFloat16EEEZNS1_21segmented_reduce_implIS3_PKS6_PS6_PKiS6_N6hipcub16HIPCUB_304000_NS6detail27convert_result_type_wrapperISA_SB_N2at6native12_GLOBAL__N_19CustomMinEEEEE10hipError_tPvRmT0_T1_jT2_SS_T4_T3_P12ihipStream_tbEUlT_E_NS1_11comp_targetILNS1_3genE0ELNS1_11target_archE4294967295ELNS1_3gpuE0ELNS1_3repE0EEENS1_30default_config_static_selectorELNS0_4arch9wavefront6targetE0EEEvSR_ ; -- Begin function _ZN7rocprim17ROCPRIM_400000_NS6detail17trampoline_kernelINS0_14default_configENS1_32segmented_reduce_config_selectorIN3c108BFloat16EEEZNS1_21segmented_reduce_implIS3_PKS6_PS6_PKiS6_N6hipcub16HIPCUB_304000_NS6detail27convert_result_type_wrapperISA_SB_N2at6native12_GLOBAL__N_19CustomMinEEEEE10hipError_tPvRmT0_T1_jT2_SS_T4_T3_P12ihipStream_tbEUlT_E_NS1_11comp_targetILNS1_3genE0ELNS1_11target_archE4294967295ELNS1_3gpuE0ELNS1_3repE0EEENS1_30default_config_static_selectorELNS0_4arch9wavefront6targetE0EEEvSR_
	.p2align	8
	.type	_ZN7rocprim17ROCPRIM_400000_NS6detail17trampoline_kernelINS0_14default_configENS1_32segmented_reduce_config_selectorIN3c108BFloat16EEEZNS1_21segmented_reduce_implIS3_PKS6_PS6_PKiS6_N6hipcub16HIPCUB_304000_NS6detail27convert_result_type_wrapperISA_SB_N2at6native12_GLOBAL__N_19CustomMinEEEEE10hipError_tPvRmT0_T1_jT2_SS_T4_T3_P12ihipStream_tbEUlT_E_NS1_11comp_targetILNS1_3genE0ELNS1_11target_archE4294967295ELNS1_3gpuE0ELNS1_3repE0EEENS1_30default_config_static_selectorELNS0_4arch9wavefront6targetE0EEEvSR_,@function
_ZN7rocprim17ROCPRIM_400000_NS6detail17trampoline_kernelINS0_14default_configENS1_32segmented_reduce_config_selectorIN3c108BFloat16EEEZNS1_21segmented_reduce_implIS3_PKS6_PS6_PKiS6_N6hipcub16HIPCUB_304000_NS6detail27convert_result_type_wrapperISA_SB_N2at6native12_GLOBAL__N_19CustomMinEEEEE10hipError_tPvRmT0_T1_jT2_SS_T4_T3_P12ihipStream_tbEUlT_E_NS1_11comp_targetILNS1_3genE0ELNS1_11target_archE4294967295ELNS1_3gpuE0ELNS1_3repE0EEENS1_30default_config_static_selectorELNS0_4arch9wavefront6targetE0EEEvSR_: ; @_ZN7rocprim17ROCPRIM_400000_NS6detail17trampoline_kernelINS0_14default_configENS1_32segmented_reduce_config_selectorIN3c108BFloat16EEEZNS1_21segmented_reduce_implIS3_PKS6_PS6_PKiS6_N6hipcub16HIPCUB_304000_NS6detail27convert_result_type_wrapperISA_SB_N2at6native12_GLOBAL__N_19CustomMinEEEEE10hipError_tPvRmT0_T1_jT2_SS_T4_T3_P12ihipStream_tbEUlT_E_NS1_11comp_targetILNS1_3genE0ELNS1_11target_archE4294967295ELNS1_3gpuE0ELNS1_3repE0EEENS1_30default_config_static_selectorELNS0_4arch9wavefront6targetE0EEEvSR_
; %bb.0:
	.section	.rodata,"a",@progbits
	.p2align	6, 0x0
	.amdhsa_kernel _ZN7rocprim17ROCPRIM_400000_NS6detail17trampoline_kernelINS0_14default_configENS1_32segmented_reduce_config_selectorIN3c108BFloat16EEEZNS1_21segmented_reduce_implIS3_PKS6_PS6_PKiS6_N6hipcub16HIPCUB_304000_NS6detail27convert_result_type_wrapperISA_SB_N2at6native12_GLOBAL__N_19CustomMinEEEEE10hipError_tPvRmT0_T1_jT2_SS_T4_T3_P12ihipStream_tbEUlT_E_NS1_11comp_targetILNS1_3genE0ELNS1_11target_archE4294967295ELNS1_3gpuE0ELNS1_3repE0EEENS1_30default_config_static_selectorELNS0_4arch9wavefront6targetE0EEEvSR_
		.amdhsa_group_segment_fixed_size 0
		.amdhsa_private_segment_fixed_size 0
		.amdhsa_kernarg_size 48
		.amdhsa_user_sgpr_count 15
		.amdhsa_user_sgpr_dispatch_ptr 0
		.amdhsa_user_sgpr_queue_ptr 0
		.amdhsa_user_sgpr_kernarg_segment_ptr 1
		.amdhsa_user_sgpr_dispatch_id 0
		.amdhsa_user_sgpr_private_segment_size 0
		.amdhsa_wavefront_size32 1
		.amdhsa_uses_dynamic_stack 0
		.amdhsa_enable_private_segment 0
		.amdhsa_system_sgpr_workgroup_id_x 1
		.amdhsa_system_sgpr_workgroup_id_y 0
		.amdhsa_system_sgpr_workgroup_id_z 0
		.amdhsa_system_sgpr_workgroup_info 0
		.amdhsa_system_vgpr_workitem_id 0
		.amdhsa_next_free_vgpr 1
		.amdhsa_next_free_sgpr 1
		.amdhsa_reserve_vcc 0
		.amdhsa_float_round_mode_32 0
		.amdhsa_float_round_mode_16_64 0
		.amdhsa_float_denorm_mode_32 3
		.amdhsa_float_denorm_mode_16_64 3
		.amdhsa_dx10_clamp 1
		.amdhsa_ieee_mode 1
		.amdhsa_fp16_overflow 0
		.amdhsa_workgroup_processor_mode 1
		.amdhsa_memory_ordered 1
		.amdhsa_forward_progress 0
		.amdhsa_shared_vgpr_count 0
		.amdhsa_exception_fp_ieee_invalid_op 0
		.amdhsa_exception_fp_denorm_src 0
		.amdhsa_exception_fp_ieee_div_zero 0
		.amdhsa_exception_fp_ieee_overflow 0
		.amdhsa_exception_fp_ieee_underflow 0
		.amdhsa_exception_fp_ieee_inexact 0
		.amdhsa_exception_int_div_zero 0
	.end_amdhsa_kernel
	.section	.text._ZN7rocprim17ROCPRIM_400000_NS6detail17trampoline_kernelINS0_14default_configENS1_32segmented_reduce_config_selectorIN3c108BFloat16EEEZNS1_21segmented_reduce_implIS3_PKS6_PS6_PKiS6_N6hipcub16HIPCUB_304000_NS6detail27convert_result_type_wrapperISA_SB_N2at6native12_GLOBAL__N_19CustomMinEEEEE10hipError_tPvRmT0_T1_jT2_SS_T4_T3_P12ihipStream_tbEUlT_E_NS1_11comp_targetILNS1_3genE0ELNS1_11target_archE4294967295ELNS1_3gpuE0ELNS1_3repE0EEENS1_30default_config_static_selectorELNS0_4arch9wavefront6targetE0EEEvSR_,"axG",@progbits,_ZN7rocprim17ROCPRIM_400000_NS6detail17trampoline_kernelINS0_14default_configENS1_32segmented_reduce_config_selectorIN3c108BFloat16EEEZNS1_21segmented_reduce_implIS3_PKS6_PS6_PKiS6_N6hipcub16HIPCUB_304000_NS6detail27convert_result_type_wrapperISA_SB_N2at6native12_GLOBAL__N_19CustomMinEEEEE10hipError_tPvRmT0_T1_jT2_SS_T4_T3_P12ihipStream_tbEUlT_E_NS1_11comp_targetILNS1_3genE0ELNS1_11target_archE4294967295ELNS1_3gpuE0ELNS1_3repE0EEENS1_30default_config_static_selectorELNS0_4arch9wavefront6targetE0EEEvSR_,comdat
.Lfunc_end128:
	.size	_ZN7rocprim17ROCPRIM_400000_NS6detail17trampoline_kernelINS0_14default_configENS1_32segmented_reduce_config_selectorIN3c108BFloat16EEEZNS1_21segmented_reduce_implIS3_PKS6_PS6_PKiS6_N6hipcub16HIPCUB_304000_NS6detail27convert_result_type_wrapperISA_SB_N2at6native12_GLOBAL__N_19CustomMinEEEEE10hipError_tPvRmT0_T1_jT2_SS_T4_T3_P12ihipStream_tbEUlT_E_NS1_11comp_targetILNS1_3genE0ELNS1_11target_archE4294967295ELNS1_3gpuE0ELNS1_3repE0EEENS1_30default_config_static_selectorELNS0_4arch9wavefront6targetE0EEEvSR_, .Lfunc_end128-_ZN7rocprim17ROCPRIM_400000_NS6detail17trampoline_kernelINS0_14default_configENS1_32segmented_reduce_config_selectorIN3c108BFloat16EEEZNS1_21segmented_reduce_implIS3_PKS6_PS6_PKiS6_N6hipcub16HIPCUB_304000_NS6detail27convert_result_type_wrapperISA_SB_N2at6native12_GLOBAL__N_19CustomMinEEEEE10hipError_tPvRmT0_T1_jT2_SS_T4_T3_P12ihipStream_tbEUlT_E_NS1_11comp_targetILNS1_3genE0ELNS1_11target_archE4294967295ELNS1_3gpuE0ELNS1_3repE0EEENS1_30default_config_static_selectorELNS0_4arch9wavefront6targetE0EEEvSR_
                                        ; -- End function
	.section	.AMDGPU.csdata,"",@progbits
; Kernel info:
; codeLenInByte = 0
; NumSgprs: 0
; NumVgprs: 0
; ScratchSize: 0
; MemoryBound: 0
; FloatMode: 240
; IeeeMode: 1
; LDSByteSize: 0 bytes/workgroup (compile time only)
; SGPRBlocks: 0
; VGPRBlocks: 0
; NumSGPRsForWavesPerEU: 1
; NumVGPRsForWavesPerEU: 1
; Occupancy: 16
; WaveLimiterHint : 0
; COMPUTE_PGM_RSRC2:SCRATCH_EN: 0
; COMPUTE_PGM_RSRC2:USER_SGPR: 15
; COMPUTE_PGM_RSRC2:TRAP_HANDLER: 0
; COMPUTE_PGM_RSRC2:TGID_X_EN: 1
; COMPUTE_PGM_RSRC2:TGID_Y_EN: 0
; COMPUTE_PGM_RSRC2:TGID_Z_EN: 0
; COMPUTE_PGM_RSRC2:TIDIG_COMP_CNT: 0
	.section	.text._ZN7rocprim17ROCPRIM_400000_NS6detail17trampoline_kernelINS0_14default_configENS1_32segmented_reduce_config_selectorIN3c108BFloat16EEEZNS1_21segmented_reduce_implIS3_PKS6_PS6_PKiS6_N6hipcub16HIPCUB_304000_NS6detail27convert_result_type_wrapperISA_SB_N2at6native12_GLOBAL__N_19CustomMinEEEEE10hipError_tPvRmT0_T1_jT2_SS_T4_T3_P12ihipStream_tbEUlT_E_NS1_11comp_targetILNS1_3genE5ELNS1_11target_archE942ELNS1_3gpuE9ELNS1_3repE0EEENS1_30default_config_static_selectorELNS0_4arch9wavefront6targetE0EEEvSR_,"axG",@progbits,_ZN7rocprim17ROCPRIM_400000_NS6detail17trampoline_kernelINS0_14default_configENS1_32segmented_reduce_config_selectorIN3c108BFloat16EEEZNS1_21segmented_reduce_implIS3_PKS6_PS6_PKiS6_N6hipcub16HIPCUB_304000_NS6detail27convert_result_type_wrapperISA_SB_N2at6native12_GLOBAL__N_19CustomMinEEEEE10hipError_tPvRmT0_T1_jT2_SS_T4_T3_P12ihipStream_tbEUlT_E_NS1_11comp_targetILNS1_3genE5ELNS1_11target_archE942ELNS1_3gpuE9ELNS1_3repE0EEENS1_30default_config_static_selectorELNS0_4arch9wavefront6targetE0EEEvSR_,comdat
	.globl	_ZN7rocprim17ROCPRIM_400000_NS6detail17trampoline_kernelINS0_14default_configENS1_32segmented_reduce_config_selectorIN3c108BFloat16EEEZNS1_21segmented_reduce_implIS3_PKS6_PS6_PKiS6_N6hipcub16HIPCUB_304000_NS6detail27convert_result_type_wrapperISA_SB_N2at6native12_GLOBAL__N_19CustomMinEEEEE10hipError_tPvRmT0_T1_jT2_SS_T4_T3_P12ihipStream_tbEUlT_E_NS1_11comp_targetILNS1_3genE5ELNS1_11target_archE942ELNS1_3gpuE9ELNS1_3repE0EEENS1_30default_config_static_selectorELNS0_4arch9wavefront6targetE0EEEvSR_ ; -- Begin function _ZN7rocprim17ROCPRIM_400000_NS6detail17trampoline_kernelINS0_14default_configENS1_32segmented_reduce_config_selectorIN3c108BFloat16EEEZNS1_21segmented_reduce_implIS3_PKS6_PS6_PKiS6_N6hipcub16HIPCUB_304000_NS6detail27convert_result_type_wrapperISA_SB_N2at6native12_GLOBAL__N_19CustomMinEEEEE10hipError_tPvRmT0_T1_jT2_SS_T4_T3_P12ihipStream_tbEUlT_E_NS1_11comp_targetILNS1_3genE5ELNS1_11target_archE942ELNS1_3gpuE9ELNS1_3repE0EEENS1_30default_config_static_selectorELNS0_4arch9wavefront6targetE0EEEvSR_
	.p2align	8
	.type	_ZN7rocprim17ROCPRIM_400000_NS6detail17trampoline_kernelINS0_14default_configENS1_32segmented_reduce_config_selectorIN3c108BFloat16EEEZNS1_21segmented_reduce_implIS3_PKS6_PS6_PKiS6_N6hipcub16HIPCUB_304000_NS6detail27convert_result_type_wrapperISA_SB_N2at6native12_GLOBAL__N_19CustomMinEEEEE10hipError_tPvRmT0_T1_jT2_SS_T4_T3_P12ihipStream_tbEUlT_E_NS1_11comp_targetILNS1_3genE5ELNS1_11target_archE942ELNS1_3gpuE9ELNS1_3repE0EEENS1_30default_config_static_selectorELNS0_4arch9wavefront6targetE0EEEvSR_,@function
_ZN7rocprim17ROCPRIM_400000_NS6detail17trampoline_kernelINS0_14default_configENS1_32segmented_reduce_config_selectorIN3c108BFloat16EEEZNS1_21segmented_reduce_implIS3_PKS6_PS6_PKiS6_N6hipcub16HIPCUB_304000_NS6detail27convert_result_type_wrapperISA_SB_N2at6native12_GLOBAL__N_19CustomMinEEEEE10hipError_tPvRmT0_T1_jT2_SS_T4_T3_P12ihipStream_tbEUlT_E_NS1_11comp_targetILNS1_3genE5ELNS1_11target_archE942ELNS1_3gpuE9ELNS1_3repE0EEENS1_30default_config_static_selectorELNS0_4arch9wavefront6targetE0EEEvSR_: ; @_ZN7rocprim17ROCPRIM_400000_NS6detail17trampoline_kernelINS0_14default_configENS1_32segmented_reduce_config_selectorIN3c108BFloat16EEEZNS1_21segmented_reduce_implIS3_PKS6_PS6_PKiS6_N6hipcub16HIPCUB_304000_NS6detail27convert_result_type_wrapperISA_SB_N2at6native12_GLOBAL__N_19CustomMinEEEEE10hipError_tPvRmT0_T1_jT2_SS_T4_T3_P12ihipStream_tbEUlT_E_NS1_11comp_targetILNS1_3genE5ELNS1_11target_archE942ELNS1_3gpuE9ELNS1_3repE0EEENS1_30default_config_static_selectorELNS0_4arch9wavefront6targetE0EEEvSR_
; %bb.0:
	.section	.rodata,"a",@progbits
	.p2align	6, 0x0
	.amdhsa_kernel _ZN7rocprim17ROCPRIM_400000_NS6detail17trampoline_kernelINS0_14default_configENS1_32segmented_reduce_config_selectorIN3c108BFloat16EEEZNS1_21segmented_reduce_implIS3_PKS6_PS6_PKiS6_N6hipcub16HIPCUB_304000_NS6detail27convert_result_type_wrapperISA_SB_N2at6native12_GLOBAL__N_19CustomMinEEEEE10hipError_tPvRmT0_T1_jT2_SS_T4_T3_P12ihipStream_tbEUlT_E_NS1_11comp_targetILNS1_3genE5ELNS1_11target_archE942ELNS1_3gpuE9ELNS1_3repE0EEENS1_30default_config_static_selectorELNS0_4arch9wavefront6targetE0EEEvSR_
		.amdhsa_group_segment_fixed_size 0
		.amdhsa_private_segment_fixed_size 0
		.amdhsa_kernarg_size 48
		.amdhsa_user_sgpr_count 15
		.amdhsa_user_sgpr_dispatch_ptr 0
		.amdhsa_user_sgpr_queue_ptr 0
		.amdhsa_user_sgpr_kernarg_segment_ptr 1
		.amdhsa_user_sgpr_dispatch_id 0
		.amdhsa_user_sgpr_private_segment_size 0
		.amdhsa_wavefront_size32 1
		.amdhsa_uses_dynamic_stack 0
		.amdhsa_enable_private_segment 0
		.amdhsa_system_sgpr_workgroup_id_x 1
		.amdhsa_system_sgpr_workgroup_id_y 0
		.amdhsa_system_sgpr_workgroup_id_z 0
		.amdhsa_system_sgpr_workgroup_info 0
		.amdhsa_system_vgpr_workitem_id 0
		.amdhsa_next_free_vgpr 1
		.amdhsa_next_free_sgpr 1
		.amdhsa_reserve_vcc 0
		.amdhsa_float_round_mode_32 0
		.amdhsa_float_round_mode_16_64 0
		.amdhsa_float_denorm_mode_32 3
		.amdhsa_float_denorm_mode_16_64 3
		.amdhsa_dx10_clamp 1
		.amdhsa_ieee_mode 1
		.amdhsa_fp16_overflow 0
		.amdhsa_workgroup_processor_mode 1
		.amdhsa_memory_ordered 1
		.amdhsa_forward_progress 0
		.amdhsa_shared_vgpr_count 0
		.amdhsa_exception_fp_ieee_invalid_op 0
		.amdhsa_exception_fp_denorm_src 0
		.amdhsa_exception_fp_ieee_div_zero 0
		.amdhsa_exception_fp_ieee_overflow 0
		.amdhsa_exception_fp_ieee_underflow 0
		.amdhsa_exception_fp_ieee_inexact 0
		.amdhsa_exception_int_div_zero 0
	.end_amdhsa_kernel
	.section	.text._ZN7rocprim17ROCPRIM_400000_NS6detail17trampoline_kernelINS0_14default_configENS1_32segmented_reduce_config_selectorIN3c108BFloat16EEEZNS1_21segmented_reduce_implIS3_PKS6_PS6_PKiS6_N6hipcub16HIPCUB_304000_NS6detail27convert_result_type_wrapperISA_SB_N2at6native12_GLOBAL__N_19CustomMinEEEEE10hipError_tPvRmT0_T1_jT2_SS_T4_T3_P12ihipStream_tbEUlT_E_NS1_11comp_targetILNS1_3genE5ELNS1_11target_archE942ELNS1_3gpuE9ELNS1_3repE0EEENS1_30default_config_static_selectorELNS0_4arch9wavefront6targetE0EEEvSR_,"axG",@progbits,_ZN7rocprim17ROCPRIM_400000_NS6detail17trampoline_kernelINS0_14default_configENS1_32segmented_reduce_config_selectorIN3c108BFloat16EEEZNS1_21segmented_reduce_implIS3_PKS6_PS6_PKiS6_N6hipcub16HIPCUB_304000_NS6detail27convert_result_type_wrapperISA_SB_N2at6native12_GLOBAL__N_19CustomMinEEEEE10hipError_tPvRmT0_T1_jT2_SS_T4_T3_P12ihipStream_tbEUlT_E_NS1_11comp_targetILNS1_3genE5ELNS1_11target_archE942ELNS1_3gpuE9ELNS1_3repE0EEENS1_30default_config_static_selectorELNS0_4arch9wavefront6targetE0EEEvSR_,comdat
.Lfunc_end129:
	.size	_ZN7rocprim17ROCPRIM_400000_NS6detail17trampoline_kernelINS0_14default_configENS1_32segmented_reduce_config_selectorIN3c108BFloat16EEEZNS1_21segmented_reduce_implIS3_PKS6_PS6_PKiS6_N6hipcub16HIPCUB_304000_NS6detail27convert_result_type_wrapperISA_SB_N2at6native12_GLOBAL__N_19CustomMinEEEEE10hipError_tPvRmT0_T1_jT2_SS_T4_T3_P12ihipStream_tbEUlT_E_NS1_11comp_targetILNS1_3genE5ELNS1_11target_archE942ELNS1_3gpuE9ELNS1_3repE0EEENS1_30default_config_static_selectorELNS0_4arch9wavefront6targetE0EEEvSR_, .Lfunc_end129-_ZN7rocprim17ROCPRIM_400000_NS6detail17trampoline_kernelINS0_14default_configENS1_32segmented_reduce_config_selectorIN3c108BFloat16EEEZNS1_21segmented_reduce_implIS3_PKS6_PS6_PKiS6_N6hipcub16HIPCUB_304000_NS6detail27convert_result_type_wrapperISA_SB_N2at6native12_GLOBAL__N_19CustomMinEEEEE10hipError_tPvRmT0_T1_jT2_SS_T4_T3_P12ihipStream_tbEUlT_E_NS1_11comp_targetILNS1_3genE5ELNS1_11target_archE942ELNS1_3gpuE9ELNS1_3repE0EEENS1_30default_config_static_selectorELNS0_4arch9wavefront6targetE0EEEvSR_
                                        ; -- End function
	.section	.AMDGPU.csdata,"",@progbits
; Kernel info:
; codeLenInByte = 0
; NumSgprs: 0
; NumVgprs: 0
; ScratchSize: 0
; MemoryBound: 0
; FloatMode: 240
; IeeeMode: 1
; LDSByteSize: 0 bytes/workgroup (compile time only)
; SGPRBlocks: 0
; VGPRBlocks: 0
; NumSGPRsForWavesPerEU: 1
; NumVGPRsForWavesPerEU: 1
; Occupancy: 16
; WaveLimiterHint : 0
; COMPUTE_PGM_RSRC2:SCRATCH_EN: 0
; COMPUTE_PGM_RSRC2:USER_SGPR: 15
; COMPUTE_PGM_RSRC2:TRAP_HANDLER: 0
; COMPUTE_PGM_RSRC2:TGID_X_EN: 1
; COMPUTE_PGM_RSRC2:TGID_Y_EN: 0
; COMPUTE_PGM_RSRC2:TGID_Z_EN: 0
; COMPUTE_PGM_RSRC2:TIDIG_COMP_CNT: 0
	.section	.text._ZN7rocprim17ROCPRIM_400000_NS6detail17trampoline_kernelINS0_14default_configENS1_32segmented_reduce_config_selectorIN3c108BFloat16EEEZNS1_21segmented_reduce_implIS3_PKS6_PS6_PKiS6_N6hipcub16HIPCUB_304000_NS6detail27convert_result_type_wrapperISA_SB_N2at6native12_GLOBAL__N_19CustomMinEEEEE10hipError_tPvRmT0_T1_jT2_SS_T4_T3_P12ihipStream_tbEUlT_E_NS1_11comp_targetILNS1_3genE10ELNS1_11target_archE1201ELNS1_3gpuE5ELNS1_3repE0EEENS1_30default_config_static_selectorELNS0_4arch9wavefront6targetE0EEEvSR_,"axG",@progbits,_ZN7rocprim17ROCPRIM_400000_NS6detail17trampoline_kernelINS0_14default_configENS1_32segmented_reduce_config_selectorIN3c108BFloat16EEEZNS1_21segmented_reduce_implIS3_PKS6_PS6_PKiS6_N6hipcub16HIPCUB_304000_NS6detail27convert_result_type_wrapperISA_SB_N2at6native12_GLOBAL__N_19CustomMinEEEEE10hipError_tPvRmT0_T1_jT2_SS_T4_T3_P12ihipStream_tbEUlT_E_NS1_11comp_targetILNS1_3genE10ELNS1_11target_archE1201ELNS1_3gpuE5ELNS1_3repE0EEENS1_30default_config_static_selectorELNS0_4arch9wavefront6targetE0EEEvSR_,comdat
	.globl	_ZN7rocprim17ROCPRIM_400000_NS6detail17trampoline_kernelINS0_14default_configENS1_32segmented_reduce_config_selectorIN3c108BFloat16EEEZNS1_21segmented_reduce_implIS3_PKS6_PS6_PKiS6_N6hipcub16HIPCUB_304000_NS6detail27convert_result_type_wrapperISA_SB_N2at6native12_GLOBAL__N_19CustomMinEEEEE10hipError_tPvRmT0_T1_jT2_SS_T4_T3_P12ihipStream_tbEUlT_E_NS1_11comp_targetILNS1_3genE10ELNS1_11target_archE1201ELNS1_3gpuE5ELNS1_3repE0EEENS1_30default_config_static_selectorELNS0_4arch9wavefront6targetE0EEEvSR_ ; -- Begin function _ZN7rocprim17ROCPRIM_400000_NS6detail17trampoline_kernelINS0_14default_configENS1_32segmented_reduce_config_selectorIN3c108BFloat16EEEZNS1_21segmented_reduce_implIS3_PKS6_PS6_PKiS6_N6hipcub16HIPCUB_304000_NS6detail27convert_result_type_wrapperISA_SB_N2at6native12_GLOBAL__N_19CustomMinEEEEE10hipError_tPvRmT0_T1_jT2_SS_T4_T3_P12ihipStream_tbEUlT_E_NS1_11comp_targetILNS1_3genE10ELNS1_11target_archE1201ELNS1_3gpuE5ELNS1_3repE0EEENS1_30default_config_static_selectorELNS0_4arch9wavefront6targetE0EEEvSR_
	.p2align	8
	.type	_ZN7rocprim17ROCPRIM_400000_NS6detail17trampoline_kernelINS0_14default_configENS1_32segmented_reduce_config_selectorIN3c108BFloat16EEEZNS1_21segmented_reduce_implIS3_PKS6_PS6_PKiS6_N6hipcub16HIPCUB_304000_NS6detail27convert_result_type_wrapperISA_SB_N2at6native12_GLOBAL__N_19CustomMinEEEEE10hipError_tPvRmT0_T1_jT2_SS_T4_T3_P12ihipStream_tbEUlT_E_NS1_11comp_targetILNS1_3genE10ELNS1_11target_archE1201ELNS1_3gpuE5ELNS1_3repE0EEENS1_30default_config_static_selectorELNS0_4arch9wavefront6targetE0EEEvSR_,@function
_ZN7rocprim17ROCPRIM_400000_NS6detail17trampoline_kernelINS0_14default_configENS1_32segmented_reduce_config_selectorIN3c108BFloat16EEEZNS1_21segmented_reduce_implIS3_PKS6_PS6_PKiS6_N6hipcub16HIPCUB_304000_NS6detail27convert_result_type_wrapperISA_SB_N2at6native12_GLOBAL__N_19CustomMinEEEEE10hipError_tPvRmT0_T1_jT2_SS_T4_T3_P12ihipStream_tbEUlT_E_NS1_11comp_targetILNS1_3genE10ELNS1_11target_archE1201ELNS1_3gpuE5ELNS1_3repE0EEENS1_30default_config_static_selectorELNS0_4arch9wavefront6targetE0EEEvSR_: ; @_ZN7rocprim17ROCPRIM_400000_NS6detail17trampoline_kernelINS0_14default_configENS1_32segmented_reduce_config_selectorIN3c108BFloat16EEEZNS1_21segmented_reduce_implIS3_PKS6_PS6_PKiS6_N6hipcub16HIPCUB_304000_NS6detail27convert_result_type_wrapperISA_SB_N2at6native12_GLOBAL__N_19CustomMinEEEEE10hipError_tPvRmT0_T1_jT2_SS_T4_T3_P12ihipStream_tbEUlT_E_NS1_11comp_targetILNS1_3genE10ELNS1_11target_archE1201ELNS1_3gpuE5ELNS1_3repE0EEENS1_30default_config_static_selectorELNS0_4arch9wavefront6targetE0EEEvSR_
; %bb.0:
	.section	.rodata,"a",@progbits
	.p2align	6, 0x0
	.amdhsa_kernel _ZN7rocprim17ROCPRIM_400000_NS6detail17trampoline_kernelINS0_14default_configENS1_32segmented_reduce_config_selectorIN3c108BFloat16EEEZNS1_21segmented_reduce_implIS3_PKS6_PS6_PKiS6_N6hipcub16HIPCUB_304000_NS6detail27convert_result_type_wrapperISA_SB_N2at6native12_GLOBAL__N_19CustomMinEEEEE10hipError_tPvRmT0_T1_jT2_SS_T4_T3_P12ihipStream_tbEUlT_E_NS1_11comp_targetILNS1_3genE10ELNS1_11target_archE1201ELNS1_3gpuE5ELNS1_3repE0EEENS1_30default_config_static_selectorELNS0_4arch9wavefront6targetE0EEEvSR_
		.amdhsa_group_segment_fixed_size 0
		.amdhsa_private_segment_fixed_size 0
		.amdhsa_kernarg_size 48
		.amdhsa_user_sgpr_count 15
		.amdhsa_user_sgpr_dispatch_ptr 0
		.amdhsa_user_sgpr_queue_ptr 0
		.amdhsa_user_sgpr_kernarg_segment_ptr 1
		.amdhsa_user_sgpr_dispatch_id 0
		.amdhsa_user_sgpr_private_segment_size 0
		.amdhsa_wavefront_size32 1
		.amdhsa_uses_dynamic_stack 0
		.amdhsa_enable_private_segment 0
		.amdhsa_system_sgpr_workgroup_id_x 1
		.amdhsa_system_sgpr_workgroup_id_y 0
		.amdhsa_system_sgpr_workgroup_id_z 0
		.amdhsa_system_sgpr_workgroup_info 0
		.amdhsa_system_vgpr_workitem_id 0
		.amdhsa_next_free_vgpr 1
		.amdhsa_next_free_sgpr 1
		.amdhsa_reserve_vcc 0
		.amdhsa_float_round_mode_32 0
		.amdhsa_float_round_mode_16_64 0
		.amdhsa_float_denorm_mode_32 3
		.amdhsa_float_denorm_mode_16_64 3
		.amdhsa_dx10_clamp 1
		.amdhsa_ieee_mode 1
		.amdhsa_fp16_overflow 0
		.amdhsa_workgroup_processor_mode 1
		.amdhsa_memory_ordered 1
		.amdhsa_forward_progress 0
		.amdhsa_shared_vgpr_count 0
		.amdhsa_exception_fp_ieee_invalid_op 0
		.amdhsa_exception_fp_denorm_src 0
		.amdhsa_exception_fp_ieee_div_zero 0
		.amdhsa_exception_fp_ieee_overflow 0
		.amdhsa_exception_fp_ieee_underflow 0
		.amdhsa_exception_fp_ieee_inexact 0
		.amdhsa_exception_int_div_zero 0
	.end_amdhsa_kernel
	.section	.text._ZN7rocprim17ROCPRIM_400000_NS6detail17trampoline_kernelINS0_14default_configENS1_32segmented_reduce_config_selectorIN3c108BFloat16EEEZNS1_21segmented_reduce_implIS3_PKS6_PS6_PKiS6_N6hipcub16HIPCUB_304000_NS6detail27convert_result_type_wrapperISA_SB_N2at6native12_GLOBAL__N_19CustomMinEEEEE10hipError_tPvRmT0_T1_jT2_SS_T4_T3_P12ihipStream_tbEUlT_E_NS1_11comp_targetILNS1_3genE10ELNS1_11target_archE1201ELNS1_3gpuE5ELNS1_3repE0EEENS1_30default_config_static_selectorELNS0_4arch9wavefront6targetE0EEEvSR_,"axG",@progbits,_ZN7rocprim17ROCPRIM_400000_NS6detail17trampoline_kernelINS0_14default_configENS1_32segmented_reduce_config_selectorIN3c108BFloat16EEEZNS1_21segmented_reduce_implIS3_PKS6_PS6_PKiS6_N6hipcub16HIPCUB_304000_NS6detail27convert_result_type_wrapperISA_SB_N2at6native12_GLOBAL__N_19CustomMinEEEEE10hipError_tPvRmT0_T1_jT2_SS_T4_T3_P12ihipStream_tbEUlT_E_NS1_11comp_targetILNS1_3genE10ELNS1_11target_archE1201ELNS1_3gpuE5ELNS1_3repE0EEENS1_30default_config_static_selectorELNS0_4arch9wavefront6targetE0EEEvSR_,comdat
.Lfunc_end130:
	.size	_ZN7rocprim17ROCPRIM_400000_NS6detail17trampoline_kernelINS0_14default_configENS1_32segmented_reduce_config_selectorIN3c108BFloat16EEEZNS1_21segmented_reduce_implIS3_PKS6_PS6_PKiS6_N6hipcub16HIPCUB_304000_NS6detail27convert_result_type_wrapperISA_SB_N2at6native12_GLOBAL__N_19CustomMinEEEEE10hipError_tPvRmT0_T1_jT2_SS_T4_T3_P12ihipStream_tbEUlT_E_NS1_11comp_targetILNS1_3genE10ELNS1_11target_archE1201ELNS1_3gpuE5ELNS1_3repE0EEENS1_30default_config_static_selectorELNS0_4arch9wavefront6targetE0EEEvSR_, .Lfunc_end130-_ZN7rocprim17ROCPRIM_400000_NS6detail17trampoline_kernelINS0_14default_configENS1_32segmented_reduce_config_selectorIN3c108BFloat16EEEZNS1_21segmented_reduce_implIS3_PKS6_PS6_PKiS6_N6hipcub16HIPCUB_304000_NS6detail27convert_result_type_wrapperISA_SB_N2at6native12_GLOBAL__N_19CustomMinEEEEE10hipError_tPvRmT0_T1_jT2_SS_T4_T3_P12ihipStream_tbEUlT_E_NS1_11comp_targetILNS1_3genE10ELNS1_11target_archE1201ELNS1_3gpuE5ELNS1_3repE0EEENS1_30default_config_static_selectorELNS0_4arch9wavefront6targetE0EEEvSR_
                                        ; -- End function
	.section	.AMDGPU.csdata,"",@progbits
; Kernel info:
; codeLenInByte = 0
; NumSgprs: 0
; NumVgprs: 0
; ScratchSize: 0
; MemoryBound: 0
; FloatMode: 240
; IeeeMode: 1
; LDSByteSize: 0 bytes/workgroup (compile time only)
; SGPRBlocks: 0
; VGPRBlocks: 0
; NumSGPRsForWavesPerEU: 1
; NumVGPRsForWavesPerEU: 1
; Occupancy: 16
; WaveLimiterHint : 0
; COMPUTE_PGM_RSRC2:SCRATCH_EN: 0
; COMPUTE_PGM_RSRC2:USER_SGPR: 15
; COMPUTE_PGM_RSRC2:TRAP_HANDLER: 0
; COMPUTE_PGM_RSRC2:TGID_X_EN: 1
; COMPUTE_PGM_RSRC2:TGID_Y_EN: 0
; COMPUTE_PGM_RSRC2:TGID_Z_EN: 0
; COMPUTE_PGM_RSRC2:TIDIG_COMP_CNT: 0
	.section	.text._ZN7rocprim17ROCPRIM_400000_NS6detail17trampoline_kernelINS0_14default_configENS1_32segmented_reduce_config_selectorIN3c108BFloat16EEEZNS1_21segmented_reduce_implIS3_PKS6_PS6_PKiS6_N6hipcub16HIPCUB_304000_NS6detail27convert_result_type_wrapperISA_SB_N2at6native12_GLOBAL__N_19CustomMinEEEEE10hipError_tPvRmT0_T1_jT2_SS_T4_T3_P12ihipStream_tbEUlT_E_NS1_11comp_targetILNS1_3genE4ELNS1_11target_archE910ELNS1_3gpuE8ELNS1_3repE0EEENS1_30default_config_static_selectorELNS0_4arch9wavefront6targetE0EEEvSR_,"axG",@progbits,_ZN7rocprim17ROCPRIM_400000_NS6detail17trampoline_kernelINS0_14default_configENS1_32segmented_reduce_config_selectorIN3c108BFloat16EEEZNS1_21segmented_reduce_implIS3_PKS6_PS6_PKiS6_N6hipcub16HIPCUB_304000_NS6detail27convert_result_type_wrapperISA_SB_N2at6native12_GLOBAL__N_19CustomMinEEEEE10hipError_tPvRmT0_T1_jT2_SS_T4_T3_P12ihipStream_tbEUlT_E_NS1_11comp_targetILNS1_3genE4ELNS1_11target_archE910ELNS1_3gpuE8ELNS1_3repE0EEENS1_30default_config_static_selectorELNS0_4arch9wavefront6targetE0EEEvSR_,comdat
	.globl	_ZN7rocprim17ROCPRIM_400000_NS6detail17trampoline_kernelINS0_14default_configENS1_32segmented_reduce_config_selectorIN3c108BFloat16EEEZNS1_21segmented_reduce_implIS3_PKS6_PS6_PKiS6_N6hipcub16HIPCUB_304000_NS6detail27convert_result_type_wrapperISA_SB_N2at6native12_GLOBAL__N_19CustomMinEEEEE10hipError_tPvRmT0_T1_jT2_SS_T4_T3_P12ihipStream_tbEUlT_E_NS1_11comp_targetILNS1_3genE4ELNS1_11target_archE910ELNS1_3gpuE8ELNS1_3repE0EEENS1_30default_config_static_selectorELNS0_4arch9wavefront6targetE0EEEvSR_ ; -- Begin function _ZN7rocprim17ROCPRIM_400000_NS6detail17trampoline_kernelINS0_14default_configENS1_32segmented_reduce_config_selectorIN3c108BFloat16EEEZNS1_21segmented_reduce_implIS3_PKS6_PS6_PKiS6_N6hipcub16HIPCUB_304000_NS6detail27convert_result_type_wrapperISA_SB_N2at6native12_GLOBAL__N_19CustomMinEEEEE10hipError_tPvRmT0_T1_jT2_SS_T4_T3_P12ihipStream_tbEUlT_E_NS1_11comp_targetILNS1_3genE4ELNS1_11target_archE910ELNS1_3gpuE8ELNS1_3repE0EEENS1_30default_config_static_selectorELNS0_4arch9wavefront6targetE0EEEvSR_
	.p2align	8
	.type	_ZN7rocprim17ROCPRIM_400000_NS6detail17trampoline_kernelINS0_14default_configENS1_32segmented_reduce_config_selectorIN3c108BFloat16EEEZNS1_21segmented_reduce_implIS3_PKS6_PS6_PKiS6_N6hipcub16HIPCUB_304000_NS6detail27convert_result_type_wrapperISA_SB_N2at6native12_GLOBAL__N_19CustomMinEEEEE10hipError_tPvRmT0_T1_jT2_SS_T4_T3_P12ihipStream_tbEUlT_E_NS1_11comp_targetILNS1_3genE4ELNS1_11target_archE910ELNS1_3gpuE8ELNS1_3repE0EEENS1_30default_config_static_selectorELNS0_4arch9wavefront6targetE0EEEvSR_,@function
_ZN7rocprim17ROCPRIM_400000_NS6detail17trampoline_kernelINS0_14default_configENS1_32segmented_reduce_config_selectorIN3c108BFloat16EEEZNS1_21segmented_reduce_implIS3_PKS6_PS6_PKiS6_N6hipcub16HIPCUB_304000_NS6detail27convert_result_type_wrapperISA_SB_N2at6native12_GLOBAL__N_19CustomMinEEEEE10hipError_tPvRmT0_T1_jT2_SS_T4_T3_P12ihipStream_tbEUlT_E_NS1_11comp_targetILNS1_3genE4ELNS1_11target_archE910ELNS1_3gpuE8ELNS1_3repE0EEENS1_30default_config_static_selectorELNS0_4arch9wavefront6targetE0EEEvSR_: ; @_ZN7rocprim17ROCPRIM_400000_NS6detail17trampoline_kernelINS0_14default_configENS1_32segmented_reduce_config_selectorIN3c108BFloat16EEEZNS1_21segmented_reduce_implIS3_PKS6_PS6_PKiS6_N6hipcub16HIPCUB_304000_NS6detail27convert_result_type_wrapperISA_SB_N2at6native12_GLOBAL__N_19CustomMinEEEEE10hipError_tPvRmT0_T1_jT2_SS_T4_T3_P12ihipStream_tbEUlT_E_NS1_11comp_targetILNS1_3genE4ELNS1_11target_archE910ELNS1_3gpuE8ELNS1_3repE0EEENS1_30default_config_static_selectorELNS0_4arch9wavefront6targetE0EEEvSR_
; %bb.0:
	.section	.rodata,"a",@progbits
	.p2align	6, 0x0
	.amdhsa_kernel _ZN7rocprim17ROCPRIM_400000_NS6detail17trampoline_kernelINS0_14default_configENS1_32segmented_reduce_config_selectorIN3c108BFloat16EEEZNS1_21segmented_reduce_implIS3_PKS6_PS6_PKiS6_N6hipcub16HIPCUB_304000_NS6detail27convert_result_type_wrapperISA_SB_N2at6native12_GLOBAL__N_19CustomMinEEEEE10hipError_tPvRmT0_T1_jT2_SS_T4_T3_P12ihipStream_tbEUlT_E_NS1_11comp_targetILNS1_3genE4ELNS1_11target_archE910ELNS1_3gpuE8ELNS1_3repE0EEENS1_30default_config_static_selectorELNS0_4arch9wavefront6targetE0EEEvSR_
		.amdhsa_group_segment_fixed_size 0
		.amdhsa_private_segment_fixed_size 0
		.amdhsa_kernarg_size 48
		.amdhsa_user_sgpr_count 15
		.amdhsa_user_sgpr_dispatch_ptr 0
		.amdhsa_user_sgpr_queue_ptr 0
		.amdhsa_user_sgpr_kernarg_segment_ptr 1
		.amdhsa_user_sgpr_dispatch_id 0
		.amdhsa_user_sgpr_private_segment_size 0
		.amdhsa_wavefront_size32 1
		.amdhsa_uses_dynamic_stack 0
		.amdhsa_enable_private_segment 0
		.amdhsa_system_sgpr_workgroup_id_x 1
		.amdhsa_system_sgpr_workgroup_id_y 0
		.amdhsa_system_sgpr_workgroup_id_z 0
		.amdhsa_system_sgpr_workgroup_info 0
		.amdhsa_system_vgpr_workitem_id 0
		.amdhsa_next_free_vgpr 1
		.amdhsa_next_free_sgpr 1
		.amdhsa_reserve_vcc 0
		.amdhsa_float_round_mode_32 0
		.amdhsa_float_round_mode_16_64 0
		.amdhsa_float_denorm_mode_32 3
		.amdhsa_float_denorm_mode_16_64 3
		.amdhsa_dx10_clamp 1
		.amdhsa_ieee_mode 1
		.amdhsa_fp16_overflow 0
		.amdhsa_workgroup_processor_mode 1
		.amdhsa_memory_ordered 1
		.amdhsa_forward_progress 0
		.amdhsa_shared_vgpr_count 0
		.amdhsa_exception_fp_ieee_invalid_op 0
		.amdhsa_exception_fp_denorm_src 0
		.amdhsa_exception_fp_ieee_div_zero 0
		.amdhsa_exception_fp_ieee_overflow 0
		.amdhsa_exception_fp_ieee_underflow 0
		.amdhsa_exception_fp_ieee_inexact 0
		.amdhsa_exception_int_div_zero 0
	.end_amdhsa_kernel
	.section	.text._ZN7rocprim17ROCPRIM_400000_NS6detail17trampoline_kernelINS0_14default_configENS1_32segmented_reduce_config_selectorIN3c108BFloat16EEEZNS1_21segmented_reduce_implIS3_PKS6_PS6_PKiS6_N6hipcub16HIPCUB_304000_NS6detail27convert_result_type_wrapperISA_SB_N2at6native12_GLOBAL__N_19CustomMinEEEEE10hipError_tPvRmT0_T1_jT2_SS_T4_T3_P12ihipStream_tbEUlT_E_NS1_11comp_targetILNS1_3genE4ELNS1_11target_archE910ELNS1_3gpuE8ELNS1_3repE0EEENS1_30default_config_static_selectorELNS0_4arch9wavefront6targetE0EEEvSR_,"axG",@progbits,_ZN7rocprim17ROCPRIM_400000_NS6detail17trampoline_kernelINS0_14default_configENS1_32segmented_reduce_config_selectorIN3c108BFloat16EEEZNS1_21segmented_reduce_implIS3_PKS6_PS6_PKiS6_N6hipcub16HIPCUB_304000_NS6detail27convert_result_type_wrapperISA_SB_N2at6native12_GLOBAL__N_19CustomMinEEEEE10hipError_tPvRmT0_T1_jT2_SS_T4_T3_P12ihipStream_tbEUlT_E_NS1_11comp_targetILNS1_3genE4ELNS1_11target_archE910ELNS1_3gpuE8ELNS1_3repE0EEENS1_30default_config_static_selectorELNS0_4arch9wavefront6targetE0EEEvSR_,comdat
.Lfunc_end131:
	.size	_ZN7rocprim17ROCPRIM_400000_NS6detail17trampoline_kernelINS0_14default_configENS1_32segmented_reduce_config_selectorIN3c108BFloat16EEEZNS1_21segmented_reduce_implIS3_PKS6_PS6_PKiS6_N6hipcub16HIPCUB_304000_NS6detail27convert_result_type_wrapperISA_SB_N2at6native12_GLOBAL__N_19CustomMinEEEEE10hipError_tPvRmT0_T1_jT2_SS_T4_T3_P12ihipStream_tbEUlT_E_NS1_11comp_targetILNS1_3genE4ELNS1_11target_archE910ELNS1_3gpuE8ELNS1_3repE0EEENS1_30default_config_static_selectorELNS0_4arch9wavefront6targetE0EEEvSR_, .Lfunc_end131-_ZN7rocprim17ROCPRIM_400000_NS6detail17trampoline_kernelINS0_14default_configENS1_32segmented_reduce_config_selectorIN3c108BFloat16EEEZNS1_21segmented_reduce_implIS3_PKS6_PS6_PKiS6_N6hipcub16HIPCUB_304000_NS6detail27convert_result_type_wrapperISA_SB_N2at6native12_GLOBAL__N_19CustomMinEEEEE10hipError_tPvRmT0_T1_jT2_SS_T4_T3_P12ihipStream_tbEUlT_E_NS1_11comp_targetILNS1_3genE4ELNS1_11target_archE910ELNS1_3gpuE8ELNS1_3repE0EEENS1_30default_config_static_selectorELNS0_4arch9wavefront6targetE0EEEvSR_
                                        ; -- End function
	.section	.AMDGPU.csdata,"",@progbits
; Kernel info:
; codeLenInByte = 0
; NumSgprs: 0
; NumVgprs: 0
; ScratchSize: 0
; MemoryBound: 0
; FloatMode: 240
; IeeeMode: 1
; LDSByteSize: 0 bytes/workgroup (compile time only)
; SGPRBlocks: 0
; VGPRBlocks: 0
; NumSGPRsForWavesPerEU: 1
; NumVGPRsForWavesPerEU: 1
; Occupancy: 16
; WaveLimiterHint : 0
; COMPUTE_PGM_RSRC2:SCRATCH_EN: 0
; COMPUTE_PGM_RSRC2:USER_SGPR: 15
; COMPUTE_PGM_RSRC2:TRAP_HANDLER: 0
; COMPUTE_PGM_RSRC2:TGID_X_EN: 1
; COMPUTE_PGM_RSRC2:TGID_Y_EN: 0
; COMPUTE_PGM_RSRC2:TGID_Z_EN: 0
; COMPUTE_PGM_RSRC2:TIDIG_COMP_CNT: 0
	.section	.text._ZN7rocprim17ROCPRIM_400000_NS6detail17trampoline_kernelINS0_14default_configENS1_32segmented_reduce_config_selectorIN3c108BFloat16EEEZNS1_21segmented_reduce_implIS3_PKS6_PS6_PKiS6_N6hipcub16HIPCUB_304000_NS6detail27convert_result_type_wrapperISA_SB_N2at6native12_GLOBAL__N_19CustomMinEEEEE10hipError_tPvRmT0_T1_jT2_SS_T4_T3_P12ihipStream_tbEUlT_E_NS1_11comp_targetILNS1_3genE3ELNS1_11target_archE908ELNS1_3gpuE7ELNS1_3repE0EEENS1_30default_config_static_selectorELNS0_4arch9wavefront6targetE0EEEvSR_,"axG",@progbits,_ZN7rocprim17ROCPRIM_400000_NS6detail17trampoline_kernelINS0_14default_configENS1_32segmented_reduce_config_selectorIN3c108BFloat16EEEZNS1_21segmented_reduce_implIS3_PKS6_PS6_PKiS6_N6hipcub16HIPCUB_304000_NS6detail27convert_result_type_wrapperISA_SB_N2at6native12_GLOBAL__N_19CustomMinEEEEE10hipError_tPvRmT0_T1_jT2_SS_T4_T3_P12ihipStream_tbEUlT_E_NS1_11comp_targetILNS1_3genE3ELNS1_11target_archE908ELNS1_3gpuE7ELNS1_3repE0EEENS1_30default_config_static_selectorELNS0_4arch9wavefront6targetE0EEEvSR_,comdat
	.globl	_ZN7rocprim17ROCPRIM_400000_NS6detail17trampoline_kernelINS0_14default_configENS1_32segmented_reduce_config_selectorIN3c108BFloat16EEEZNS1_21segmented_reduce_implIS3_PKS6_PS6_PKiS6_N6hipcub16HIPCUB_304000_NS6detail27convert_result_type_wrapperISA_SB_N2at6native12_GLOBAL__N_19CustomMinEEEEE10hipError_tPvRmT0_T1_jT2_SS_T4_T3_P12ihipStream_tbEUlT_E_NS1_11comp_targetILNS1_3genE3ELNS1_11target_archE908ELNS1_3gpuE7ELNS1_3repE0EEENS1_30default_config_static_selectorELNS0_4arch9wavefront6targetE0EEEvSR_ ; -- Begin function _ZN7rocprim17ROCPRIM_400000_NS6detail17trampoline_kernelINS0_14default_configENS1_32segmented_reduce_config_selectorIN3c108BFloat16EEEZNS1_21segmented_reduce_implIS3_PKS6_PS6_PKiS6_N6hipcub16HIPCUB_304000_NS6detail27convert_result_type_wrapperISA_SB_N2at6native12_GLOBAL__N_19CustomMinEEEEE10hipError_tPvRmT0_T1_jT2_SS_T4_T3_P12ihipStream_tbEUlT_E_NS1_11comp_targetILNS1_3genE3ELNS1_11target_archE908ELNS1_3gpuE7ELNS1_3repE0EEENS1_30default_config_static_selectorELNS0_4arch9wavefront6targetE0EEEvSR_
	.p2align	8
	.type	_ZN7rocprim17ROCPRIM_400000_NS6detail17trampoline_kernelINS0_14default_configENS1_32segmented_reduce_config_selectorIN3c108BFloat16EEEZNS1_21segmented_reduce_implIS3_PKS6_PS6_PKiS6_N6hipcub16HIPCUB_304000_NS6detail27convert_result_type_wrapperISA_SB_N2at6native12_GLOBAL__N_19CustomMinEEEEE10hipError_tPvRmT0_T1_jT2_SS_T4_T3_P12ihipStream_tbEUlT_E_NS1_11comp_targetILNS1_3genE3ELNS1_11target_archE908ELNS1_3gpuE7ELNS1_3repE0EEENS1_30default_config_static_selectorELNS0_4arch9wavefront6targetE0EEEvSR_,@function
_ZN7rocprim17ROCPRIM_400000_NS6detail17trampoline_kernelINS0_14default_configENS1_32segmented_reduce_config_selectorIN3c108BFloat16EEEZNS1_21segmented_reduce_implIS3_PKS6_PS6_PKiS6_N6hipcub16HIPCUB_304000_NS6detail27convert_result_type_wrapperISA_SB_N2at6native12_GLOBAL__N_19CustomMinEEEEE10hipError_tPvRmT0_T1_jT2_SS_T4_T3_P12ihipStream_tbEUlT_E_NS1_11comp_targetILNS1_3genE3ELNS1_11target_archE908ELNS1_3gpuE7ELNS1_3repE0EEENS1_30default_config_static_selectorELNS0_4arch9wavefront6targetE0EEEvSR_: ; @_ZN7rocprim17ROCPRIM_400000_NS6detail17trampoline_kernelINS0_14default_configENS1_32segmented_reduce_config_selectorIN3c108BFloat16EEEZNS1_21segmented_reduce_implIS3_PKS6_PS6_PKiS6_N6hipcub16HIPCUB_304000_NS6detail27convert_result_type_wrapperISA_SB_N2at6native12_GLOBAL__N_19CustomMinEEEEE10hipError_tPvRmT0_T1_jT2_SS_T4_T3_P12ihipStream_tbEUlT_E_NS1_11comp_targetILNS1_3genE3ELNS1_11target_archE908ELNS1_3gpuE7ELNS1_3repE0EEENS1_30default_config_static_selectorELNS0_4arch9wavefront6targetE0EEEvSR_
; %bb.0:
	.section	.rodata,"a",@progbits
	.p2align	6, 0x0
	.amdhsa_kernel _ZN7rocprim17ROCPRIM_400000_NS6detail17trampoline_kernelINS0_14default_configENS1_32segmented_reduce_config_selectorIN3c108BFloat16EEEZNS1_21segmented_reduce_implIS3_PKS6_PS6_PKiS6_N6hipcub16HIPCUB_304000_NS6detail27convert_result_type_wrapperISA_SB_N2at6native12_GLOBAL__N_19CustomMinEEEEE10hipError_tPvRmT0_T1_jT2_SS_T4_T3_P12ihipStream_tbEUlT_E_NS1_11comp_targetILNS1_3genE3ELNS1_11target_archE908ELNS1_3gpuE7ELNS1_3repE0EEENS1_30default_config_static_selectorELNS0_4arch9wavefront6targetE0EEEvSR_
		.amdhsa_group_segment_fixed_size 0
		.amdhsa_private_segment_fixed_size 0
		.amdhsa_kernarg_size 48
		.amdhsa_user_sgpr_count 15
		.amdhsa_user_sgpr_dispatch_ptr 0
		.amdhsa_user_sgpr_queue_ptr 0
		.amdhsa_user_sgpr_kernarg_segment_ptr 1
		.amdhsa_user_sgpr_dispatch_id 0
		.amdhsa_user_sgpr_private_segment_size 0
		.amdhsa_wavefront_size32 1
		.amdhsa_uses_dynamic_stack 0
		.amdhsa_enable_private_segment 0
		.amdhsa_system_sgpr_workgroup_id_x 1
		.amdhsa_system_sgpr_workgroup_id_y 0
		.amdhsa_system_sgpr_workgroup_id_z 0
		.amdhsa_system_sgpr_workgroup_info 0
		.amdhsa_system_vgpr_workitem_id 0
		.amdhsa_next_free_vgpr 1
		.amdhsa_next_free_sgpr 1
		.amdhsa_reserve_vcc 0
		.amdhsa_float_round_mode_32 0
		.amdhsa_float_round_mode_16_64 0
		.amdhsa_float_denorm_mode_32 3
		.amdhsa_float_denorm_mode_16_64 3
		.amdhsa_dx10_clamp 1
		.amdhsa_ieee_mode 1
		.amdhsa_fp16_overflow 0
		.amdhsa_workgroup_processor_mode 1
		.amdhsa_memory_ordered 1
		.amdhsa_forward_progress 0
		.amdhsa_shared_vgpr_count 0
		.amdhsa_exception_fp_ieee_invalid_op 0
		.amdhsa_exception_fp_denorm_src 0
		.amdhsa_exception_fp_ieee_div_zero 0
		.amdhsa_exception_fp_ieee_overflow 0
		.amdhsa_exception_fp_ieee_underflow 0
		.amdhsa_exception_fp_ieee_inexact 0
		.amdhsa_exception_int_div_zero 0
	.end_amdhsa_kernel
	.section	.text._ZN7rocprim17ROCPRIM_400000_NS6detail17trampoline_kernelINS0_14default_configENS1_32segmented_reduce_config_selectorIN3c108BFloat16EEEZNS1_21segmented_reduce_implIS3_PKS6_PS6_PKiS6_N6hipcub16HIPCUB_304000_NS6detail27convert_result_type_wrapperISA_SB_N2at6native12_GLOBAL__N_19CustomMinEEEEE10hipError_tPvRmT0_T1_jT2_SS_T4_T3_P12ihipStream_tbEUlT_E_NS1_11comp_targetILNS1_3genE3ELNS1_11target_archE908ELNS1_3gpuE7ELNS1_3repE0EEENS1_30default_config_static_selectorELNS0_4arch9wavefront6targetE0EEEvSR_,"axG",@progbits,_ZN7rocprim17ROCPRIM_400000_NS6detail17trampoline_kernelINS0_14default_configENS1_32segmented_reduce_config_selectorIN3c108BFloat16EEEZNS1_21segmented_reduce_implIS3_PKS6_PS6_PKiS6_N6hipcub16HIPCUB_304000_NS6detail27convert_result_type_wrapperISA_SB_N2at6native12_GLOBAL__N_19CustomMinEEEEE10hipError_tPvRmT0_T1_jT2_SS_T4_T3_P12ihipStream_tbEUlT_E_NS1_11comp_targetILNS1_3genE3ELNS1_11target_archE908ELNS1_3gpuE7ELNS1_3repE0EEENS1_30default_config_static_selectorELNS0_4arch9wavefront6targetE0EEEvSR_,comdat
.Lfunc_end132:
	.size	_ZN7rocprim17ROCPRIM_400000_NS6detail17trampoline_kernelINS0_14default_configENS1_32segmented_reduce_config_selectorIN3c108BFloat16EEEZNS1_21segmented_reduce_implIS3_PKS6_PS6_PKiS6_N6hipcub16HIPCUB_304000_NS6detail27convert_result_type_wrapperISA_SB_N2at6native12_GLOBAL__N_19CustomMinEEEEE10hipError_tPvRmT0_T1_jT2_SS_T4_T3_P12ihipStream_tbEUlT_E_NS1_11comp_targetILNS1_3genE3ELNS1_11target_archE908ELNS1_3gpuE7ELNS1_3repE0EEENS1_30default_config_static_selectorELNS0_4arch9wavefront6targetE0EEEvSR_, .Lfunc_end132-_ZN7rocprim17ROCPRIM_400000_NS6detail17trampoline_kernelINS0_14default_configENS1_32segmented_reduce_config_selectorIN3c108BFloat16EEEZNS1_21segmented_reduce_implIS3_PKS6_PS6_PKiS6_N6hipcub16HIPCUB_304000_NS6detail27convert_result_type_wrapperISA_SB_N2at6native12_GLOBAL__N_19CustomMinEEEEE10hipError_tPvRmT0_T1_jT2_SS_T4_T3_P12ihipStream_tbEUlT_E_NS1_11comp_targetILNS1_3genE3ELNS1_11target_archE908ELNS1_3gpuE7ELNS1_3repE0EEENS1_30default_config_static_selectorELNS0_4arch9wavefront6targetE0EEEvSR_
                                        ; -- End function
	.section	.AMDGPU.csdata,"",@progbits
; Kernel info:
; codeLenInByte = 0
; NumSgprs: 0
; NumVgprs: 0
; ScratchSize: 0
; MemoryBound: 0
; FloatMode: 240
; IeeeMode: 1
; LDSByteSize: 0 bytes/workgroup (compile time only)
; SGPRBlocks: 0
; VGPRBlocks: 0
; NumSGPRsForWavesPerEU: 1
; NumVGPRsForWavesPerEU: 1
; Occupancy: 16
; WaveLimiterHint : 0
; COMPUTE_PGM_RSRC2:SCRATCH_EN: 0
; COMPUTE_PGM_RSRC2:USER_SGPR: 15
; COMPUTE_PGM_RSRC2:TRAP_HANDLER: 0
; COMPUTE_PGM_RSRC2:TGID_X_EN: 1
; COMPUTE_PGM_RSRC2:TGID_Y_EN: 0
; COMPUTE_PGM_RSRC2:TGID_Z_EN: 0
; COMPUTE_PGM_RSRC2:TIDIG_COMP_CNT: 0
	.section	.text._ZN7rocprim17ROCPRIM_400000_NS6detail17trampoline_kernelINS0_14default_configENS1_32segmented_reduce_config_selectorIN3c108BFloat16EEEZNS1_21segmented_reduce_implIS3_PKS6_PS6_PKiS6_N6hipcub16HIPCUB_304000_NS6detail27convert_result_type_wrapperISA_SB_N2at6native12_GLOBAL__N_19CustomMinEEEEE10hipError_tPvRmT0_T1_jT2_SS_T4_T3_P12ihipStream_tbEUlT_E_NS1_11comp_targetILNS1_3genE2ELNS1_11target_archE906ELNS1_3gpuE6ELNS1_3repE0EEENS1_30default_config_static_selectorELNS0_4arch9wavefront6targetE0EEEvSR_,"axG",@progbits,_ZN7rocprim17ROCPRIM_400000_NS6detail17trampoline_kernelINS0_14default_configENS1_32segmented_reduce_config_selectorIN3c108BFloat16EEEZNS1_21segmented_reduce_implIS3_PKS6_PS6_PKiS6_N6hipcub16HIPCUB_304000_NS6detail27convert_result_type_wrapperISA_SB_N2at6native12_GLOBAL__N_19CustomMinEEEEE10hipError_tPvRmT0_T1_jT2_SS_T4_T3_P12ihipStream_tbEUlT_E_NS1_11comp_targetILNS1_3genE2ELNS1_11target_archE906ELNS1_3gpuE6ELNS1_3repE0EEENS1_30default_config_static_selectorELNS0_4arch9wavefront6targetE0EEEvSR_,comdat
	.globl	_ZN7rocprim17ROCPRIM_400000_NS6detail17trampoline_kernelINS0_14default_configENS1_32segmented_reduce_config_selectorIN3c108BFloat16EEEZNS1_21segmented_reduce_implIS3_PKS6_PS6_PKiS6_N6hipcub16HIPCUB_304000_NS6detail27convert_result_type_wrapperISA_SB_N2at6native12_GLOBAL__N_19CustomMinEEEEE10hipError_tPvRmT0_T1_jT2_SS_T4_T3_P12ihipStream_tbEUlT_E_NS1_11comp_targetILNS1_3genE2ELNS1_11target_archE906ELNS1_3gpuE6ELNS1_3repE0EEENS1_30default_config_static_selectorELNS0_4arch9wavefront6targetE0EEEvSR_ ; -- Begin function _ZN7rocprim17ROCPRIM_400000_NS6detail17trampoline_kernelINS0_14default_configENS1_32segmented_reduce_config_selectorIN3c108BFloat16EEEZNS1_21segmented_reduce_implIS3_PKS6_PS6_PKiS6_N6hipcub16HIPCUB_304000_NS6detail27convert_result_type_wrapperISA_SB_N2at6native12_GLOBAL__N_19CustomMinEEEEE10hipError_tPvRmT0_T1_jT2_SS_T4_T3_P12ihipStream_tbEUlT_E_NS1_11comp_targetILNS1_3genE2ELNS1_11target_archE906ELNS1_3gpuE6ELNS1_3repE0EEENS1_30default_config_static_selectorELNS0_4arch9wavefront6targetE0EEEvSR_
	.p2align	8
	.type	_ZN7rocprim17ROCPRIM_400000_NS6detail17trampoline_kernelINS0_14default_configENS1_32segmented_reduce_config_selectorIN3c108BFloat16EEEZNS1_21segmented_reduce_implIS3_PKS6_PS6_PKiS6_N6hipcub16HIPCUB_304000_NS6detail27convert_result_type_wrapperISA_SB_N2at6native12_GLOBAL__N_19CustomMinEEEEE10hipError_tPvRmT0_T1_jT2_SS_T4_T3_P12ihipStream_tbEUlT_E_NS1_11comp_targetILNS1_3genE2ELNS1_11target_archE906ELNS1_3gpuE6ELNS1_3repE0EEENS1_30default_config_static_selectorELNS0_4arch9wavefront6targetE0EEEvSR_,@function
_ZN7rocprim17ROCPRIM_400000_NS6detail17trampoline_kernelINS0_14default_configENS1_32segmented_reduce_config_selectorIN3c108BFloat16EEEZNS1_21segmented_reduce_implIS3_PKS6_PS6_PKiS6_N6hipcub16HIPCUB_304000_NS6detail27convert_result_type_wrapperISA_SB_N2at6native12_GLOBAL__N_19CustomMinEEEEE10hipError_tPvRmT0_T1_jT2_SS_T4_T3_P12ihipStream_tbEUlT_E_NS1_11comp_targetILNS1_3genE2ELNS1_11target_archE906ELNS1_3gpuE6ELNS1_3repE0EEENS1_30default_config_static_selectorELNS0_4arch9wavefront6targetE0EEEvSR_: ; @_ZN7rocprim17ROCPRIM_400000_NS6detail17trampoline_kernelINS0_14default_configENS1_32segmented_reduce_config_selectorIN3c108BFloat16EEEZNS1_21segmented_reduce_implIS3_PKS6_PS6_PKiS6_N6hipcub16HIPCUB_304000_NS6detail27convert_result_type_wrapperISA_SB_N2at6native12_GLOBAL__N_19CustomMinEEEEE10hipError_tPvRmT0_T1_jT2_SS_T4_T3_P12ihipStream_tbEUlT_E_NS1_11comp_targetILNS1_3genE2ELNS1_11target_archE906ELNS1_3gpuE6ELNS1_3repE0EEENS1_30default_config_static_selectorELNS0_4arch9wavefront6targetE0EEEvSR_
; %bb.0:
	.section	.rodata,"a",@progbits
	.p2align	6, 0x0
	.amdhsa_kernel _ZN7rocprim17ROCPRIM_400000_NS6detail17trampoline_kernelINS0_14default_configENS1_32segmented_reduce_config_selectorIN3c108BFloat16EEEZNS1_21segmented_reduce_implIS3_PKS6_PS6_PKiS6_N6hipcub16HIPCUB_304000_NS6detail27convert_result_type_wrapperISA_SB_N2at6native12_GLOBAL__N_19CustomMinEEEEE10hipError_tPvRmT0_T1_jT2_SS_T4_T3_P12ihipStream_tbEUlT_E_NS1_11comp_targetILNS1_3genE2ELNS1_11target_archE906ELNS1_3gpuE6ELNS1_3repE0EEENS1_30default_config_static_selectorELNS0_4arch9wavefront6targetE0EEEvSR_
		.amdhsa_group_segment_fixed_size 0
		.amdhsa_private_segment_fixed_size 0
		.amdhsa_kernarg_size 48
		.amdhsa_user_sgpr_count 15
		.amdhsa_user_sgpr_dispatch_ptr 0
		.amdhsa_user_sgpr_queue_ptr 0
		.amdhsa_user_sgpr_kernarg_segment_ptr 1
		.amdhsa_user_sgpr_dispatch_id 0
		.amdhsa_user_sgpr_private_segment_size 0
		.amdhsa_wavefront_size32 1
		.amdhsa_uses_dynamic_stack 0
		.amdhsa_enable_private_segment 0
		.amdhsa_system_sgpr_workgroup_id_x 1
		.amdhsa_system_sgpr_workgroup_id_y 0
		.amdhsa_system_sgpr_workgroup_id_z 0
		.amdhsa_system_sgpr_workgroup_info 0
		.amdhsa_system_vgpr_workitem_id 0
		.amdhsa_next_free_vgpr 1
		.amdhsa_next_free_sgpr 1
		.amdhsa_reserve_vcc 0
		.amdhsa_float_round_mode_32 0
		.amdhsa_float_round_mode_16_64 0
		.amdhsa_float_denorm_mode_32 3
		.amdhsa_float_denorm_mode_16_64 3
		.amdhsa_dx10_clamp 1
		.amdhsa_ieee_mode 1
		.amdhsa_fp16_overflow 0
		.amdhsa_workgroup_processor_mode 1
		.amdhsa_memory_ordered 1
		.amdhsa_forward_progress 0
		.amdhsa_shared_vgpr_count 0
		.amdhsa_exception_fp_ieee_invalid_op 0
		.amdhsa_exception_fp_denorm_src 0
		.amdhsa_exception_fp_ieee_div_zero 0
		.amdhsa_exception_fp_ieee_overflow 0
		.amdhsa_exception_fp_ieee_underflow 0
		.amdhsa_exception_fp_ieee_inexact 0
		.amdhsa_exception_int_div_zero 0
	.end_amdhsa_kernel
	.section	.text._ZN7rocprim17ROCPRIM_400000_NS6detail17trampoline_kernelINS0_14default_configENS1_32segmented_reduce_config_selectorIN3c108BFloat16EEEZNS1_21segmented_reduce_implIS3_PKS6_PS6_PKiS6_N6hipcub16HIPCUB_304000_NS6detail27convert_result_type_wrapperISA_SB_N2at6native12_GLOBAL__N_19CustomMinEEEEE10hipError_tPvRmT0_T1_jT2_SS_T4_T3_P12ihipStream_tbEUlT_E_NS1_11comp_targetILNS1_3genE2ELNS1_11target_archE906ELNS1_3gpuE6ELNS1_3repE0EEENS1_30default_config_static_selectorELNS0_4arch9wavefront6targetE0EEEvSR_,"axG",@progbits,_ZN7rocprim17ROCPRIM_400000_NS6detail17trampoline_kernelINS0_14default_configENS1_32segmented_reduce_config_selectorIN3c108BFloat16EEEZNS1_21segmented_reduce_implIS3_PKS6_PS6_PKiS6_N6hipcub16HIPCUB_304000_NS6detail27convert_result_type_wrapperISA_SB_N2at6native12_GLOBAL__N_19CustomMinEEEEE10hipError_tPvRmT0_T1_jT2_SS_T4_T3_P12ihipStream_tbEUlT_E_NS1_11comp_targetILNS1_3genE2ELNS1_11target_archE906ELNS1_3gpuE6ELNS1_3repE0EEENS1_30default_config_static_selectorELNS0_4arch9wavefront6targetE0EEEvSR_,comdat
.Lfunc_end133:
	.size	_ZN7rocprim17ROCPRIM_400000_NS6detail17trampoline_kernelINS0_14default_configENS1_32segmented_reduce_config_selectorIN3c108BFloat16EEEZNS1_21segmented_reduce_implIS3_PKS6_PS6_PKiS6_N6hipcub16HIPCUB_304000_NS6detail27convert_result_type_wrapperISA_SB_N2at6native12_GLOBAL__N_19CustomMinEEEEE10hipError_tPvRmT0_T1_jT2_SS_T4_T3_P12ihipStream_tbEUlT_E_NS1_11comp_targetILNS1_3genE2ELNS1_11target_archE906ELNS1_3gpuE6ELNS1_3repE0EEENS1_30default_config_static_selectorELNS0_4arch9wavefront6targetE0EEEvSR_, .Lfunc_end133-_ZN7rocprim17ROCPRIM_400000_NS6detail17trampoline_kernelINS0_14default_configENS1_32segmented_reduce_config_selectorIN3c108BFloat16EEEZNS1_21segmented_reduce_implIS3_PKS6_PS6_PKiS6_N6hipcub16HIPCUB_304000_NS6detail27convert_result_type_wrapperISA_SB_N2at6native12_GLOBAL__N_19CustomMinEEEEE10hipError_tPvRmT0_T1_jT2_SS_T4_T3_P12ihipStream_tbEUlT_E_NS1_11comp_targetILNS1_3genE2ELNS1_11target_archE906ELNS1_3gpuE6ELNS1_3repE0EEENS1_30default_config_static_selectorELNS0_4arch9wavefront6targetE0EEEvSR_
                                        ; -- End function
	.section	.AMDGPU.csdata,"",@progbits
; Kernel info:
; codeLenInByte = 0
; NumSgprs: 0
; NumVgprs: 0
; ScratchSize: 0
; MemoryBound: 0
; FloatMode: 240
; IeeeMode: 1
; LDSByteSize: 0 bytes/workgroup (compile time only)
; SGPRBlocks: 0
; VGPRBlocks: 0
; NumSGPRsForWavesPerEU: 1
; NumVGPRsForWavesPerEU: 1
; Occupancy: 16
; WaveLimiterHint : 0
; COMPUTE_PGM_RSRC2:SCRATCH_EN: 0
; COMPUTE_PGM_RSRC2:USER_SGPR: 15
; COMPUTE_PGM_RSRC2:TRAP_HANDLER: 0
; COMPUTE_PGM_RSRC2:TGID_X_EN: 1
; COMPUTE_PGM_RSRC2:TGID_Y_EN: 0
; COMPUTE_PGM_RSRC2:TGID_Z_EN: 0
; COMPUTE_PGM_RSRC2:TIDIG_COMP_CNT: 0
	.section	.text._ZN7rocprim17ROCPRIM_400000_NS6detail17trampoline_kernelINS0_14default_configENS1_32segmented_reduce_config_selectorIN3c108BFloat16EEEZNS1_21segmented_reduce_implIS3_PKS6_PS6_PKiS6_N6hipcub16HIPCUB_304000_NS6detail27convert_result_type_wrapperISA_SB_N2at6native12_GLOBAL__N_19CustomMinEEEEE10hipError_tPvRmT0_T1_jT2_SS_T4_T3_P12ihipStream_tbEUlT_E_NS1_11comp_targetILNS1_3genE9ELNS1_11target_archE1100ELNS1_3gpuE3ELNS1_3repE0EEENS1_30default_config_static_selectorELNS0_4arch9wavefront6targetE0EEEvSR_,"axG",@progbits,_ZN7rocprim17ROCPRIM_400000_NS6detail17trampoline_kernelINS0_14default_configENS1_32segmented_reduce_config_selectorIN3c108BFloat16EEEZNS1_21segmented_reduce_implIS3_PKS6_PS6_PKiS6_N6hipcub16HIPCUB_304000_NS6detail27convert_result_type_wrapperISA_SB_N2at6native12_GLOBAL__N_19CustomMinEEEEE10hipError_tPvRmT0_T1_jT2_SS_T4_T3_P12ihipStream_tbEUlT_E_NS1_11comp_targetILNS1_3genE9ELNS1_11target_archE1100ELNS1_3gpuE3ELNS1_3repE0EEENS1_30default_config_static_selectorELNS0_4arch9wavefront6targetE0EEEvSR_,comdat
	.globl	_ZN7rocprim17ROCPRIM_400000_NS6detail17trampoline_kernelINS0_14default_configENS1_32segmented_reduce_config_selectorIN3c108BFloat16EEEZNS1_21segmented_reduce_implIS3_PKS6_PS6_PKiS6_N6hipcub16HIPCUB_304000_NS6detail27convert_result_type_wrapperISA_SB_N2at6native12_GLOBAL__N_19CustomMinEEEEE10hipError_tPvRmT0_T1_jT2_SS_T4_T3_P12ihipStream_tbEUlT_E_NS1_11comp_targetILNS1_3genE9ELNS1_11target_archE1100ELNS1_3gpuE3ELNS1_3repE0EEENS1_30default_config_static_selectorELNS0_4arch9wavefront6targetE0EEEvSR_ ; -- Begin function _ZN7rocprim17ROCPRIM_400000_NS6detail17trampoline_kernelINS0_14default_configENS1_32segmented_reduce_config_selectorIN3c108BFloat16EEEZNS1_21segmented_reduce_implIS3_PKS6_PS6_PKiS6_N6hipcub16HIPCUB_304000_NS6detail27convert_result_type_wrapperISA_SB_N2at6native12_GLOBAL__N_19CustomMinEEEEE10hipError_tPvRmT0_T1_jT2_SS_T4_T3_P12ihipStream_tbEUlT_E_NS1_11comp_targetILNS1_3genE9ELNS1_11target_archE1100ELNS1_3gpuE3ELNS1_3repE0EEENS1_30default_config_static_selectorELNS0_4arch9wavefront6targetE0EEEvSR_
	.p2align	8
	.type	_ZN7rocprim17ROCPRIM_400000_NS6detail17trampoline_kernelINS0_14default_configENS1_32segmented_reduce_config_selectorIN3c108BFloat16EEEZNS1_21segmented_reduce_implIS3_PKS6_PS6_PKiS6_N6hipcub16HIPCUB_304000_NS6detail27convert_result_type_wrapperISA_SB_N2at6native12_GLOBAL__N_19CustomMinEEEEE10hipError_tPvRmT0_T1_jT2_SS_T4_T3_P12ihipStream_tbEUlT_E_NS1_11comp_targetILNS1_3genE9ELNS1_11target_archE1100ELNS1_3gpuE3ELNS1_3repE0EEENS1_30default_config_static_selectorELNS0_4arch9wavefront6targetE0EEEvSR_,@function
_ZN7rocprim17ROCPRIM_400000_NS6detail17trampoline_kernelINS0_14default_configENS1_32segmented_reduce_config_selectorIN3c108BFloat16EEEZNS1_21segmented_reduce_implIS3_PKS6_PS6_PKiS6_N6hipcub16HIPCUB_304000_NS6detail27convert_result_type_wrapperISA_SB_N2at6native12_GLOBAL__N_19CustomMinEEEEE10hipError_tPvRmT0_T1_jT2_SS_T4_T3_P12ihipStream_tbEUlT_E_NS1_11comp_targetILNS1_3genE9ELNS1_11target_archE1100ELNS1_3gpuE3ELNS1_3repE0EEENS1_30default_config_static_selectorELNS0_4arch9wavefront6targetE0EEEvSR_: ; @_ZN7rocprim17ROCPRIM_400000_NS6detail17trampoline_kernelINS0_14default_configENS1_32segmented_reduce_config_selectorIN3c108BFloat16EEEZNS1_21segmented_reduce_implIS3_PKS6_PS6_PKiS6_N6hipcub16HIPCUB_304000_NS6detail27convert_result_type_wrapperISA_SB_N2at6native12_GLOBAL__N_19CustomMinEEEEE10hipError_tPvRmT0_T1_jT2_SS_T4_T3_P12ihipStream_tbEUlT_E_NS1_11comp_targetILNS1_3genE9ELNS1_11target_archE1100ELNS1_3gpuE3ELNS1_3repE0EEENS1_30default_config_static_selectorELNS0_4arch9wavefront6targetE0EEEvSR_
; %bb.0:
	s_clause 0x2
	s_load_b256 s[16:23], s[0:1], 0x0
	s_load_b32 s4, s[0:1], 0x28
	s_load_b64 s[0:1], s[0:1], 0x20
	s_mov_b32 s24, s15
	s_mov_b32 s25, 0
	v_cmp_eq_u32_e32 vcc_lo, 0, v0
	s_waitcnt lgkmcnt(0)
	s_lshl_b64 s[2:3], s[20:21], 2
	s_lshr_b32 s15, s4, 16
	s_add_u32 s4, s22, s2
	s_addc_u32 s5, s23, s3
	s_add_u32 s6, s0, s2
	s_addc_u32 s7, s1, s3
	s_lshl_b64 s[0:1], s[24:25], 2
	s_delay_alu instid0(SALU_CYCLE_1)
	s_add_u32 s2, s4, s0
	s_addc_u32 s3, s5, s1
	s_add_u32 s0, s6, s0
	s_addc_u32 s1, s7, s1
	s_load_b32 s22, s[2:3], 0x0
	s_load_b32 s29, s[0:1], 0x0
	s_waitcnt lgkmcnt(0)
	s_cmp_gt_i32 s29, s22
	s_cbranch_scc1 .LBB134_3
; %bb.1:
	s_and_b32 s28, vcc_lo, exec_lo
	s_cbranch_execz .LBB134_4
; %bb.2:
	v_mov_b32_e32 v1, s15
	s_and_saveexec_b32 s0, s28
	s_cbranch_execnz .LBB134_407
	s_branch .LBB134_408
.LBB134_3:
	s_mov_b32 s28, s25
.LBB134_4:
	s_add_i32 s0, s22, 0x1000
	s_delay_alu instid0(SALU_CYCLE_1)
	s_cmp_le_i32 s0, s29
	s_cbranch_scc0 .LBB134_132
; %bb.5:
	s_ashr_i32 s23, s22, 31
	v_lshlrev_b32_e32 v18, 1, v0
	s_lshl_b64 s[2:3], s[22:23], 1
	s_delay_alu instid0(SALU_CYCLE_1) | instskip(SKIP_1) | instid1(VALU_DEP_1)
	s_add_u32 s2, s16, s2
	s_addc_u32 s3, s17, s3
	v_add_co_u32 v1, s1, s2, v18
	s_delay_alu instid0(VALU_DEP_1) | instskip(SKIP_1) | instid1(VALU_DEP_2)
	v_add_co_ci_u32_e64 v2, null, s3, 0, s1
	s_mov_b32 s1, exec_lo
	v_add_co_u32 v19, vcc_lo, 0x1000, v1
	s_delay_alu instid0(VALU_DEP_2)
	v_add_co_ci_u32_e32 v20, vcc_lo, 0, v2, vcc_lo
	s_clause 0xf
	global_load_u16 v17, v18, s[2:3]
	global_load_u16 v16, v18, s[2:3] offset:512
	global_load_u16 v15, v18, s[2:3] offset:1024
	;; [unrolled: 1-line block ×7, first 2 shown]
	global_load_u16 v8, v[19:20], off
	global_load_u16 v7, v[19:20], off offset:512
	global_load_u16 v6, v[19:20], off offset:1024
	;; [unrolled: 1-line block ×7, first 2 shown]
	s_waitcnt vmcnt(15)
	v_mov_b32_e32 v9, v17
	v_lshlrev_b32_e32 v19, 16, v17
	s_delay_alu instid0(VALU_DEP_1)
	v_cmpx_o_f32_e32 v19, v19
	s_cbranch_execz .LBB134_9
; %bb.6:
	s_waitcnt vmcnt(14)
	v_dual_mov_b32 v9, v16 :: v_dual_lshlrev_b32 v20, 16, v16
	s_mov_b32 s2, exec_lo
	s_delay_alu instid0(VALU_DEP_1)
	v_cmpx_o_f32_e32 v20, v20
; %bb.7:
	v_cmp_lt_f32_e32 vcc_lo, v20, v19
	v_cndmask_b32_e32 v9, v17, v16, vcc_lo
	s_delay_alu instid0(VALU_DEP_1)
	v_lshlrev_b32_e32 v20, 16, v9
; %bb.8:
	s_or_b32 exec_lo, exec_lo, s2
	s_delay_alu instid0(VALU_DEP_1)
	v_mov_b32_e32 v19, v20
.LBB134_9:
	s_or_b32 exec_lo, exec_lo, s1
	s_delay_alu instid0(SALU_CYCLE_1) | instskip(NEXT) | instid1(VALU_DEP_1)
	s_mov_b32 s1, exec_lo
	v_cmpx_o_f32_e32 v19, v19
	s_cbranch_execz .LBB134_13
; %bb.10:
	s_waitcnt vmcnt(13)
	v_dual_mov_b32 v21, v15 :: v_dual_lshlrev_b32 v20, 16, v15
	s_mov_b32 s2, exec_lo
	s_delay_alu instid0(VALU_DEP_1)
	v_cmpx_o_f32_e32 v20, v20
; %bb.11:
	v_cmp_gt_f32_e32 vcc_lo, v19, v20
	v_cndmask_b32_e32 v21, v9, v15, vcc_lo
	s_delay_alu instid0(VALU_DEP_1)
	v_lshlrev_b32_e32 v20, 16, v21
; %bb.12:
	s_or_b32 exec_lo, exec_lo, s2
	s_delay_alu instid0(VALU_DEP_1)
	v_mov_b32_e32 v19, v20
	v_mov_b32_e32 v9, v21
.LBB134_13:
	s_or_b32 exec_lo, exec_lo, s1
	s_delay_alu instid0(SALU_CYCLE_1) | instskip(NEXT) | instid1(VALU_DEP_2)
	s_mov_b32 s1, exec_lo
	v_cmpx_o_f32_e32 v19, v19
	s_cbranch_execz .LBB134_17
; %bb.14:
	s_waitcnt vmcnt(12)
	v_dual_mov_b32 v21, v14 :: v_dual_lshlrev_b32 v20, 16, v14
	s_mov_b32 s2, exec_lo
	s_delay_alu instid0(VALU_DEP_1)
	v_cmpx_o_f32_e32 v20, v20
; %bb.15:
	v_cmp_gt_f32_e32 vcc_lo, v19, v20
	v_cndmask_b32_e32 v21, v9, v14, vcc_lo
	s_delay_alu instid0(VALU_DEP_1)
	v_lshlrev_b32_e32 v20, 16, v21
; %bb.16:
	s_or_b32 exec_lo, exec_lo, s2
	s_delay_alu instid0(VALU_DEP_1)
	v_mov_b32_e32 v19, v20
	v_mov_b32_e32 v9, v21
.LBB134_17:
	s_or_b32 exec_lo, exec_lo, s1
	s_delay_alu instid0(SALU_CYCLE_1) | instskip(NEXT) | instid1(VALU_DEP_2)
	;; [unrolled: 22-line block ×13, first 2 shown]
	s_mov_b32 s1, exec_lo
	v_cmpx_o_f32_e32 v19, v19
	s_cbranch_execz .LBB134_65
; %bb.62:
	s_waitcnt vmcnt(0)
	v_dual_mov_b32 v20, v1 :: v_dual_lshlrev_b32 v21, 16, v1
	s_mov_b32 s2, exec_lo
	s_delay_alu instid0(VALU_DEP_1)
	v_cmpx_o_f32_e32 v21, v21
; %bb.63:
	v_cmp_gt_f32_e32 vcc_lo, v19, v21
	v_cndmask_b32_e32 v20, v9, v1, vcc_lo
; %bb.64:
	s_or_b32 exec_lo, exec_lo, s2
	s_delay_alu instid0(VALU_DEP_1)
	v_mov_b32_e32 v9, v20
.LBB134_65:
	s_or_b32 exec_lo, exec_lo, s1
	s_add_i32 s1, s22, 0x2000
	s_delay_alu instid0(SALU_CYCLE_1)
	s_cmp_ge_i32 s1, s29
	s_cbranch_scc1 .LBB134_133
; %bb.66:
	v_add_co_u32 v19, s1, s16, v18
	s_delay_alu instid0(VALU_DEP_1)
	v_add_co_ci_u32_e64 v20, null, s17, 0, s1
	s_branch .LBB134_69
.LBB134_67:                             ;   in Loop: Header=BB134_69 Depth=1
	s_or_b32 exec_lo, exec_lo, s2
	s_delay_alu instid0(VALU_DEP_1)
	v_mov_b32_e32 v9, v22
.LBB134_68:                             ;   in Loop: Header=BB134_69 Depth=1
	s_or_b32 exec_lo, exec_lo, s1
	s_add_i32 s1, s0, 0x2000
	s_addk_i32 s0, 0x1000
	s_cmp_lt_i32 s1, s29
	s_cbranch_scc0 .LBB134_133
.LBB134_69:                             ; =>This Inner Loop Header: Depth=1
	s_ashr_i32 s1, s0, 31
	s_delay_alu instid0(SALU_CYCLE_1) | instskip(SKIP_4) | instid1(VALU_DEP_2)
	s_lshl_b64 s[2:3], s[0:1], 1
	s_mov_b32 s1, exec_lo
	s_waitcnt vmcnt(0)
	v_add_co_u32 v1, vcc_lo, v19, s2
	v_add_co_ci_u32_e32 v2, vcc_lo, s3, v20, vcc_lo
	v_add_co_u32 v21, vcc_lo, 0x1000, v1
	s_delay_alu instid0(VALU_DEP_2)
	v_add_co_ci_u32_e32 v22, vcc_lo, 0, v2, vcc_lo
	s_clause 0xf
	global_load_u16 v17, v[1:2], off
	global_load_u16 v16, v[1:2], off offset:512
	global_load_u16 v15, v[1:2], off offset:1024
	;; [unrolled: 1-line block ×7, first 2 shown]
	global_load_u16 v8, v[21:22], off
	global_load_u16 v7, v[21:22], off offset:512
	global_load_u16 v6, v[21:22], off offset:1024
	global_load_u16 v5, v[21:22], off offset:1536
	global_load_u16 v4, v[21:22], off offset:2048
	global_load_u16 v3, v[21:22], off offset:2560
	global_load_u16 v2, v[21:22], off offset:3072
	global_load_u16 v1, v[21:22], off offset:3584
	v_lshlrev_b32_e32 v21, 16, v9
	s_delay_alu instid0(VALU_DEP_1)
	v_cmpx_o_f32_e32 v21, v21
	s_cbranch_execz .LBB134_73
; %bb.70:                               ;   in Loop: Header=BB134_69 Depth=1
	s_waitcnt vmcnt(15)
	v_dual_mov_b32 v23, v17 :: v_dual_lshlrev_b32 v22, 16, v17
	s_mov_b32 s2, exec_lo
	s_delay_alu instid0(VALU_DEP_1)
	v_cmpx_o_f32_e32 v22, v22
; %bb.71:                               ;   in Loop: Header=BB134_69 Depth=1
	v_cmp_lt_f32_e32 vcc_lo, v22, v21
	v_cndmask_b32_e32 v23, v9, v17, vcc_lo
	s_delay_alu instid0(VALU_DEP_1)
	v_lshlrev_b32_e32 v22, 16, v23
; %bb.72:                               ;   in Loop: Header=BB134_69 Depth=1
	s_or_b32 exec_lo, exec_lo, s2
	s_delay_alu instid0(VALU_DEP_1)
	v_mov_b32_e32 v21, v22
	v_mov_b32_e32 v9, v23
.LBB134_73:                             ;   in Loop: Header=BB134_69 Depth=1
	s_or_b32 exec_lo, exec_lo, s1
	s_delay_alu instid0(SALU_CYCLE_1) | instskip(NEXT) | instid1(VALU_DEP_2)
	s_mov_b32 s1, exec_lo
	v_cmpx_o_f32_e32 v21, v21
	s_cbranch_execz .LBB134_77
; %bb.74:                               ;   in Loop: Header=BB134_69 Depth=1
	s_waitcnt vmcnt(14)
	v_dual_mov_b32 v23, v16 :: v_dual_lshlrev_b32 v22, 16, v16
	s_mov_b32 s2, exec_lo
	s_delay_alu instid0(VALU_DEP_1)
	v_cmpx_o_f32_e32 v22, v22
; %bb.75:                               ;   in Loop: Header=BB134_69 Depth=1
	v_cmp_gt_f32_e32 vcc_lo, v21, v22
	v_cndmask_b32_e32 v23, v9, v16, vcc_lo
	s_delay_alu instid0(VALU_DEP_1)
	v_lshlrev_b32_e32 v22, 16, v23
; %bb.76:                               ;   in Loop: Header=BB134_69 Depth=1
	s_or_b32 exec_lo, exec_lo, s2
	s_delay_alu instid0(VALU_DEP_1)
	v_mov_b32_e32 v21, v22
	v_mov_b32_e32 v9, v23
.LBB134_77:                             ;   in Loop: Header=BB134_69 Depth=1
	s_or_b32 exec_lo, exec_lo, s1
	s_delay_alu instid0(SALU_CYCLE_1) | instskip(NEXT) | instid1(VALU_DEP_2)
	s_mov_b32 s1, exec_lo
	v_cmpx_o_f32_e32 v21, v21
	s_cbranch_execz .LBB134_81
; %bb.78:                               ;   in Loop: Header=BB134_69 Depth=1
	s_waitcnt vmcnt(13)
	v_dual_mov_b32 v23, v15 :: v_dual_lshlrev_b32 v22, 16, v15
	s_mov_b32 s2, exec_lo
	s_delay_alu instid0(VALU_DEP_1)
	v_cmpx_o_f32_e32 v22, v22
; %bb.79:                               ;   in Loop: Header=BB134_69 Depth=1
	v_cmp_gt_f32_e32 vcc_lo, v21, v22
	v_cndmask_b32_e32 v23, v9, v15, vcc_lo
	s_delay_alu instid0(VALU_DEP_1)
	v_lshlrev_b32_e32 v22, 16, v23
; %bb.80:                               ;   in Loop: Header=BB134_69 Depth=1
	s_or_b32 exec_lo, exec_lo, s2
	s_delay_alu instid0(VALU_DEP_1)
	v_mov_b32_e32 v21, v22
	v_mov_b32_e32 v9, v23
.LBB134_81:                             ;   in Loop: Header=BB134_69 Depth=1
	;; [unrolled: 22-line block ×6, first 2 shown]
	s_or_b32 exec_lo, exec_lo, s1
	s_delay_alu instid0(SALU_CYCLE_1) | instskip(NEXT) | instid1(VALU_DEP_2)
	s_mov_b32 s1, exec_lo
	v_cmpx_o_f32_e32 v21, v21
	s_cbranch_execz .LBB134_101
; %bb.98:                               ;   in Loop: Header=BB134_69 Depth=1
	s_waitcnt vmcnt(8)
	v_dual_mov_b32 v23, v10 :: v_dual_lshlrev_b32 v22, 16, v10
	s_mov_b32 s2, exec_lo
	s_delay_alu instid0(VALU_DEP_1)
	v_cmpx_o_f32_e32 v22, v22
; %bb.99:                               ;   in Loop: Header=BB134_69 Depth=1
	v_cmp_gt_f32_e32 vcc_lo, v21, v22
	v_cndmask_b32_e32 v23, v9, v10, vcc_lo
	s_delay_alu instid0(VALU_DEP_1)
	v_lshlrev_b32_e32 v22, 16, v23
; %bb.100:                              ;   in Loop: Header=BB134_69 Depth=1
	s_or_b32 exec_lo, exec_lo, s2
	s_delay_alu instid0(VALU_DEP_1)
	v_mov_b32_e32 v21, v22
	v_mov_b32_e32 v9, v23
.LBB134_101:                            ;   in Loop: Header=BB134_69 Depth=1
	s_or_b32 exec_lo, exec_lo, s1
	s_delay_alu instid0(SALU_CYCLE_1) | instskip(NEXT) | instid1(VALU_DEP_2)
	s_mov_b32 s1, exec_lo
	v_cmpx_o_f32_e32 v21, v21
	s_cbranch_execz .LBB134_105
; %bb.102:                              ;   in Loop: Header=BB134_69 Depth=1
	s_waitcnt vmcnt(7)
	v_dual_mov_b32 v23, v8 :: v_dual_lshlrev_b32 v22, 16, v8
	s_mov_b32 s2, exec_lo
	s_delay_alu instid0(VALU_DEP_1)
	v_cmpx_o_f32_e32 v22, v22
; %bb.103:                              ;   in Loop: Header=BB134_69 Depth=1
	v_cmp_gt_f32_e32 vcc_lo, v21, v22
	v_cndmask_b32_e32 v23, v9, v8, vcc_lo
	s_delay_alu instid0(VALU_DEP_1)
	v_lshlrev_b32_e32 v22, 16, v23
; %bb.104:                              ;   in Loop: Header=BB134_69 Depth=1
	s_or_b32 exec_lo, exec_lo, s2
	s_delay_alu instid0(VALU_DEP_1)
	v_mov_b32_e32 v21, v22
	v_mov_b32_e32 v9, v23
.LBB134_105:                            ;   in Loop: Header=BB134_69 Depth=1
	s_or_b32 exec_lo, exec_lo, s1
	s_delay_alu instid0(SALU_CYCLE_1) | instskip(NEXT) | instid1(VALU_DEP_2)
	s_mov_b32 s1, exec_lo
	v_cmpx_o_f32_e32 v21, v21
	s_cbranch_execz .LBB134_109
; %bb.106:                              ;   in Loop: Header=BB134_69 Depth=1
	s_waitcnt vmcnt(6)
	v_dual_mov_b32 v23, v7 :: v_dual_lshlrev_b32 v22, 16, v7
	s_mov_b32 s2, exec_lo
	s_delay_alu instid0(VALU_DEP_1)
	v_cmpx_o_f32_e32 v22, v22
; %bb.107:                              ;   in Loop: Header=BB134_69 Depth=1
	v_cmp_gt_f32_e32 vcc_lo, v21, v22
	v_cndmask_b32_e32 v23, v9, v7, vcc_lo
	s_delay_alu instid0(VALU_DEP_1)
	v_lshlrev_b32_e32 v22, 16, v23
; %bb.108:                              ;   in Loop: Header=BB134_69 Depth=1
	s_or_b32 exec_lo, exec_lo, s2
	s_delay_alu instid0(VALU_DEP_1)
	v_mov_b32_e32 v21, v22
	v_mov_b32_e32 v9, v23
.LBB134_109:                            ;   in Loop: Header=BB134_69 Depth=1
	;; [unrolled: 22-line block ×7, first 2 shown]
	s_or_b32 exec_lo, exec_lo, s1
	s_delay_alu instid0(SALU_CYCLE_1) | instskip(NEXT) | instid1(VALU_DEP_2)
	s_mov_b32 s1, exec_lo
	v_cmpx_o_f32_e32 v21, v21
	s_cbranch_execz .LBB134_68
; %bb.130:                              ;   in Loop: Header=BB134_69 Depth=1
	s_waitcnt vmcnt(0)
	v_dual_mov_b32 v22, v1 :: v_dual_lshlrev_b32 v23, 16, v1
	s_mov_b32 s2, exec_lo
	s_delay_alu instid0(VALU_DEP_1)
	v_cmpx_o_f32_e32 v23, v23
	s_cbranch_execz .LBB134_67
; %bb.131:                              ;   in Loop: Header=BB134_69 Depth=1
	v_cmp_gt_f32_e32 vcc_lo, v21, v23
	v_cndmask_b32_e32 v22, v9, v1, vcc_lo
	s_branch .LBB134_67
.LBB134_132:
                                        ; implicit-def: $vgpr2
	s_cbranch_execnz .LBB134_298
	s_branch .LBB134_400
.LBB134_133:
	s_ashr_i32 s1, s0, 31
	s_sub_i32 s23, s29, s0
	s_lshl_b64 s[0:1], s[0:1], 1
	v_cmp_gt_u32_e64 s14, s23, v0
	s_add_u32 s26, s16, s0
	s_addc_u32 s27, s17, s1
	s_delay_alu instid0(VALU_DEP_1)
	s_and_saveexec_b32 s0, s14
	s_cbranch_execz .LBB134_135
; %bb.134:
	global_load_u16 v17, v18, s[26:27]
.LBB134_135:
	s_or_b32 exec_lo, exec_lo, s0
	v_or_b32_e32 v19, 0x100, v0
	s_delay_alu instid0(VALU_DEP_1) | instskip(NEXT) | instid1(VALU_DEP_1)
	v_cmp_gt_u32_e64 s13, s23, v19
	s_and_saveexec_b32 s0, s13
	s_cbranch_execz .LBB134_137
; %bb.136:
	global_load_u16 v16, v18, s[26:27] offset:512
.LBB134_137:
	s_or_b32 exec_lo, exec_lo, s0
	v_or_b32_e32 v19, 0x200, v0
	s_delay_alu instid0(VALU_DEP_1) | instskip(NEXT) | instid1(VALU_DEP_1)
	v_cmp_gt_u32_e64 s12, s23, v19
	s_and_saveexec_b32 s0, s12
	s_cbranch_execz .LBB134_139
; %bb.138:
	global_load_u16 v15, v18, s[26:27] offset:1024
.LBB134_139:
	;; [unrolled: 9-line block ×7, first 2 shown]
	s_or_b32 exec_lo, exec_lo, s0
	v_or_b32_e32 v18, 0x800, v0
	s_delay_alu instid0(VALU_DEP_1) | instskip(NEXT) | instid1(VALU_DEP_1)
	v_cmp_gt_u32_e64 s6, s23, v18
	s_and_saveexec_b32 s0, s6
	s_cbranch_execz .LBB134_151
; %bb.150:
	s_waitcnt vmcnt(7)
	v_lshlrev_b32_e32 v8, 1, v18
	global_load_u16 v8, v8, s[26:27]
.LBB134_151:
	s_or_b32 exec_lo, exec_lo, s0
	v_or_b32_e32 v18, 0x900, v0
	s_delay_alu instid0(VALU_DEP_1) | instskip(NEXT) | instid1(VALU_DEP_1)
	v_cmp_gt_u32_e64 s5, s23, v18
	s_and_saveexec_b32 s0, s5
	s_cbranch_execz .LBB134_153
; %bb.152:
	s_waitcnt vmcnt(6)
	v_lshlrev_b32_e32 v7, 1, v18
	global_load_u16 v7, v7, s[26:27]
.LBB134_153:
	;; [unrolled: 11-line block ×7, first 2 shown]
	s_or_b32 exec_lo, exec_lo, s30
	v_or_b32_e32 v18, 0xf00, v0
	s_delay_alu instid0(VALU_DEP_1)
	v_cmp_gt_u32_e32 vcc_lo, s23, v18
	s_and_saveexec_b32 s23, vcc_lo
	s_cbranch_execnz .LBB134_180
; %bb.164:
	s_or_b32 exec_lo, exec_lo, s23
	s_and_saveexec_b32 s23, s14
	s_cbranch_execnz .LBB134_181
.LBB134_165:
	s_or_b32 exec_lo, exec_lo, s23
	s_and_saveexec_b32 s14, s13
	s_cbranch_execnz .LBB134_186
.LBB134_166:
	s_or_b32 exec_lo, exec_lo, s14
	s_and_saveexec_b32 s13, s12
	s_cbranch_execnz .LBB134_191
.LBB134_167:
	s_or_b32 exec_lo, exec_lo, s13
	s_and_saveexec_b32 s12, s11
	s_cbranch_execnz .LBB134_196
.LBB134_168:
	s_or_b32 exec_lo, exec_lo, s12
	s_and_saveexec_b32 s11, s10
	s_cbranch_execnz .LBB134_201
.LBB134_169:
	s_or_b32 exec_lo, exec_lo, s11
	s_and_saveexec_b32 s10, s9
	s_cbranch_execnz .LBB134_206
.LBB134_170:
	s_or_b32 exec_lo, exec_lo, s10
	s_and_saveexec_b32 s9, s8
	s_cbranch_execnz .LBB134_211
.LBB134_171:
	s_or_b32 exec_lo, exec_lo, s9
	s_and_saveexec_b32 s8, s7
	s_cbranch_execnz .LBB134_216
.LBB134_172:
	s_or_b32 exec_lo, exec_lo, s8
	s_and_saveexec_b32 s7, s6
	s_cbranch_execnz .LBB134_221
.LBB134_173:
	s_or_b32 exec_lo, exec_lo, s7
	s_and_saveexec_b32 s6, s5
	s_cbranch_execnz .LBB134_226
.LBB134_174:
	s_or_b32 exec_lo, exec_lo, s6
	s_and_saveexec_b32 s5, s4
	s_cbranch_execnz .LBB134_231
.LBB134_175:
	s_or_b32 exec_lo, exec_lo, s5
	s_and_saveexec_b32 s4, s3
	s_cbranch_execnz .LBB134_236
.LBB134_176:
	s_or_b32 exec_lo, exec_lo, s4
	s_and_saveexec_b32 s3, s2
	s_cbranch_execnz .LBB134_241
.LBB134_177:
	s_or_b32 exec_lo, exec_lo, s3
	s_and_saveexec_b32 s2, s1
	s_cbranch_execnz .LBB134_246
.LBB134_178:
	s_or_b32 exec_lo, exec_lo, s2
	s_and_saveexec_b32 s1, s0
	s_cbranch_execnz .LBB134_251
.LBB134_179:
	s_or_b32 exec_lo, exec_lo, s1
	s_and_saveexec_b32 s0, vcc_lo
	s_cbranch_execnz .LBB134_256
	s_branch .LBB134_261
.LBB134_180:
	s_waitcnt vmcnt(0)
	v_lshlrev_b32_e32 v1, 1, v18
	global_load_u16 v1, v1, s[26:27]
	s_or_b32 exec_lo, exec_lo, s23
	s_and_saveexec_b32 s23, s14
	s_cbranch_execz .LBB134_165
.LBB134_181:
	v_lshlrev_b32_e32 v18, 16, v9
	s_mov_b32 s26, exec_lo
	s_delay_alu instid0(VALU_DEP_1)
	v_cmpx_o_f32_e32 v18, v18
	s_cbranch_execz .LBB134_185
; %bb.182:
	s_waitcnt vmcnt(0)
	v_lshlrev_b32_e32 v19, 16, v17
	s_mov_b32 s27, exec_lo
	s_delay_alu instid0(VALU_DEP_1)
	v_cmpx_o_f32_e32 v19, v19
; %bb.183:
	v_cmp_lt_f32_e64 s14, v19, v18
	s_delay_alu instid0(VALU_DEP_1)
	v_cndmask_b32_e64 v17, v9, v17, s14
; %bb.184:
	s_or_b32 exec_lo, exec_lo, s27
	s_delay_alu instid0(VALU_DEP_1)
	v_mov_b32_e32 v9, v17
.LBB134_185:
	s_or_b32 exec_lo, exec_lo, s26
	s_delay_alu instid0(SALU_CYCLE_1)
	s_or_b32 exec_lo, exec_lo, s23
	s_and_saveexec_b32 s14, s13
	s_cbranch_execz .LBB134_166
.LBB134_186:
	s_waitcnt vmcnt(0)
	v_lshlrev_b32_e32 v17, 16, v9
	s_mov_b32 s23, exec_lo
	s_delay_alu instid0(VALU_DEP_1)
	v_cmpx_o_f32_e32 v17, v17
	s_cbranch_execz .LBB134_190
; %bb.187:
	v_lshlrev_b32_e32 v18, 16, v16
	s_mov_b32 s26, exec_lo
	s_delay_alu instid0(VALU_DEP_1)
	v_cmpx_o_f32_e32 v18, v18
; %bb.188:
	v_cmp_lt_f32_e64 s13, v18, v17
	s_delay_alu instid0(VALU_DEP_1)
	v_cndmask_b32_e64 v16, v9, v16, s13
; %bb.189:
	s_or_b32 exec_lo, exec_lo, s26
	s_delay_alu instid0(VALU_DEP_1)
	v_mov_b32_e32 v9, v16
.LBB134_190:
	s_or_b32 exec_lo, exec_lo, s23
	s_delay_alu instid0(SALU_CYCLE_1)
	s_or_b32 exec_lo, exec_lo, s14
	s_and_saveexec_b32 s13, s12
	s_cbranch_execz .LBB134_167
.LBB134_191:
	s_waitcnt vmcnt(0)
	v_lshlrev_b32_e32 v16, 16, v9
	s_mov_b32 s14, exec_lo
	s_delay_alu instid0(VALU_DEP_1)
	v_cmpx_o_f32_e32 v16, v16
	s_cbranch_execz .LBB134_195
; %bb.192:
	v_lshlrev_b32_e32 v17, 16, v15
	s_mov_b32 s23, exec_lo
	s_delay_alu instid0(VALU_DEP_1)
	v_cmpx_o_f32_e32 v17, v17
; %bb.193:
	v_cmp_lt_f32_e64 s12, v17, v16
	s_delay_alu instid0(VALU_DEP_1)
	v_cndmask_b32_e64 v15, v9, v15, s12
; %bb.194:
	s_or_b32 exec_lo, exec_lo, s23
	s_delay_alu instid0(VALU_DEP_1)
	v_mov_b32_e32 v9, v15
.LBB134_195:
	s_or_b32 exec_lo, exec_lo, s14
	s_delay_alu instid0(SALU_CYCLE_1)
	s_or_b32 exec_lo, exec_lo, s13
	s_and_saveexec_b32 s12, s11
	s_cbranch_execz .LBB134_168
.LBB134_196:
	s_waitcnt vmcnt(0)
	v_lshlrev_b32_e32 v15, 16, v9
	s_mov_b32 s13, exec_lo
	s_delay_alu instid0(VALU_DEP_1)
	v_cmpx_o_f32_e32 v15, v15
	s_cbranch_execz .LBB134_200
; %bb.197:
	v_lshlrev_b32_e32 v16, 16, v14
	s_mov_b32 s14, exec_lo
	s_delay_alu instid0(VALU_DEP_1)
	v_cmpx_o_f32_e32 v16, v16
; %bb.198:
	v_cmp_lt_f32_e64 s11, v16, v15
	s_delay_alu instid0(VALU_DEP_1)
	v_cndmask_b32_e64 v14, v9, v14, s11
; %bb.199:
	s_or_b32 exec_lo, exec_lo, s14
	s_delay_alu instid0(VALU_DEP_1)
	v_mov_b32_e32 v9, v14
.LBB134_200:
	s_or_b32 exec_lo, exec_lo, s13
	s_delay_alu instid0(SALU_CYCLE_1)
	s_or_b32 exec_lo, exec_lo, s12
	s_and_saveexec_b32 s11, s10
	s_cbranch_execz .LBB134_169
.LBB134_201:
	s_waitcnt vmcnt(0)
	v_lshlrev_b32_e32 v14, 16, v9
	s_mov_b32 s12, exec_lo
	s_delay_alu instid0(VALU_DEP_1)
	v_cmpx_o_f32_e32 v14, v14
	s_cbranch_execz .LBB134_205
; %bb.202:
	v_lshlrev_b32_e32 v15, 16, v13
	s_mov_b32 s13, exec_lo
	s_delay_alu instid0(VALU_DEP_1)
	v_cmpx_o_f32_e32 v15, v15
; %bb.203:
	v_cmp_lt_f32_e64 s10, v15, v14
	s_delay_alu instid0(VALU_DEP_1)
	v_cndmask_b32_e64 v13, v9, v13, s10
; %bb.204:
	s_or_b32 exec_lo, exec_lo, s13
	s_delay_alu instid0(VALU_DEP_1)
	v_mov_b32_e32 v9, v13
.LBB134_205:
	s_or_b32 exec_lo, exec_lo, s12
	s_delay_alu instid0(SALU_CYCLE_1)
	s_or_b32 exec_lo, exec_lo, s11
	s_and_saveexec_b32 s10, s9
	s_cbranch_execz .LBB134_170
.LBB134_206:
	s_waitcnt vmcnt(0)
	v_lshlrev_b32_e32 v13, 16, v9
	s_mov_b32 s11, exec_lo
	s_delay_alu instid0(VALU_DEP_1)
	v_cmpx_o_f32_e32 v13, v13
	s_cbranch_execz .LBB134_210
; %bb.207:
	v_lshlrev_b32_e32 v14, 16, v12
	s_mov_b32 s12, exec_lo
	s_delay_alu instid0(VALU_DEP_1)
	v_cmpx_o_f32_e32 v14, v14
; %bb.208:
	v_cmp_lt_f32_e64 s9, v14, v13
	s_delay_alu instid0(VALU_DEP_1)
	v_cndmask_b32_e64 v12, v9, v12, s9
; %bb.209:
	s_or_b32 exec_lo, exec_lo, s12
	s_delay_alu instid0(VALU_DEP_1)
	v_mov_b32_e32 v9, v12
.LBB134_210:
	s_or_b32 exec_lo, exec_lo, s11
	s_delay_alu instid0(SALU_CYCLE_1)
	s_or_b32 exec_lo, exec_lo, s10
	s_and_saveexec_b32 s9, s8
	s_cbranch_execz .LBB134_171
.LBB134_211:
	s_waitcnt vmcnt(0)
	v_lshlrev_b32_e32 v12, 16, v9
	s_mov_b32 s10, exec_lo
	s_delay_alu instid0(VALU_DEP_1)
	v_cmpx_o_f32_e32 v12, v12
	s_cbranch_execz .LBB134_215
; %bb.212:
	v_lshlrev_b32_e32 v13, 16, v11
	s_mov_b32 s11, exec_lo
	s_delay_alu instid0(VALU_DEP_1)
	v_cmpx_o_f32_e32 v13, v13
; %bb.213:
	v_cmp_lt_f32_e64 s8, v13, v12
	s_delay_alu instid0(VALU_DEP_1)
	v_cndmask_b32_e64 v11, v9, v11, s8
; %bb.214:
	s_or_b32 exec_lo, exec_lo, s11
	s_delay_alu instid0(VALU_DEP_1)
	v_mov_b32_e32 v9, v11
.LBB134_215:
	s_or_b32 exec_lo, exec_lo, s10
	s_delay_alu instid0(SALU_CYCLE_1)
	s_or_b32 exec_lo, exec_lo, s9
	s_and_saveexec_b32 s8, s7
	s_cbranch_execz .LBB134_172
.LBB134_216:
	s_waitcnt vmcnt(0)
	v_lshlrev_b32_e32 v11, 16, v9
	s_mov_b32 s9, exec_lo
	s_delay_alu instid0(VALU_DEP_1)
	v_cmpx_o_f32_e32 v11, v11
	s_cbranch_execz .LBB134_220
; %bb.217:
	v_lshlrev_b32_e32 v12, 16, v10
	s_mov_b32 s10, exec_lo
	s_delay_alu instid0(VALU_DEP_1)
	v_cmpx_o_f32_e32 v12, v12
; %bb.218:
	v_cmp_lt_f32_e64 s7, v12, v11
	s_delay_alu instid0(VALU_DEP_1)
	v_cndmask_b32_e64 v10, v9, v10, s7
; %bb.219:
	s_or_b32 exec_lo, exec_lo, s10
	s_delay_alu instid0(VALU_DEP_1)
	v_mov_b32_e32 v9, v10
.LBB134_220:
	s_or_b32 exec_lo, exec_lo, s9
	s_delay_alu instid0(SALU_CYCLE_1)
	s_or_b32 exec_lo, exec_lo, s8
	s_and_saveexec_b32 s7, s6
	s_cbranch_execz .LBB134_173
.LBB134_221:
	s_waitcnt vmcnt(0)
	v_lshlrev_b32_e32 v10, 16, v9
	s_mov_b32 s8, exec_lo
	s_delay_alu instid0(VALU_DEP_1)
	v_cmpx_o_f32_e32 v10, v10
	s_cbranch_execz .LBB134_225
; %bb.222:
	v_lshlrev_b32_e32 v11, 16, v8
	s_mov_b32 s9, exec_lo
	s_delay_alu instid0(VALU_DEP_1)
	v_cmpx_o_f32_e32 v11, v11
; %bb.223:
	v_cmp_lt_f32_e64 s6, v11, v10
	s_delay_alu instid0(VALU_DEP_1)
	v_cndmask_b32_e64 v8, v9, v8, s6
; %bb.224:
	s_or_b32 exec_lo, exec_lo, s9
	s_delay_alu instid0(VALU_DEP_1)
	v_mov_b32_e32 v9, v8
.LBB134_225:
	s_or_b32 exec_lo, exec_lo, s8
	s_delay_alu instid0(SALU_CYCLE_1)
	s_or_b32 exec_lo, exec_lo, s7
	s_and_saveexec_b32 s6, s5
	s_cbranch_execz .LBB134_174
.LBB134_226:
	s_waitcnt vmcnt(0)
	v_lshlrev_b32_e32 v8, 16, v9
	s_mov_b32 s7, exec_lo
	s_delay_alu instid0(VALU_DEP_1)
	v_cmpx_o_f32_e32 v8, v8
	s_cbranch_execz .LBB134_230
; %bb.227:
	v_lshlrev_b32_e32 v10, 16, v7
	s_mov_b32 s8, exec_lo
	s_delay_alu instid0(VALU_DEP_1)
	v_cmpx_o_f32_e32 v10, v10
; %bb.228:
	v_cmp_lt_f32_e64 s5, v10, v8
	s_delay_alu instid0(VALU_DEP_1)
	v_cndmask_b32_e64 v7, v9, v7, s5
; %bb.229:
	s_or_b32 exec_lo, exec_lo, s8
	s_delay_alu instid0(VALU_DEP_1)
	v_mov_b32_e32 v9, v7
.LBB134_230:
	s_or_b32 exec_lo, exec_lo, s7
	s_delay_alu instid0(SALU_CYCLE_1)
	s_or_b32 exec_lo, exec_lo, s6
	s_and_saveexec_b32 s5, s4
	s_cbranch_execz .LBB134_175
.LBB134_231:
	s_waitcnt vmcnt(0)
	v_lshlrev_b32_e32 v7, 16, v9
	s_mov_b32 s6, exec_lo
	s_delay_alu instid0(VALU_DEP_1)
	v_cmpx_o_f32_e32 v7, v7
	s_cbranch_execz .LBB134_235
; %bb.232:
	v_lshlrev_b32_e32 v8, 16, v6
	s_mov_b32 s7, exec_lo
	s_delay_alu instid0(VALU_DEP_1)
	v_cmpx_o_f32_e32 v8, v8
; %bb.233:
	v_cmp_lt_f32_e64 s4, v8, v7
	s_delay_alu instid0(VALU_DEP_1)
	v_cndmask_b32_e64 v6, v9, v6, s4
; %bb.234:
	s_or_b32 exec_lo, exec_lo, s7
	s_delay_alu instid0(VALU_DEP_1)
	v_mov_b32_e32 v9, v6
.LBB134_235:
	s_or_b32 exec_lo, exec_lo, s6
	s_delay_alu instid0(SALU_CYCLE_1)
	s_or_b32 exec_lo, exec_lo, s5
	s_and_saveexec_b32 s4, s3
	s_cbranch_execz .LBB134_176
.LBB134_236:
	s_waitcnt vmcnt(0)
	v_lshlrev_b32_e32 v6, 16, v9
	s_mov_b32 s5, exec_lo
	s_delay_alu instid0(VALU_DEP_1)
	v_cmpx_o_f32_e32 v6, v6
	s_cbranch_execz .LBB134_240
; %bb.237:
	v_lshlrev_b32_e32 v7, 16, v5
	s_mov_b32 s6, exec_lo
	s_delay_alu instid0(VALU_DEP_1)
	v_cmpx_o_f32_e32 v7, v7
; %bb.238:
	v_cmp_lt_f32_e64 s3, v7, v6
	s_delay_alu instid0(VALU_DEP_1)
	v_cndmask_b32_e64 v5, v9, v5, s3
; %bb.239:
	s_or_b32 exec_lo, exec_lo, s6
	s_delay_alu instid0(VALU_DEP_1)
	v_mov_b32_e32 v9, v5
.LBB134_240:
	s_or_b32 exec_lo, exec_lo, s5
	s_delay_alu instid0(SALU_CYCLE_1)
	s_or_b32 exec_lo, exec_lo, s4
	s_and_saveexec_b32 s3, s2
	s_cbranch_execz .LBB134_177
.LBB134_241:
	s_waitcnt vmcnt(0)
	v_lshlrev_b32_e32 v5, 16, v9
	s_mov_b32 s4, exec_lo
	s_delay_alu instid0(VALU_DEP_1)
	v_cmpx_o_f32_e32 v5, v5
	s_cbranch_execz .LBB134_245
; %bb.242:
	v_lshlrev_b32_e32 v6, 16, v4
	s_mov_b32 s5, exec_lo
	s_delay_alu instid0(VALU_DEP_1)
	v_cmpx_o_f32_e32 v6, v6
; %bb.243:
	v_cmp_lt_f32_e64 s2, v6, v5
	s_delay_alu instid0(VALU_DEP_1)
	v_cndmask_b32_e64 v4, v9, v4, s2
; %bb.244:
	s_or_b32 exec_lo, exec_lo, s5
	s_delay_alu instid0(VALU_DEP_1)
	v_mov_b32_e32 v9, v4
.LBB134_245:
	s_or_b32 exec_lo, exec_lo, s4
	s_delay_alu instid0(SALU_CYCLE_1)
	s_or_b32 exec_lo, exec_lo, s3
	s_and_saveexec_b32 s2, s1
	s_cbranch_execz .LBB134_178
.LBB134_246:
	s_waitcnt vmcnt(0)
	v_lshlrev_b32_e32 v4, 16, v9
	s_mov_b32 s3, exec_lo
	s_delay_alu instid0(VALU_DEP_1)
	v_cmpx_o_f32_e32 v4, v4
	s_cbranch_execz .LBB134_250
; %bb.247:
	v_lshlrev_b32_e32 v5, 16, v3
	s_mov_b32 s4, exec_lo
	s_delay_alu instid0(VALU_DEP_1)
	v_cmpx_o_f32_e32 v5, v5
; %bb.248:
	v_cmp_lt_f32_e64 s1, v5, v4
	s_delay_alu instid0(VALU_DEP_1)
	v_cndmask_b32_e64 v3, v9, v3, s1
; %bb.249:
	s_or_b32 exec_lo, exec_lo, s4
	s_delay_alu instid0(VALU_DEP_1)
	v_mov_b32_e32 v9, v3
.LBB134_250:
	s_or_b32 exec_lo, exec_lo, s3
	s_delay_alu instid0(SALU_CYCLE_1)
	s_or_b32 exec_lo, exec_lo, s2
	s_and_saveexec_b32 s1, s0
	s_cbranch_execz .LBB134_179
.LBB134_251:
	s_waitcnt vmcnt(0)
	v_lshlrev_b32_e32 v3, 16, v9
	s_mov_b32 s2, exec_lo
	s_delay_alu instid0(VALU_DEP_1)
	v_cmpx_o_f32_e32 v3, v3
	s_cbranch_execz .LBB134_255
; %bb.252:
	v_lshlrev_b32_e32 v4, 16, v2
	s_mov_b32 s3, exec_lo
	s_delay_alu instid0(VALU_DEP_1)
	v_cmpx_o_f32_e32 v4, v4
; %bb.253:
	v_cmp_lt_f32_e64 s0, v4, v3
	s_delay_alu instid0(VALU_DEP_1)
	v_cndmask_b32_e64 v2, v9, v2, s0
; %bb.254:
	s_or_b32 exec_lo, exec_lo, s3
	s_delay_alu instid0(VALU_DEP_1)
	v_mov_b32_e32 v9, v2
.LBB134_255:
	s_or_b32 exec_lo, exec_lo, s2
	s_delay_alu instid0(SALU_CYCLE_1)
	s_or_b32 exec_lo, exec_lo, s1
	s_and_saveexec_b32 s0, vcc_lo
	s_cbranch_execz .LBB134_261
.LBB134_256:
	s_waitcnt vmcnt(0)
	v_lshlrev_b32_e32 v2, 16, v9
	s_mov_b32 s1, exec_lo
	s_delay_alu instid0(VALU_DEP_1)
	v_cmpx_o_f32_e32 v2, v2
	s_cbranch_execz .LBB134_260
; %bb.257:
	v_lshlrev_b32_e32 v3, 16, v1
	s_mov_b32 s2, exec_lo
	s_delay_alu instid0(VALU_DEP_1)
	v_cmpx_o_f32_e32 v3, v3
; %bb.258:
	v_cmp_lt_f32_e32 vcc_lo, v3, v2
	v_cndmask_b32_e32 v1, v9, v1, vcc_lo
; %bb.259:
	s_or_b32 exec_lo, exec_lo, s2
	s_delay_alu instid0(VALU_DEP_1)
	v_mov_b32_e32 v9, v1
.LBB134_260:
	s_or_b32 exec_lo, exec_lo, s1
.LBB134_261:
	s_delay_alu instid0(SALU_CYCLE_1) | instskip(SKIP_1) | instid1(VALU_DEP_1)
	s_or_b32 exec_lo, exec_lo, s0
	s_waitcnt vmcnt(0)
	v_and_b32_e32 v3, 0xffff, v9
	s_mov_b32 s0, exec_lo
	s_delay_alu instid0(VALU_DEP_1) | instskip(NEXT) | instid1(VALU_DEP_1)
	v_mov_b32_dpp v1, v3 quad_perm:[1,0,3,2] row_mask:0xf bank_mask:0xf
	v_lshlrev_b32_e32 v2, 16, v1
	s_delay_alu instid0(VALU_DEP_1)
	v_cmpx_o_f32_e32 v2, v2
	s_xor_b32 s0, exec_lo, s0
	s_cbranch_execz .LBB134_265
; %bb.262:
	v_lshlrev_b32_e32 v3, 16, v3
	s_mov_b32 s1, exec_lo
	s_delay_alu instid0(VALU_DEP_1)
	v_cmpx_o_f32_e32 v3, v3
; %bb.263:
	v_cmp_lt_f32_e32 vcc_lo, v3, v2
	v_cndmask_b32_e32 v9, v1, v9, vcc_lo
; %bb.264:
	s_or_b32 exec_lo, exec_lo, s1
	s_delay_alu instid0(VALU_DEP_1)
	v_mov_b32_e32 v1, v9
.LBB134_265:
	s_or_b32 exec_lo, exec_lo, s0
	s_delay_alu instid0(VALU_DEP_1) | instskip(SKIP_1) | instid1(VALU_DEP_1)
	v_and_b32_e32 v4, 0xffff, v1
	s_mov_b32 s0, exec_lo
	v_mov_b32_dpp v2, v4 quad_perm:[2,3,0,1] row_mask:0xf bank_mask:0xf
	s_delay_alu instid0(VALU_DEP_1) | instskip(NEXT) | instid1(VALU_DEP_1)
	v_lshlrev_b32_e32 v3, 16, v2
	v_cmpx_o_f32_e32 v3, v3
	s_cbranch_execz .LBB134_269
; %bb.266:
	v_lshlrev_b32_e32 v4, 16, v4
	s_mov_b32 s1, exec_lo
	s_delay_alu instid0(VALU_DEP_1)
	v_cmpx_o_f32_e32 v4, v4
; %bb.267:
	v_cmp_lt_f32_e32 vcc_lo, v4, v3
	v_cndmask_b32_e32 v1, v2, v1, vcc_lo
; %bb.268:
	s_or_b32 exec_lo, exec_lo, s1
	s_delay_alu instid0(VALU_DEP_1)
	v_mov_b32_e32 v2, v1
.LBB134_269:
	s_or_b32 exec_lo, exec_lo, s0
	s_delay_alu instid0(VALU_DEP_1) | instskip(SKIP_1) | instid1(VALU_DEP_1)
	v_and_b32_e32 v4, 0xffff, v2
	s_mov_b32 s0, exec_lo
	v_mov_b32_dpp v1, v4 row_ror:4 row_mask:0xf bank_mask:0xf
	s_delay_alu instid0(VALU_DEP_1) | instskip(NEXT) | instid1(VALU_DEP_1)
	v_lshlrev_b32_e32 v3, 16, v1
	v_cmpx_o_f32_e32 v3, v3
	s_cbranch_execz .LBB134_273
; %bb.270:
	v_lshlrev_b32_e32 v4, 16, v4
	s_mov_b32 s1, exec_lo
	s_delay_alu instid0(VALU_DEP_1)
	v_cmpx_o_f32_e32 v4, v4
; %bb.271:
	v_cmp_lt_f32_e32 vcc_lo, v4, v3
	v_cndmask_b32_e32 v2, v1, v2, vcc_lo
; %bb.272:
	s_or_b32 exec_lo, exec_lo, s1
	s_delay_alu instid0(VALU_DEP_1)
	v_mov_b32_e32 v1, v2
.LBB134_273:
	s_or_b32 exec_lo, exec_lo, s0
	s_delay_alu instid0(VALU_DEP_1) | instskip(SKIP_1) | instid1(VALU_DEP_1)
	v_and_b32_e32 v4, 0xffff, v1
	s_mov_b32 s0, exec_lo
	v_mov_b32_dpp v2, v4 row_ror:8 row_mask:0xf bank_mask:0xf
	s_delay_alu instid0(VALU_DEP_1) | instskip(NEXT) | instid1(VALU_DEP_1)
	v_lshlrev_b32_e32 v3, 16, v2
	v_cmpx_o_f32_e32 v3, v3
	s_cbranch_execz .LBB134_277
; %bb.274:
	v_lshlrev_b32_e32 v4, 16, v4
	s_mov_b32 s1, exec_lo
	s_delay_alu instid0(VALU_DEP_1)
	v_cmpx_o_f32_e32 v4, v4
; %bb.275:
	v_cmp_lt_f32_e32 vcc_lo, v4, v3
	v_cndmask_b32_e32 v1, v2, v1, vcc_lo
; %bb.276:
	s_or_b32 exec_lo, exec_lo, s1
	s_delay_alu instid0(VALU_DEP_1)
	v_mov_b32_e32 v2, v1
.LBB134_277:
	s_or_b32 exec_lo, exec_lo, s0
	s_delay_alu instid0(VALU_DEP_1) | instskip(SKIP_4) | instid1(VALU_DEP_1)
	v_and_b32_e32 v4, 0xffff, v2
	s_mov_b32 s0, exec_lo
	ds_swizzle_b32 v1, v4 offset:swizzle(BROADCAST,32,15)
	s_waitcnt lgkmcnt(0)
	v_lshlrev_b32_e32 v3, 16, v1
	v_cmpx_o_f32_e32 v3, v3
	s_cbranch_execz .LBB134_281
; %bb.278:
	v_lshlrev_b32_e32 v4, 16, v4
	s_mov_b32 s1, exec_lo
	s_delay_alu instid0(VALU_DEP_1)
	v_cmpx_o_f32_e32 v4, v4
; %bb.279:
	v_cmp_lt_f32_e32 vcc_lo, v4, v3
	v_cndmask_b32_e32 v2, v1, v2, vcc_lo
; %bb.280:
	s_or_b32 exec_lo, exec_lo, s1
	s_delay_alu instid0(VALU_DEP_1)
	v_mov_b32_e32 v1, v2
.LBB134_281:
	s_or_b32 exec_lo, exec_lo, s0
	s_delay_alu instid0(VALU_DEP_1) | instskip(SKIP_3) | instid1(VALU_DEP_1)
	v_dual_mov_b32 v2, 0 :: v_dual_and_b32 v1, 0xffff, v1
	s_mov_b32 s0, exec_lo
	ds_bpermute_b32 v2, v2, v1 offset:124
	v_mbcnt_lo_u32_b32 v1, -1, 0
	v_cmpx_eq_u32_e32 0, v1
	s_cbranch_execz .LBB134_283
; %bb.282:
	v_lshrrev_b32_e32 v3, 4, v0
	s_delay_alu instid0(VALU_DEP_1)
	v_and_b32_e32 v3, 14, v3
	s_waitcnt lgkmcnt(0)
	ds_store_b16 v3, v2
.LBB134_283:
	s_or_b32 exec_lo, exec_lo, s0
	s_delay_alu instid0(SALU_CYCLE_1)
	s_mov_b32 s0, exec_lo
	s_waitcnt lgkmcnt(0)
	s_barrier
	buffer_gl0_inv
	v_cmpx_gt_u32_e32 32, v0
	s_cbranch_execz .LBB134_297
; %bb.284:
	v_and_b32_e32 v3, 7, v1
	s_mov_b32 s1, exec_lo
	s_delay_alu instid0(VALU_DEP_1) | instskip(SKIP_3) | instid1(VALU_DEP_1)
	v_lshlrev_b32_e32 v2, 1, v3
	v_cmp_ne_u32_e32 vcc_lo, 7, v3
	ds_load_u16 v2, v2
	v_add_co_ci_u32_e32 v4, vcc_lo, 0, v1, vcc_lo
	v_lshlrev_b32_e32 v4, 2, v4
	s_waitcnt lgkmcnt(0)
	v_and_b32_e32 v5, 0xffff, v2
	ds_bpermute_b32 v4, v4, v5
	v_lshlrev_b32_e32 v5, 16, v2
	s_delay_alu instid0(VALU_DEP_1)
	v_cmpx_o_f32_e32 v5, v5
	s_cbranch_execz .LBB134_288
; %bb.285:
	s_waitcnt lgkmcnt(0)
	v_lshlrev_b32_e32 v6, 16, v4
	s_mov_b32 s2, exec_lo
	s_delay_alu instid0(VALU_DEP_1)
	v_cmpx_o_f32_e32 v6, v6
; %bb.286:
	v_cmp_lt_f32_e32 vcc_lo, v6, v5
	v_cndmask_b32_e32 v4, v2, v4, vcc_lo
; %bb.287:
	s_or_b32 exec_lo, exec_lo, s2
	s_delay_alu instid0(VALU_DEP_1)
	v_mov_b32_e32 v2, v4
.LBB134_288:
	s_or_b32 exec_lo, exec_lo, s1
	v_cmp_gt_u32_e32 vcc_lo, 6, v3
	s_delay_alu instid0(VALU_DEP_2) | instskip(SKIP_3) | instid1(VALU_DEP_1)
	v_and_b32_e32 v5, 0xffff, v2
	s_mov_b32 s1, exec_lo
	s_waitcnt lgkmcnt(0)
	v_cndmask_b32_e64 v4, 0, 1, vcc_lo
	v_lshlrev_b32_e32 v4, 1, v4
	s_delay_alu instid0(VALU_DEP_1) | instskip(SKIP_2) | instid1(VALU_DEP_1)
	v_add_lshl_u32 v4, v4, v1, 2
	ds_bpermute_b32 v4, v4, v5
	v_lshlrev_b32_e32 v5, 16, v2
	v_cmpx_o_f32_e32 v5, v5
	s_cbranch_execz .LBB134_292
; %bb.289:
	s_waitcnt lgkmcnt(0)
	v_lshlrev_b32_e32 v6, 16, v4
	s_mov_b32 s2, exec_lo
	s_delay_alu instid0(VALU_DEP_1)
	v_cmpx_o_f32_e32 v6, v6
; %bb.290:
	v_cmp_lt_f32_e32 vcc_lo, v6, v5
	v_cndmask_b32_e32 v4, v2, v4, vcc_lo
; %bb.291:
	s_or_b32 exec_lo, exec_lo, s2
	s_delay_alu instid0(VALU_DEP_1)
	v_mov_b32_e32 v2, v4
.LBB134_292:
	s_or_b32 exec_lo, exec_lo, s1
	v_cmp_gt_u32_e32 vcc_lo, 4, v3
	s_waitcnt lgkmcnt(0)
	s_delay_alu instid0(VALU_DEP_2) | instskip(SKIP_2) | instid1(VALU_DEP_1)
	v_and_b32_e32 v4, 0xffff, v2
	s_mov_b32 s1, exec_lo
	v_cndmask_b32_e64 v3, 0, 1, vcc_lo
	v_lshlrev_b32_e32 v3, 2, v3
	s_delay_alu instid0(VALU_DEP_1)
	v_add_lshl_u32 v1, v3, v1, 2
	v_lshlrev_b32_e32 v3, 16, v2
	ds_bpermute_b32 v1, v1, v4
	v_cmpx_o_f32_e32 v3, v3
	s_cbranch_execz .LBB134_296
; %bb.293:
	s_waitcnt lgkmcnt(0)
	v_lshlrev_b32_e32 v4, 16, v1
	s_mov_b32 s2, exec_lo
	s_delay_alu instid0(VALU_DEP_1)
	v_cmpx_o_f32_e32 v4, v4
; %bb.294:
	v_cmp_lt_f32_e32 vcc_lo, v4, v3
	v_cndmask_b32_e32 v1, v2, v1, vcc_lo
; %bb.295:
	s_or_b32 exec_lo, exec_lo, s2
	s_delay_alu instid0(VALU_DEP_1)
	v_mov_b32_e32 v2, v1
.LBB134_296:
	s_or_b32 exec_lo, exec_lo, s1
.LBB134_297:
	s_delay_alu instid0(SALU_CYCLE_1)
	s_or_b32 exec_lo, exec_lo, s0
	s_branch .LBB134_400
.LBB134_298:
	s_sub_i32 s0, s29, s22
	s_mov_b32 s1, exec_lo
                                        ; implicit-def: $vgpr4
	v_cmpx_gt_u32_e64 s0, v0
	s_cbranch_execz .LBB134_308
; %bb.299:
	s_waitcnt lgkmcnt(0)
	v_add_nc_u32_e32 v1, s22, v0
	s_mov_b32 s2, exec_lo
	s_delay_alu instid0(VALU_DEP_1) | instskip(NEXT) | instid1(VALU_DEP_1)
	v_ashrrev_i32_e32 v2, 31, v1
	v_lshlrev_b64 v[2:3], 1, v[1:2]
	v_add_nc_u32_e32 v1, 0x100, v1
	s_delay_alu instid0(VALU_DEP_2) | instskip(NEXT) | instid1(VALU_DEP_3)
	v_add_co_u32 v2, vcc_lo, s16, v2
	v_add_co_ci_u32_e32 v3, vcc_lo, s17, v3, vcc_lo
	global_load_u16 v4, v[2:3], off
	v_cmpx_gt_i32_e64 s29, v1
	s_cbranch_execz .LBB134_307
; %bb.300:
	s_mov_b32 s3, 0
	s_set_inst_prefetch_distance 0x1
	s_branch .LBB134_303
	.p2align	6
.LBB134_301:                            ;   in Loop: Header=BB134_303 Depth=1
	s_or_b32 exec_lo, exec_lo, s5
	s_delay_alu instid0(VALU_DEP_1)
	v_mov_b32_e32 v4, v2
.LBB134_302:                            ;   in Loop: Header=BB134_303 Depth=1
	s_or_b32 exec_lo, exec_lo, s4
	v_add_nc_u32_e32 v1, 0x100, v1
	s_delay_alu instid0(VALU_DEP_1) | instskip(SKIP_1) | instid1(SALU_CYCLE_1)
	v_cmp_le_i32_e32 vcc_lo, s29, v1
	s_or_b32 s3, vcc_lo, s3
	s_and_not1_b32 exec_lo, exec_lo, s3
	s_cbranch_execz .LBB134_306
.LBB134_303:                            ; =>This Inner Loop Header: Depth=1
	s_waitcnt vmcnt(0)
	v_lshlrev_b32_e32 v3, 16, v4
	s_mov_b32 s4, exec_lo
	s_delay_alu instid0(VALU_DEP_1)
	v_cmpx_o_f32_e32 v3, v3
	s_cbranch_execz .LBB134_302
; %bb.304:                              ;   in Loop: Header=BB134_303 Depth=1
	v_ashrrev_i32_e32 v2, 31, v1
	s_mov_b32 s5, exec_lo
	s_delay_alu instid0(VALU_DEP_1) | instskip(NEXT) | instid1(VALU_DEP_1)
	v_lshlrev_b64 v[5:6], 1, v[1:2]
	v_add_co_u32 v5, vcc_lo, s16, v5
	s_delay_alu instid0(VALU_DEP_2) | instskip(SKIP_3) | instid1(VALU_DEP_1)
	v_add_co_ci_u32_e32 v6, vcc_lo, s17, v6, vcc_lo
	global_load_u16 v2, v[5:6], off
	s_waitcnt vmcnt(0)
	v_lshlrev_b32_e32 v5, 16, v2
	v_cmpx_o_f32_e32 v5, v5
	s_cbranch_execz .LBB134_301
; %bb.305:                              ;   in Loop: Header=BB134_303 Depth=1
	v_cmp_lt_f32_e32 vcc_lo, v5, v3
	v_cndmask_b32_e32 v2, v4, v2, vcc_lo
	s_branch .LBB134_301
.LBB134_306:
	s_set_inst_prefetch_distance 0x2
	s_or_b32 exec_lo, exec_lo, s3
.LBB134_307:
	s_delay_alu instid0(SALU_CYCLE_1)
	s_or_b32 exec_lo, exec_lo, s2
.LBB134_308:
	s_delay_alu instid0(SALU_CYCLE_1)
	s_or_b32 exec_lo, exec_lo, s1
	v_lshrrev_b32_e32 v3, 5, v0
	s_waitcnt lgkmcnt(0)
	v_mbcnt_lo_u32_b32 v1, -1, 0
	s_waitcnt vmcnt(0)
	v_and_b32_e32 v5, 0xffff, v4
	s_cmpk_lt_u32 s0, 0x100
	s_mov_b32 s1, -1
	s_cbranch_scc0 .LBB134_362
; %bb.309:
	v_cmp_ne_u32_e32 vcc_lo, 31, v1
	v_mov_b32_e32 v7, v5
	v_add_co_ci_u32_e32 v2, vcc_lo, 0, v1, vcc_lo
	s_delay_alu instid0(VALU_DEP_1) | instskip(SKIP_2) | instid1(VALU_DEP_1)
	v_lshlrev_b32_e32 v2, 2, v2
	ds_bpermute_b32 v8, v2, v5
	v_and_b32_e32 v2, 0xe0, v0
	v_sub_nc_u32_e64 v6, s0, v2 clamp
	v_add_nc_u32_e32 v2, 1, v1
	s_delay_alu instid0(VALU_DEP_1)
	v_cmp_lt_u32_e32 vcc_lo, v2, v6
	v_mov_b32_e32 v2, v4
	s_and_saveexec_b32 s1, vcc_lo
	s_cbranch_execz .LBB134_315
; %bb.310:
	v_dual_mov_b32 v2, v4 :: v_dual_lshlrev_b32 v7, 16, v5
	s_mov_b32 s2, exec_lo
	s_delay_alu instid0(VALU_DEP_1)
	v_cmpx_o_f32_e32 v7, v7
	s_cbranch_execz .LBB134_314
; %bb.311:
	s_waitcnt lgkmcnt(0)
	v_lshlrev_b32_e32 v2, 16, v8
	s_mov_b32 s3, exec_lo
	s_delay_alu instid0(VALU_DEP_1)
	v_cmpx_o_f32_e32 v2, v2
; %bb.312:
	v_cmp_lt_f32_e32 vcc_lo, v2, v7
	v_cndmask_b32_e32 v8, v4, v8, vcc_lo
; %bb.313:
	s_or_b32 exec_lo, exec_lo, s3
	s_delay_alu instid0(VALU_DEP_1)
	v_mov_b32_e32 v2, v8
.LBB134_314:
	s_or_b32 exec_lo, exec_lo, s2
	s_delay_alu instid0(VALU_DEP_1)
	v_and_b32_e32 v7, 0xffff, v2
.LBB134_315:
	s_or_b32 exec_lo, exec_lo, s1
	v_cmp_gt_u32_e32 vcc_lo, 30, v1
	v_add_nc_u32_e32 v9, 2, v1
	s_mov_b32 s1, exec_lo
	s_waitcnt lgkmcnt(0)
	v_cndmask_b32_e64 v8, 0, 1, vcc_lo
	s_delay_alu instid0(VALU_DEP_1) | instskip(NEXT) | instid1(VALU_DEP_1)
	v_lshlrev_b32_e32 v8, 1, v8
	v_add_lshl_u32 v8, v8, v1, 2
	ds_bpermute_b32 v8, v8, v7
	v_cmpx_lt_u32_e64 v9, v6
	s_cbranch_execz .LBB134_321
; %bb.316:
	v_lshlrev_b32_e32 v7, 16, v7
	s_mov_b32 s2, exec_lo
	s_delay_alu instid0(VALU_DEP_1)
	v_cmpx_o_f32_e32 v7, v7
	s_cbranch_execz .LBB134_320
; %bb.317:
	s_waitcnt lgkmcnt(0)
	v_lshlrev_b32_e32 v9, 16, v8
	s_mov_b32 s3, exec_lo
	s_delay_alu instid0(VALU_DEP_1)
	v_cmpx_o_f32_e32 v9, v9
; %bb.318:
	v_cmp_lt_f32_e32 vcc_lo, v9, v7
	v_cndmask_b32_e32 v8, v2, v8, vcc_lo
; %bb.319:
	s_or_b32 exec_lo, exec_lo, s3
	s_delay_alu instid0(VALU_DEP_1)
	v_mov_b32_e32 v2, v8
.LBB134_320:
	s_or_b32 exec_lo, exec_lo, s2
	s_delay_alu instid0(VALU_DEP_1)
	v_and_b32_e32 v7, 0xffff, v2
.LBB134_321:
	s_or_b32 exec_lo, exec_lo, s1
	v_cmp_gt_u32_e32 vcc_lo, 28, v1
	v_add_nc_u32_e32 v9, 4, v1
	s_mov_b32 s1, exec_lo
	s_waitcnt lgkmcnt(0)
	v_cndmask_b32_e64 v8, 0, 1, vcc_lo
	s_delay_alu instid0(VALU_DEP_1) | instskip(NEXT) | instid1(VALU_DEP_1)
	v_lshlrev_b32_e32 v8, 2, v8
	v_add_lshl_u32 v8, v8, v1, 2
	ds_bpermute_b32 v8, v8, v7
	v_cmpx_lt_u32_e64 v9, v6
	s_cbranch_execz .LBB134_327
; %bb.322:
	v_lshlrev_b32_e32 v7, 16, v7
	s_mov_b32 s2, exec_lo
	s_delay_alu instid0(VALU_DEP_1)
	v_cmpx_o_f32_e32 v7, v7
	s_cbranch_execz .LBB134_326
; %bb.323:
	s_waitcnt lgkmcnt(0)
	v_lshlrev_b32_e32 v9, 16, v8
	s_mov_b32 s3, exec_lo
	s_delay_alu instid0(VALU_DEP_1)
	v_cmpx_o_f32_e32 v9, v9
; %bb.324:
	v_cmp_lt_f32_e32 vcc_lo, v9, v7
	v_cndmask_b32_e32 v8, v2, v8, vcc_lo
; %bb.325:
	s_or_b32 exec_lo, exec_lo, s3
	s_delay_alu instid0(VALU_DEP_1)
	v_mov_b32_e32 v2, v8
.LBB134_326:
	s_or_b32 exec_lo, exec_lo, s2
	s_delay_alu instid0(VALU_DEP_1)
	v_and_b32_e32 v7, 0xffff, v2
.LBB134_327:
	;; [unrolled: 36-line block ×3, first 2 shown]
	s_or_b32 exec_lo, exec_lo, s1
	v_cmp_gt_u32_e32 vcc_lo, 16, v1
	v_add_nc_u32_e32 v9, 16, v1
	s_mov_b32 s1, exec_lo
	s_waitcnt lgkmcnt(0)
	v_cndmask_b32_e64 v8, 0, 1, vcc_lo
	s_delay_alu instid0(VALU_DEP_1) | instskip(NEXT) | instid1(VALU_DEP_1)
	v_lshlrev_b32_e32 v8, 4, v8
	v_add_lshl_u32 v8, v8, v1, 2
	ds_bpermute_b32 v8, v8, v7
	v_cmpx_lt_u32_e64 v9, v6
	s_cbranch_execz .LBB134_339
; %bb.334:
	v_lshlrev_b32_e32 v6, 16, v7
	s_mov_b32 s2, exec_lo
	s_delay_alu instid0(VALU_DEP_1)
	v_cmpx_o_f32_e32 v6, v6
	s_cbranch_execz .LBB134_338
; %bb.335:
	s_waitcnt lgkmcnt(0)
	v_lshlrev_b32_e32 v7, 16, v8
	s_mov_b32 s3, exec_lo
	s_delay_alu instid0(VALU_DEP_1)
	v_cmpx_o_f32_e32 v7, v7
; %bb.336:
	v_cmp_lt_f32_e32 vcc_lo, v7, v6
	v_cndmask_b32_e32 v8, v2, v8, vcc_lo
; %bb.337:
	s_or_b32 exec_lo, exec_lo, s3
	s_delay_alu instid0(VALU_DEP_1)
	v_mov_b32_e32 v2, v8
.LBB134_338:
	s_or_b32 exec_lo, exec_lo, s2
.LBB134_339:
	s_delay_alu instid0(SALU_CYCLE_1) | instskip(NEXT) | instid1(SALU_CYCLE_1)
	s_or_b32 exec_lo, exec_lo, s1
	s_mov_b32 s1, exec_lo
	v_cmpx_eq_u32_e32 0, v1
	s_cbranch_execz .LBB134_341
; %bb.340:
	v_lshlrev_b32_e32 v6, 1, v3
	ds_store_b16 v6, v2
.LBB134_341:
	s_or_b32 exec_lo, exec_lo, s1
	s_delay_alu instid0(SALU_CYCLE_1)
	s_mov_b32 s1, exec_lo
	s_waitcnt lgkmcnt(0)
	s_barrier
	buffer_gl0_inv
	v_cmpx_gt_u32_e32 8, v0
	s_cbranch_execz .LBB134_361
; %bb.342:
	v_lshlrev_b32_e32 v2, 1, v1
	v_and_b32_e32 v6, 7, v1
	s_add_i32 s0, s0, 31
	s_mov_b32 s2, exec_lo
	s_lshr_b32 s0, s0, 5
	ds_load_u16 v2, v2
	v_cmp_ne_u32_e32 vcc_lo, 7, v6
	v_add_nc_u32_e32 v9, 1, v6
	v_add_co_ci_u32_e32 v8, vcc_lo, 0, v1, vcc_lo
	s_delay_alu instid0(VALU_DEP_1)
	v_lshlrev_b32_e32 v8, 2, v8
	s_waitcnt lgkmcnt(0)
	v_and_b32_e32 v7, 0xffff, v2
	ds_bpermute_b32 v8, v8, v7
	v_cmpx_gt_u32_e64 s0, v9
	s_cbranch_execz .LBB134_348
; %bb.343:
	v_lshlrev_b32_e32 v7, 16, v7
	s_mov_b32 s3, exec_lo
	s_delay_alu instid0(VALU_DEP_1)
	v_cmpx_o_f32_e32 v7, v7
	s_cbranch_execz .LBB134_347
; %bb.344:
	s_waitcnt lgkmcnt(0)
	v_lshlrev_b32_e32 v9, 16, v8
	s_mov_b32 s4, exec_lo
	s_delay_alu instid0(VALU_DEP_1)
	v_cmpx_o_f32_e32 v9, v9
; %bb.345:
	v_cmp_lt_f32_e32 vcc_lo, v9, v7
	v_cndmask_b32_e32 v8, v2, v8, vcc_lo
; %bb.346:
	s_or_b32 exec_lo, exec_lo, s4
	s_delay_alu instid0(VALU_DEP_1)
	v_mov_b32_e32 v2, v8
.LBB134_347:
	s_or_b32 exec_lo, exec_lo, s3
	s_delay_alu instid0(VALU_DEP_1)
	v_and_b32_e32 v7, 0xffff, v2
.LBB134_348:
	s_or_b32 exec_lo, exec_lo, s2
	v_cmp_gt_u32_e32 vcc_lo, 6, v6
	v_add_nc_u32_e32 v9, 2, v6
	s_mov_b32 s2, exec_lo
	s_waitcnt lgkmcnt(0)
	v_cndmask_b32_e64 v8, 0, 1, vcc_lo
	s_delay_alu instid0(VALU_DEP_1) | instskip(NEXT) | instid1(VALU_DEP_1)
	v_lshlrev_b32_e32 v8, 1, v8
	v_add_lshl_u32 v8, v8, v1, 2
	ds_bpermute_b32 v8, v8, v7
	v_cmpx_gt_u32_e64 s0, v9
	s_cbranch_execz .LBB134_354
; %bb.349:
	v_lshlrev_b32_e32 v7, 16, v7
	s_mov_b32 s3, exec_lo
	s_delay_alu instid0(VALU_DEP_1)
	v_cmpx_o_f32_e32 v7, v7
	s_cbranch_execz .LBB134_353
; %bb.350:
	s_waitcnt lgkmcnt(0)
	v_lshlrev_b32_e32 v9, 16, v8
	s_mov_b32 s4, exec_lo
	s_delay_alu instid0(VALU_DEP_1)
	v_cmpx_o_f32_e32 v9, v9
; %bb.351:
	v_cmp_lt_f32_e32 vcc_lo, v9, v7
	v_cndmask_b32_e32 v8, v2, v8, vcc_lo
; %bb.352:
	s_or_b32 exec_lo, exec_lo, s4
	s_delay_alu instid0(VALU_DEP_1)
	v_mov_b32_e32 v2, v8
.LBB134_353:
	s_or_b32 exec_lo, exec_lo, s3
	s_delay_alu instid0(VALU_DEP_1)
	v_and_b32_e32 v7, 0xffff, v2
.LBB134_354:
	s_or_b32 exec_lo, exec_lo, s2
	v_cmp_gt_u32_e32 vcc_lo, 4, v6
	v_add_nc_u32_e32 v6, 4, v6
	s_waitcnt lgkmcnt(0)
	v_cndmask_b32_e64 v8, 0, 1, vcc_lo
	s_delay_alu instid0(VALU_DEP_2) | instskip(NEXT) | instid1(VALU_DEP_2)
	v_cmp_gt_u32_e32 vcc_lo, s0, v6
	v_lshlrev_b32_e32 v8, 2, v8
	s_delay_alu instid0(VALU_DEP_1)
	v_add_lshl_u32 v8, v8, v1, 2
	ds_bpermute_b32 v8, v8, v7
	s_and_saveexec_b32 s0, vcc_lo
	s_cbranch_execz .LBB134_360
; %bb.355:
	v_lshlrev_b32_e32 v6, 16, v7
	s_mov_b32 s2, exec_lo
	s_delay_alu instid0(VALU_DEP_1)
	v_cmpx_o_f32_e32 v6, v6
	s_cbranch_execz .LBB134_359
; %bb.356:
	s_waitcnt lgkmcnt(0)
	v_lshlrev_b32_e32 v7, 16, v8
	s_mov_b32 s3, exec_lo
	s_delay_alu instid0(VALU_DEP_1)
	v_cmpx_o_f32_e32 v7, v7
; %bb.357:
	v_cmp_lt_f32_e32 vcc_lo, v7, v6
	v_cndmask_b32_e32 v8, v2, v8, vcc_lo
; %bb.358:
	s_or_b32 exec_lo, exec_lo, s3
	s_delay_alu instid0(VALU_DEP_1)
	v_mov_b32_e32 v2, v8
.LBB134_359:
	s_or_b32 exec_lo, exec_lo, s2
.LBB134_360:
	s_delay_alu instid0(SALU_CYCLE_1)
	s_or_b32 exec_lo, exec_lo, s0
.LBB134_361:
	s_delay_alu instid0(SALU_CYCLE_1)
	s_or_b32 exec_lo, exec_lo, s1
	s_branch .LBB134_400
.LBB134_362:
                                        ; implicit-def: $vgpr2
	s_and_b32 vcc_lo, exec_lo, s1
	s_cbranch_vccz .LBB134_400
; %bb.363:
	v_mov_b32_dpp v2, v5 quad_perm:[1,0,3,2] row_mask:0xf bank_mask:0xf
	s_mov_b32 s0, exec_lo
	s_delay_alu instid0(VALU_DEP_1) | instskip(NEXT) | instid1(VALU_DEP_1)
	v_lshlrev_b32_e32 v6, 16, v2
	v_cmpx_o_f32_e32 v6, v6
	s_cbranch_execz .LBB134_367
; %bb.364:
	v_lshlrev_b32_e32 v5, 16, v5
	s_mov_b32 s1, exec_lo
	s_delay_alu instid0(VALU_DEP_1)
	v_cmpx_o_f32_e32 v5, v5
; %bb.365:
	v_cmp_lt_f32_e32 vcc_lo, v5, v6
	v_cndmask_b32_e32 v4, v2, v4, vcc_lo
; %bb.366:
	s_or_b32 exec_lo, exec_lo, s1
	s_delay_alu instid0(VALU_DEP_1)
	v_mov_b32_e32 v2, v4
.LBB134_367:
	s_or_b32 exec_lo, exec_lo, s0
	s_delay_alu instid0(VALU_DEP_1) | instskip(SKIP_1) | instid1(VALU_DEP_1)
	v_and_b32_e32 v6, 0xffff, v2
	s_mov_b32 s0, exec_lo
	v_mov_b32_dpp v4, v6 quad_perm:[2,3,0,1] row_mask:0xf bank_mask:0xf
	s_delay_alu instid0(VALU_DEP_1) | instskip(NEXT) | instid1(VALU_DEP_1)
	v_lshlrev_b32_e32 v5, 16, v4
	v_cmpx_o_f32_e32 v5, v5
	s_cbranch_execz .LBB134_371
; %bb.368:
	v_lshlrev_b32_e32 v6, 16, v6
	s_mov_b32 s1, exec_lo
	s_delay_alu instid0(VALU_DEP_1)
	v_cmpx_o_f32_e32 v6, v6
; %bb.369:
	v_cmp_lt_f32_e32 vcc_lo, v6, v5
	v_cndmask_b32_e32 v2, v4, v2, vcc_lo
; %bb.370:
	s_or_b32 exec_lo, exec_lo, s1
	s_delay_alu instid0(VALU_DEP_1)
	v_mov_b32_e32 v4, v2
.LBB134_371:
	s_or_b32 exec_lo, exec_lo, s0
	s_delay_alu instid0(VALU_DEP_1) | instskip(SKIP_1) | instid1(VALU_DEP_1)
	v_and_b32_e32 v6, 0xffff, v4
	s_mov_b32 s0, exec_lo
	v_mov_b32_dpp v2, v6 row_ror:4 row_mask:0xf bank_mask:0xf
	s_delay_alu instid0(VALU_DEP_1) | instskip(NEXT) | instid1(VALU_DEP_1)
	v_lshlrev_b32_e32 v5, 16, v2
	v_cmpx_o_f32_e32 v5, v5
	s_cbranch_execz .LBB134_375
; %bb.372:
	v_lshlrev_b32_e32 v6, 16, v6
	s_mov_b32 s1, exec_lo
	s_delay_alu instid0(VALU_DEP_1)
	v_cmpx_o_f32_e32 v6, v6
; %bb.373:
	v_cmp_lt_f32_e32 vcc_lo, v6, v5
	v_cndmask_b32_e32 v4, v2, v4, vcc_lo
; %bb.374:
	s_or_b32 exec_lo, exec_lo, s1
	s_delay_alu instid0(VALU_DEP_1)
	v_mov_b32_e32 v2, v4
.LBB134_375:
	s_or_b32 exec_lo, exec_lo, s0
	s_delay_alu instid0(VALU_DEP_1) | instskip(SKIP_1) | instid1(VALU_DEP_1)
	v_and_b32_e32 v6, 0xffff, v2
	s_mov_b32 s0, exec_lo
	v_mov_b32_dpp v4, v6 row_ror:8 row_mask:0xf bank_mask:0xf
	s_delay_alu instid0(VALU_DEP_1) | instskip(NEXT) | instid1(VALU_DEP_1)
	v_lshlrev_b32_e32 v5, 16, v4
	v_cmpx_o_f32_e32 v5, v5
	s_cbranch_execz .LBB134_379
; %bb.376:
	v_lshlrev_b32_e32 v6, 16, v6
	s_mov_b32 s1, exec_lo
	s_delay_alu instid0(VALU_DEP_1)
	v_cmpx_o_f32_e32 v6, v6
; %bb.377:
	v_cmp_lt_f32_e32 vcc_lo, v6, v5
	v_cndmask_b32_e32 v2, v4, v2, vcc_lo
; %bb.378:
	s_or_b32 exec_lo, exec_lo, s1
	s_delay_alu instid0(VALU_DEP_1)
	v_mov_b32_e32 v4, v2
.LBB134_379:
	s_or_b32 exec_lo, exec_lo, s0
	s_delay_alu instid0(VALU_DEP_1) | instskip(SKIP_4) | instid1(VALU_DEP_1)
	v_and_b32_e32 v6, 0xffff, v4
	s_mov_b32 s0, exec_lo
	ds_swizzle_b32 v2, v6 offset:swizzle(BROADCAST,32,15)
	s_waitcnt lgkmcnt(0)
	v_lshlrev_b32_e32 v5, 16, v2
	v_cmpx_o_f32_e32 v5, v5
	s_cbranch_execz .LBB134_383
; %bb.380:
	v_lshlrev_b32_e32 v6, 16, v6
	s_mov_b32 s1, exec_lo
	s_delay_alu instid0(VALU_DEP_1)
	v_cmpx_o_f32_e32 v6, v6
; %bb.381:
	v_cmp_lt_f32_e32 vcc_lo, v6, v5
	v_cndmask_b32_e32 v4, v2, v4, vcc_lo
; %bb.382:
	s_or_b32 exec_lo, exec_lo, s1
	s_delay_alu instid0(VALU_DEP_1)
	v_mov_b32_e32 v2, v4
.LBB134_383:
	s_or_b32 exec_lo, exec_lo, s0
	s_delay_alu instid0(VALU_DEP_1)
	v_and_b32_e32 v2, 0xffff, v2
	v_mov_b32_e32 v4, 0
	s_mov_b32 s0, exec_lo
	ds_bpermute_b32 v2, v4, v2 offset:124
	v_cmpx_eq_u32_e32 0, v1
	s_cbranch_execz .LBB134_385
; %bb.384:
	v_lshlrev_b32_e32 v3, 1, v3
	s_waitcnt lgkmcnt(0)
	ds_store_b16 v3, v2
.LBB134_385:
	s_or_b32 exec_lo, exec_lo, s0
	s_delay_alu instid0(SALU_CYCLE_1)
	s_mov_b32 s0, exec_lo
	s_waitcnt lgkmcnt(0)
	s_barrier
	buffer_gl0_inv
	v_cmpx_gt_u32_e32 32, v0
	s_cbranch_execz .LBB134_399
; %bb.386:
	v_and_b32_e32 v3, 7, v1
	s_mov_b32 s1, exec_lo
	s_delay_alu instid0(VALU_DEP_1) | instskip(SKIP_3) | instid1(VALU_DEP_1)
	v_lshlrev_b32_e32 v2, 1, v3
	v_cmp_ne_u32_e32 vcc_lo, 7, v3
	ds_load_u16 v2, v2
	v_add_co_ci_u32_e32 v4, vcc_lo, 0, v1, vcc_lo
	v_lshlrev_b32_e32 v4, 2, v4
	s_waitcnt lgkmcnt(0)
	v_and_b32_e32 v5, 0xffff, v2
	ds_bpermute_b32 v4, v4, v5
	v_lshlrev_b32_e32 v5, 16, v2
	s_delay_alu instid0(VALU_DEP_1)
	v_cmpx_o_f32_e32 v5, v5
	s_cbranch_execz .LBB134_390
; %bb.387:
	s_waitcnt lgkmcnt(0)
	v_lshlrev_b32_e32 v6, 16, v4
	s_mov_b32 s2, exec_lo
	s_delay_alu instid0(VALU_DEP_1)
	v_cmpx_o_f32_e32 v6, v6
; %bb.388:
	v_cmp_lt_f32_e32 vcc_lo, v6, v5
	v_cndmask_b32_e32 v4, v2, v4, vcc_lo
; %bb.389:
	s_or_b32 exec_lo, exec_lo, s2
	s_delay_alu instid0(VALU_DEP_1)
	v_mov_b32_e32 v2, v4
.LBB134_390:
	s_or_b32 exec_lo, exec_lo, s1
	v_cmp_gt_u32_e32 vcc_lo, 6, v3
	s_delay_alu instid0(VALU_DEP_2) | instskip(SKIP_3) | instid1(VALU_DEP_1)
	v_and_b32_e32 v5, 0xffff, v2
	s_mov_b32 s1, exec_lo
	s_waitcnt lgkmcnt(0)
	v_cndmask_b32_e64 v4, 0, 1, vcc_lo
	v_lshlrev_b32_e32 v4, 1, v4
	s_delay_alu instid0(VALU_DEP_1) | instskip(SKIP_2) | instid1(VALU_DEP_1)
	v_add_lshl_u32 v4, v4, v1, 2
	ds_bpermute_b32 v4, v4, v5
	v_lshlrev_b32_e32 v5, 16, v2
	v_cmpx_o_f32_e32 v5, v5
	s_cbranch_execz .LBB134_394
; %bb.391:
	s_waitcnt lgkmcnt(0)
	v_lshlrev_b32_e32 v6, 16, v4
	s_mov_b32 s2, exec_lo
	s_delay_alu instid0(VALU_DEP_1)
	v_cmpx_o_f32_e32 v6, v6
; %bb.392:
	v_cmp_lt_f32_e32 vcc_lo, v6, v5
	v_cndmask_b32_e32 v4, v2, v4, vcc_lo
; %bb.393:
	s_or_b32 exec_lo, exec_lo, s2
	s_delay_alu instid0(VALU_DEP_1)
	v_mov_b32_e32 v2, v4
.LBB134_394:
	s_or_b32 exec_lo, exec_lo, s1
	v_cmp_gt_u32_e32 vcc_lo, 4, v3
	s_waitcnt lgkmcnt(0)
	s_delay_alu instid0(VALU_DEP_2) | instskip(SKIP_2) | instid1(VALU_DEP_1)
	v_and_b32_e32 v4, 0xffff, v2
	s_mov_b32 s1, exec_lo
	v_cndmask_b32_e64 v3, 0, 1, vcc_lo
	v_lshlrev_b32_e32 v3, 2, v3
	s_delay_alu instid0(VALU_DEP_1)
	v_add_lshl_u32 v1, v3, v1, 2
	v_lshlrev_b32_e32 v3, 16, v2
	ds_bpermute_b32 v1, v1, v4
	v_cmpx_o_f32_e32 v3, v3
	s_cbranch_execz .LBB134_398
; %bb.395:
	s_waitcnt lgkmcnt(0)
	v_lshlrev_b32_e32 v4, 16, v1
	s_mov_b32 s2, exec_lo
	s_delay_alu instid0(VALU_DEP_1)
	v_cmpx_o_f32_e32 v4, v4
; %bb.396:
	v_cmp_lt_f32_e32 vcc_lo, v4, v3
	v_cndmask_b32_e32 v1, v2, v1, vcc_lo
; %bb.397:
	s_or_b32 exec_lo, exec_lo, s2
	s_delay_alu instid0(VALU_DEP_1)
	v_mov_b32_e32 v2, v1
.LBB134_398:
	s_or_b32 exec_lo, exec_lo, s1
.LBB134_399:
	s_delay_alu instid0(SALU_CYCLE_1)
	s_or_b32 exec_lo, exec_lo, s0
.LBB134_400:
	s_delay_alu instid0(SALU_CYCLE_1)
	s_mov_b32 s0, exec_lo
                                        ; implicit-def: $vgpr1
	v_cmpx_eq_u32_e32 0, v0
	s_cbranch_execz .LBB134_406
; %bb.401:
	s_lshl_b32 s1, s15, 16
	s_waitcnt lgkmcnt(0)
	v_mov_b32_e32 v1, s15
	v_cmp_u_f32_e64 s2, s1, s1
	s_delay_alu instid0(VALU_DEP_1)
	s_and_b32 vcc_lo, exec_lo, s2
	s_cbranch_vccnz .LBB134_405
; %bb.402:
	v_lshlrev_b32_e32 v0, 16, v2
	s_mov_b32 s2, exec_lo
	s_delay_alu instid0(VALU_DEP_1)
	v_cmpx_o_f32_e32 v0, v0
; %bb.403:
	v_cmp_gt_f32_e32 vcc_lo, s1, v0
	v_cndmask_b32_e32 v2, s15, v2, vcc_lo
; %bb.404:
	s_or_b32 exec_lo, exec_lo, s2
	s_delay_alu instid0(VALU_DEP_1)
	v_mov_b32_e32 v1, v2
.LBB134_405:
	s_or_b32 s28, s28, exec_lo
.LBB134_406:
	s_or_b32 exec_lo, exec_lo, s0
	s_and_saveexec_b32 s0, s28
	s_cbranch_execz .LBB134_408
.LBB134_407:
	s_lshl_b64 s[0:1], s[20:21], 1
	v_mov_b32_e32 v0, 0
	s_add_u32 s2, s18, s0
	s_addc_u32 s3, s19, s1
	s_lshl_b64 s[0:1], s[24:25], 1
	s_delay_alu instid0(SALU_CYCLE_1)
	s_add_u32 s0, s2, s0
	s_addc_u32 s1, s3, s1
	s_waitcnt lgkmcnt(0)
	global_store_b16 v0, v1, s[0:1]
.LBB134_408:
	s_nop 0
	s_sendmsg sendmsg(MSG_DEALLOC_VGPRS)
	s_endpgm
	.section	.rodata,"a",@progbits
	.p2align	6, 0x0
	.amdhsa_kernel _ZN7rocprim17ROCPRIM_400000_NS6detail17trampoline_kernelINS0_14default_configENS1_32segmented_reduce_config_selectorIN3c108BFloat16EEEZNS1_21segmented_reduce_implIS3_PKS6_PS6_PKiS6_N6hipcub16HIPCUB_304000_NS6detail27convert_result_type_wrapperISA_SB_N2at6native12_GLOBAL__N_19CustomMinEEEEE10hipError_tPvRmT0_T1_jT2_SS_T4_T3_P12ihipStream_tbEUlT_E_NS1_11comp_targetILNS1_3genE9ELNS1_11target_archE1100ELNS1_3gpuE3ELNS1_3repE0EEENS1_30default_config_static_selectorELNS0_4arch9wavefront6targetE0EEEvSR_
		.amdhsa_group_segment_fixed_size 16
		.amdhsa_private_segment_fixed_size 0
		.amdhsa_kernarg_size 48
		.amdhsa_user_sgpr_count 15
		.amdhsa_user_sgpr_dispatch_ptr 0
		.amdhsa_user_sgpr_queue_ptr 0
		.amdhsa_user_sgpr_kernarg_segment_ptr 1
		.amdhsa_user_sgpr_dispatch_id 0
		.amdhsa_user_sgpr_private_segment_size 0
		.amdhsa_wavefront_size32 1
		.amdhsa_uses_dynamic_stack 0
		.amdhsa_enable_private_segment 0
		.amdhsa_system_sgpr_workgroup_id_x 1
		.amdhsa_system_sgpr_workgroup_id_y 0
		.amdhsa_system_sgpr_workgroup_id_z 0
		.amdhsa_system_sgpr_workgroup_info 0
		.amdhsa_system_vgpr_workitem_id 0
		.amdhsa_next_free_vgpr 24
		.amdhsa_next_free_sgpr 31
		.amdhsa_reserve_vcc 1
		.amdhsa_float_round_mode_32 0
		.amdhsa_float_round_mode_16_64 0
		.amdhsa_float_denorm_mode_32 3
		.amdhsa_float_denorm_mode_16_64 3
		.amdhsa_dx10_clamp 1
		.amdhsa_ieee_mode 1
		.amdhsa_fp16_overflow 0
		.amdhsa_workgroup_processor_mode 1
		.amdhsa_memory_ordered 1
		.amdhsa_forward_progress 0
		.amdhsa_shared_vgpr_count 0
		.amdhsa_exception_fp_ieee_invalid_op 0
		.amdhsa_exception_fp_denorm_src 0
		.amdhsa_exception_fp_ieee_div_zero 0
		.amdhsa_exception_fp_ieee_overflow 0
		.amdhsa_exception_fp_ieee_underflow 0
		.amdhsa_exception_fp_ieee_inexact 0
		.amdhsa_exception_int_div_zero 0
	.end_amdhsa_kernel
	.section	.text._ZN7rocprim17ROCPRIM_400000_NS6detail17trampoline_kernelINS0_14default_configENS1_32segmented_reduce_config_selectorIN3c108BFloat16EEEZNS1_21segmented_reduce_implIS3_PKS6_PS6_PKiS6_N6hipcub16HIPCUB_304000_NS6detail27convert_result_type_wrapperISA_SB_N2at6native12_GLOBAL__N_19CustomMinEEEEE10hipError_tPvRmT0_T1_jT2_SS_T4_T3_P12ihipStream_tbEUlT_E_NS1_11comp_targetILNS1_3genE9ELNS1_11target_archE1100ELNS1_3gpuE3ELNS1_3repE0EEENS1_30default_config_static_selectorELNS0_4arch9wavefront6targetE0EEEvSR_,"axG",@progbits,_ZN7rocprim17ROCPRIM_400000_NS6detail17trampoline_kernelINS0_14default_configENS1_32segmented_reduce_config_selectorIN3c108BFloat16EEEZNS1_21segmented_reduce_implIS3_PKS6_PS6_PKiS6_N6hipcub16HIPCUB_304000_NS6detail27convert_result_type_wrapperISA_SB_N2at6native12_GLOBAL__N_19CustomMinEEEEE10hipError_tPvRmT0_T1_jT2_SS_T4_T3_P12ihipStream_tbEUlT_E_NS1_11comp_targetILNS1_3genE9ELNS1_11target_archE1100ELNS1_3gpuE3ELNS1_3repE0EEENS1_30default_config_static_selectorELNS0_4arch9wavefront6targetE0EEEvSR_,comdat
.Lfunc_end134:
	.size	_ZN7rocprim17ROCPRIM_400000_NS6detail17trampoline_kernelINS0_14default_configENS1_32segmented_reduce_config_selectorIN3c108BFloat16EEEZNS1_21segmented_reduce_implIS3_PKS6_PS6_PKiS6_N6hipcub16HIPCUB_304000_NS6detail27convert_result_type_wrapperISA_SB_N2at6native12_GLOBAL__N_19CustomMinEEEEE10hipError_tPvRmT0_T1_jT2_SS_T4_T3_P12ihipStream_tbEUlT_E_NS1_11comp_targetILNS1_3genE9ELNS1_11target_archE1100ELNS1_3gpuE3ELNS1_3repE0EEENS1_30default_config_static_selectorELNS0_4arch9wavefront6targetE0EEEvSR_, .Lfunc_end134-_ZN7rocprim17ROCPRIM_400000_NS6detail17trampoline_kernelINS0_14default_configENS1_32segmented_reduce_config_selectorIN3c108BFloat16EEEZNS1_21segmented_reduce_implIS3_PKS6_PS6_PKiS6_N6hipcub16HIPCUB_304000_NS6detail27convert_result_type_wrapperISA_SB_N2at6native12_GLOBAL__N_19CustomMinEEEEE10hipError_tPvRmT0_T1_jT2_SS_T4_T3_P12ihipStream_tbEUlT_E_NS1_11comp_targetILNS1_3genE9ELNS1_11target_archE1100ELNS1_3gpuE3ELNS1_3repE0EEENS1_30default_config_static_selectorELNS0_4arch9wavefront6targetE0EEEvSR_
                                        ; -- End function
	.section	.AMDGPU.csdata,"",@progbits
; Kernel info:
; codeLenInByte = 8704
; NumSgprs: 33
; NumVgprs: 24
; ScratchSize: 0
; MemoryBound: 0
; FloatMode: 240
; IeeeMode: 1
; LDSByteSize: 16 bytes/workgroup (compile time only)
; SGPRBlocks: 4
; VGPRBlocks: 2
; NumSGPRsForWavesPerEU: 33
; NumVGPRsForWavesPerEU: 24
; Occupancy: 16
; WaveLimiterHint : 1
; COMPUTE_PGM_RSRC2:SCRATCH_EN: 0
; COMPUTE_PGM_RSRC2:USER_SGPR: 15
; COMPUTE_PGM_RSRC2:TRAP_HANDLER: 0
; COMPUTE_PGM_RSRC2:TGID_X_EN: 1
; COMPUTE_PGM_RSRC2:TGID_Y_EN: 0
; COMPUTE_PGM_RSRC2:TGID_Z_EN: 0
; COMPUTE_PGM_RSRC2:TIDIG_COMP_CNT: 0
	.section	.text._ZN7rocprim17ROCPRIM_400000_NS6detail17trampoline_kernelINS0_14default_configENS1_32segmented_reduce_config_selectorIN3c108BFloat16EEEZNS1_21segmented_reduce_implIS3_PKS6_PS6_PKiS6_N6hipcub16HIPCUB_304000_NS6detail27convert_result_type_wrapperISA_SB_N2at6native12_GLOBAL__N_19CustomMinEEEEE10hipError_tPvRmT0_T1_jT2_SS_T4_T3_P12ihipStream_tbEUlT_E_NS1_11comp_targetILNS1_3genE8ELNS1_11target_archE1030ELNS1_3gpuE2ELNS1_3repE0EEENS1_30default_config_static_selectorELNS0_4arch9wavefront6targetE0EEEvSR_,"axG",@progbits,_ZN7rocprim17ROCPRIM_400000_NS6detail17trampoline_kernelINS0_14default_configENS1_32segmented_reduce_config_selectorIN3c108BFloat16EEEZNS1_21segmented_reduce_implIS3_PKS6_PS6_PKiS6_N6hipcub16HIPCUB_304000_NS6detail27convert_result_type_wrapperISA_SB_N2at6native12_GLOBAL__N_19CustomMinEEEEE10hipError_tPvRmT0_T1_jT2_SS_T4_T3_P12ihipStream_tbEUlT_E_NS1_11comp_targetILNS1_3genE8ELNS1_11target_archE1030ELNS1_3gpuE2ELNS1_3repE0EEENS1_30default_config_static_selectorELNS0_4arch9wavefront6targetE0EEEvSR_,comdat
	.globl	_ZN7rocprim17ROCPRIM_400000_NS6detail17trampoline_kernelINS0_14default_configENS1_32segmented_reduce_config_selectorIN3c108BFloat16EEEZNS1_21segmented_reduce_implIS3_PKS6_PS6_PKiS6_N6hipcub16HIPCUB_304000_NS6detail27convert_result_type_wrapperISA_SB_N2at6native12_GLOBAL__N_19CustomMinEEEEE10hipError_tPvRmT0_T1_jT2_SS_T4_T3_P12ihipStream_tbEUlT_E_NS1_11comp_targetILNS1_3genE8ELNS1_11target_archE1030ELNS1_3gpuE2ELNS1_3repE0EEENS1_30default_config_static_selectorELNS0_4arch9wavefront6targetE0EEEvSR_ ; -- Begin function _ZN7rocprim17ROCPRIM_400000_NS6detail17trampoline_kernelINS0_14default_configENS1_32segmented_reduce_config_selectorIN3c108BFloat16EEEZNS1_21segmented_reduce_implIS3_PKS6_PS6_PKiS6_N6hipcub16HIPCUB_304000_NS6detail27convert_result_type_wrapperISA_SB_N2at6native12_GLOBAL__N_19CustomMinEEEEE10hipError_tPvRmT0_T1_jT2_SS_T4_T3_P12ihipStream_tbEUlT_E_NS1_11comp_targetILNS1_3genE8ELNS1_11target_archE1030ELNS1_3gpuE2ELNS1_3repE0EEENS1_30default_config_static_selectorELNS0_4arch9wavefront6targetE0EEEvSR_
	.p2align	8
	.type	_ZN7rocprim17ROCPRIM_400000_NS6detail17trampoline_kernelINS0_14default_configENS1_32segmented_reduce_config_selectorIN3c108BFloat16EEEZNS1_21segmented_reduce_implIS3_PKS6_PS6_PKiS6_N6hipcub16HIPCUB_304000_NS6detail27convert_result_type_wrapperISA_SB_N2at6native12_GLOBAL__N_19CustomMinEEEEE10hipError_tPvRmT0_T1_jT2_SS_T4_T3_P12ihipStream_tbEUlT_E_NS1_11comp_targetILNS1_3genE8ELNS1_11target_archE1030ELNS1_3gpuE2ELNS1_3repE0EEENS1_30default_config_static_selectorELNS0_4arch9wavefront6targetE0EEEvSR_,@function
_ZN7rocprim17ROCPRIM_400000_NS6detail17trampoline_kernelINS0_14default_configENS1_32segmented_reduce_config_selectorIN3c108BFloat16EEEZNS1_21segmented_reduce_implIS3_PKS6_PS6_PKiS6_N6hipcub16HIPCUB_304000_NS6detail27convert_result_type_wrapperISA_SB_N2at6native12_GLOBAL__N_19CustomMinEEEEE10hipError_tPvRmT0_T1_jT2_SS_T4_T3_P12ihipStream_tbEUlT_E_NS1_11comp_targetILNS1_3genE8ELNS1_11target_archE1030ELNS1_3gpuE2ELNS1_3repE0EEENS1_30default_config_static_selectorELNS0_4arch9wavefront6targetE0EEEvSR_: ; @_ZN7rocprim17ROCPRIM_400000_NS6detail17trampoline_kernelINS0_14default_configENS1_32segmented_reduce_config_selectorIN3c108BFloat16EEEZNS1_21segmented_reduce_implIS3_PKS6_PS6_PKiS6_N6hipcub16HIPCUB_304000_NS6detail27convert_result_type_wrapperISA_SB_N2at6native12_GLOBAL__N_19CustomMinEEEEE10hipError_tPvRmT0_T1_jT2_SS_T4_T3_P12ihipStream_tbEUlT_E_NS1_11comp_targetILNS1_3genE8ELNS1_11target_archE1030ELNS1_3gpuE2ELNS1_3repE0EEENS1_30default_config_static_selectorELNS0_4arch9wavefront6targetE0EEEvSR_
; %bb.0:
	.section	.rodata,"a",@progbits
	.p2align	6, 0x0
	.amdhsa_kernel _ZN7rocprim17ROCPRIM_400000_NS6detail17trampoline_kernelINS0_14default_configENS1_32segmented_reduce_config_selectorIN3c108BFloat16EEEZNS1_21segmented_reduce_implIS3_PKS6_PS6_PKiS6_N6hipcub16HIPCUB_304000_NS6detail27convert_result_type_wrapperISA_SB_N2at6native12_GLOBAL__N_19CustomMinEEEEE10hipError_tPvRmT0_T1_jT2_SS_T4_T3_P12ihipStream_tbEUlT_E_NS1_11comp_targetILNS1_3genE8ELNS1_11target_archE1030ELNS1_3gpuE2ELNS1_3repE0EEENS1_30default_config_static_selectorELNS0_4arch9wavefront6targetE0EEEvSR_
		.amdhsa_group_segment_fixed_size 0
		.amdhsa_private_segment_fixed_size 0
		.amdhsa_kernarg_size 48
		.amdhsa_user_sgpr_count 15
		.amdhsa_user_sgpr_dispatch_ptr 0
		.amdhsa_user_sgpr_queue_ptr 0
		.amdhsa_user_sgpr_kernarg_segment_ptr 1
		.amdhsa_user_sgpr_dispatch_id 0
		.amdhsa_user_sgpr_private_segment_size 0
		.amdhsa_wavefront_size32 1
		.amdhsa_uses_dynamic_stack 0
		.amdhsa_enable_private_segment 0
		.amdhsa_system_sgpr_workgroup_id_x 1
		.amdhsa_system_sgpr_workgroup_id_y 0
		.amdhsa_system_sgpr_workgroup_id_z 0
		.amdhsa_system_sgpr_workgroup_info 0
		.amdhsa_system_vgpr_workitem_id 0
		.amdhsa_next_free_vgpr 1
		.amdhsa_next_free_sgpr 1
		.amdhsa_reserve_vcc 0
		.amdhsa_float_round_mode_32 0
		.amdhsa_float_round_mode_16_64 0
		.amdhsa_float_denorm_mode_32 3
		.amdhsa_float_denorm_mode_16_64 3
		.amdhsa_dx10_clamp 1
		.amdhsa_ieee_mode 1
		.amdhsa_fp16_overflow 0
		.amdhsa_workgroup_processor_mode 1
		.amdhsa_memory_ordered 1
		.amdhsa_forward_progress 0
		.amdhsa_shared_vgpr_count 0
		.amdhsa_exception_fp_ieee_invalid_op 0
		.amdhsa_exception_fp_denorm_src 0
		.amdhsa_exception_fp_ieee_div_zero 0
		.amdhsa_exception_fp_ieee_overflow 0
		.amdhsa_exception_fp_ieee_underflow 0
		.amdhsa_exception_fp_ieee_inexact 0
		.amdhsa_exception_int_div_zero 0
	.end_amdhsa_kernel
	.section	.text._ZN7rocprim17ROCPRIM_400000_NS6detail17trampoline_kernelINS0_14default_configENS1_32segmented_reduce_config_selectorIN3c108BFloat16EEEZNS1_21segmented_reduce_implIS3_PKS6_PS6_PKiS6_N6hipcub16HIPCUB_304000_NS6detail27convert_result_type_wrapperISA_SB_N2at6native12_GLOBAL__N_19CustomMinEEEEE10hipError_tPvRmT0_T1_jT2_SS_T4_T3_P12ihipStream_tbEUlT_E_NS1_11comp_targetILNS1_3genE8ELNS1_11target_archE1030ELNS1_3gpuE2ELNS1_3repE0EEENS1_30default_config_static_selectorELNS0_4arch9wavefront6targetE0EEEvSR_,"axG",@progbits,_ZN7rocprim17ROCPRIM_400000_NS6detail17trampoline_kernelINS0_14default_configENS1_32segmented_reduce_config_selectorIN3c108BFloat16EEEZNS1_21segmented_reduce_implIS3_PKS6_PS6_PKiS6_N6hipcub16HIPCUB_304000_NS6detail27convert_result_type_wrapperISA_SB_N2at6native12_GLOBAL__N_19CustomMinEEEEE10hipError_tPvRmT0_T1_jT2_SS_T4_T3_P12ihipStream_tbEUlT_E_NS1_11comp_targetILNS1_3genE8ELNS1_11target_archE1030ELNS1_3gpuE2ELNS1_3repE0EEENS1_30default_config_static_selectorELNS0_4arch9wavefront6targetE0EEEvSR_,comdat
.Lfunc_end135:
	.size	_ZN7rocprim17ROCPRIM_400000_NS6detail17trampoline_kernelINS0_14default_configENS1_32segmented_reduce_config_selectorIN3c108BFloat16EEEZNS1_21segmented_reduce_implIS3_PKS6_PS6_PKiS6_N6hipcub16HIPCUB_304000_NS6detail27convert_result_type_wrapperISA_SB_N2at6native12_GLOBAL__N_19CustomMinEEEEE10hipError_tPvRmT0_T1_jT2_SS_T4_T3_P12ihipStream_tbEUlT_E_NS1_11comp_targetILNS1_3genE8ELNS1_11target_archE1030ELNS1_3gpuE2ELNS1_3repE0EEENS1_30default_config_static_selectorELNS0_4arch9wavefront6targetE0EEEvSR_, .Lfunc_end135-_ZN7rocprim17ROCPRIM_400000_NS6detail17trampoline_kernelINS0_14default_configENS1_32segmented_reduce_config_selectorIN3c108BFloat16EEEZNS1_21segmented_reduce_implIS3_PKS6_PS6_PKiS6_N6hipcub16HIPCUB_304000_NS6detail27convert_result_type_wrapperISA_SB_N2at6native12_GLOBAL__N_19CustomMinEEEEE10hipError_tPvRmT0_T1_jT2_SS_T4_T3_P12ihipStream_tbEUlT_E_NS1_11comp_targetILNS1_3genE8ELNS1_11target_archE1030ELNS1_3gpuE2ELNS1_3repE0EEENS1_30default_config_static_selectorELNS0_4arch9wavefront6targetE0EEEvSR_
                                        ; -- End function
	.section	.AMDGPU.csdata,"",@progbits
; Kernel info:
; codeLenInByte = 0
; NumSgprs: 0
; NumVgprs: 0
; ScratchSize: 0
; MemoryBound: 0
; FloatMode: 240
; IeeeMode: 1
; LDSByteSize: 0 bytes/workgroup (compile time only)
; SGPRBlocks: 0
; VGPRBlocks: 0
; NumSGPRsForWavesPerEU: 1
; NumVGPRsForWavesPerEU: 1
; Occupancy: 16
; WaveLimiterHint : 0
; COMPUTE_PGM_RSRC2:SCRATCH_EN: 0
; COMPUTE_PGM_RSRC2:USER_SGPR: 15
; COMPUTE_PGM_RSRC2:TRAP_HANDLER: 0
; COMPUTE_PGM_RSRC2:TGID_X_EN: 1
; COMPUTE_PGM_RSRC2:TGID_Y_EN: 0
; COMPUTE_PGM_RSRC2:TGID_Z_EN: 0
; COMPUTE_PGM_RSRC2:TIDIG_COMP_CNT: 0
	.section	.text._ZN7rocprim17ROCPRIM_400000_NS6detail17trampoline_kernelINS0_14default_configENS1_32segmented_reduce_config_selectorIN3c108BFloat16EEEZNS1_21segmented_reduce_implIS3_PKS6_PS6_PKiS6_N6hipcub16HIPCUB_304000_NS6detail27convert_result_type_wrapperISA_SB_N2at6native12_GLOBAL__N_110CustomProdEEEEE10hipError_tPvRmT0_T1_jT2_SS_T4_T3_P12ihipStream_tbEUlT_E_NS1_11comp_targetILNS1_3genE0ELNS1_11target_archE4294967295ELNS1_3gpuE0ELNS1_3repE0EEENS1_30default_config_static_selectorELNS0_4arch9wavefront6targetE0EEEvSR_,"axG",@progbits,_ZN7rocprim17ROCPRIM_400000_NS6detail17trampoline_kernelINS0_14default_configENS1_32segmented_reduce_config_selectorIN3c108BFloat16EEEZNS1_21segmented_reduce_implIS3_PKS6_PS6_PKiS6_N6hipcub16HIPCUB_304000_NS6detail27convert_result_type_wrapperISA_SB_N2at6native12_GLOBAL__N_110CustomProdEEEEE10hipError_tPvRmT0_T1_jT2_SS_T4_T3_P12ihipStream_tbEUlT_E_NS1_11comp_targetILNS1_3genE0ELNS1_11target_archE4294967295ELNS1_3gpuE0ELNS1_3repE0EEENS1_30default_config_static_selectorELNS0_4arch9wavefront6targetE0EEEvSR_,comdat
	.globl	_ZN7rocprim17ROCPRIM_400000_NS6detail17trampoline_kernelINS0_14default_configENS1_32segmented_reduce_config_selectorIN3c108BFloat16EEEZNS1_21segmented_reduce_implIS3_PKS6_PS6_PKiS6_N6hipcub16HIPCUB_304000_NS6detail27convert_result_type_wrapperISA_SB_N2at6native12_GLOBAL__N_110CustomProdEEEEE10hipError_tPvRmT0_T1_jT2_SS_T4_T3_P12ihipStream_tbEUlT_E_NS1_11comp_targetILNS1_3genE0ELNS1_11target_archE4294967295ELNS1_3gpuE0ELNS1_3repE0EEENS1_30default_config_static_selectorELNS0_4arch9wavefront6targetE0EEEvSR_ ; -- Begin function _ZN7rocprim17ROCPRIM_400000_NS6detail17trampoline_kernelINS0_14default_configENS1_32segmented_reduce_config_selectorIN3c108BFloat16EEEZNS1_21segmented_reduce_implIS3_PKS6_PS6_PKiS6_N6hipcub16HIPCUB_304000_NS6detail27convert_result_type_wrapperISA_SB_N2at6native12_GLOBAL__N_110CustomProdEEEEE10hipError_tPvRmT0_T1_jT2_SS_T4_T3_P12ihipStream_tbEUlT_E_NS1_11comp_targetILNS1_3genE0ELNS1_11target_archE4294967295ELNS1_3gpuE0ELNS1_3repE0EEENS1_30default_config_static_selectorELNS0_4arch9wavefront6targetE0EEEvSR_
	.p2align	8
	.type	_ZN7rocprim17ROCPRIM_400000_NS6detail17trampoline_kernelINS0_14default_configENS1_32segmented_reduce_config_selectorIN3c108BFloat16EEEZNS1_21segmented_reduce_implIS3_PKS6_PS6_PKiS6_N6hipcub16HIPCUB_304000_NS6detail27convert_result_type_wrapperISA_SB_N2at6native12_GLOBAL__N_110CustomProdEEEEE10hipError_tPvRmT0_T1_jT2_SS_T4_T3_P12ihipStream_tbEUlT_E_NS1_11comp_targetILNS1_3genE0ELNS1_11target_archE4294967295ELNS1_3gpuE0ELNS1_3repE0EEENS1_30default_config_static_selectorELNS0_4arch9wavefront6targetE0EEEvSR_,@function
_ZN7rocprim17ROCPRIM_400000_NS6detail17trampoline_kernelINS0_14default_configENS1_32segmented_reduce_config_selectorIN3c108BFloat16EEEZNS1_21segmented_reduce_implIS3_PKS6_PS6_PKiS6_N6hipcub16HIPCUB_304000_NS6detail27convert_result_type_wrapperISA_SB_N2at6native12_GLOBAL__N_110CustomProdEEEEE10hipError_tPvRmT0_T1_jT2_SS_T4_T3_P12ihipStream_tbEUlT_E_NS1_11comp_targetILNS1_3genE0ELNS1_11target_archE4294967295ELNS1_3gpuE0ELNS1_3repE0EEENS1_30default_config_static_selectorELNS0_4arch9wavefront6targetE0EEEvSR_: ; @_ZN7rocprim17ROCPRIM_400000_NS6detail17trampoline_kernelINS0_14default_configENS1_32segmented_reduce_config_selectorIN3c108BFloat16EEEZNS1_21segmented_reduce_implIS3_PKS6_PS6_PKiS6_N6hipcub16HIPCUB_304000_NS6detail27convert_result_type_wrapperISA_SB_N2at6native12_GLOBAL__N_110CustomProdEEEEE10hipError_tPvRmT0_T1_jT2_SS_T4_T3_P12ihipStream_tbEUlT_E_NS1_11comp_targetILNS1_3genE0ELNS1_11target_archE4294967295ELNS1_3gpuE0ELNS1_3repE0EEENS1_30default_config_static_selectorELNS0_4arch9wavefront6targetE0EEEvSR_
; %bb.0:
	.section	.rodata,"a",@progbits
	.p2align	6, 0x0
	.amdhsa_kernel _ZN7rocprim17ROCPRIM_400000_NS6detail17trampoline_kernelINS0_14default_configENS1_32segmented_reduce_config_selectorIN3c108BFloat16EEEZNS1_21segmented_reduce_implIS3_PKS6_PS6_PKiS6_N6hipcub16HIPCUB_304000_NS6detail27convert_result_type_wrapperISA_SB_N2at6native12_GLOBAL__N_110CustomProdEEEEE10hipError_tPvRmT0_T1_jT2_SS_T4_T3_P12ihipStream_tbEUlT_E_NS1_11comp_targetILNS1_3genE0ELNS1_11target_archE4294967295ELNS1_3gpuE0ELNS1_3repE0EEENS1_30default_config_static_selectorELNS0_4arch9wavefront6targetE0EEEvSR_
		.amdhsa_group_segment_fixed_size 0
		.amdhsa_private_segment_fixed_size 0
		.amdhsa_kernarg_size 48
		.amdhsa_user_sgpr_count 15
		.amdhsa_user_sgpr_dispatch_ptr 0
		.amdhsa_user_sgpr_queue_ptr 0
		.amdhsa_user_sgpr_kernarg_segment_ptr 1
		.amdhsa_user_sgpr_dispatch_id 0
		.amdhsa_user_sgpr_private_segment_size 0
		.amdhsa_wavefront_size32 1
		.amdhsa_uses_dynamic_stack 0
		.amdhsa_enable_private_segment 0
		.amdhsa_system_sgpr_workgroup_id_x 1
		.amdhsa_system_sgpr_workgroup_id_y 0
		.amdhsa_system_sgpr_workgroup_id_z 0
		.amdhsa_system_sgpr_workgroup_info 0
		.amdhsa_system_vgpr_workitem_id 0
		.amdhsa_next_free_vgpr 1
		.amdhsa_next_free_sgpr 1
		.amdhsa_reserve_vcc 0
		.amdhsa_float_round_mode_32 0
		.amdhsa_float_round_mode_16_64 0
		.amdhsa_float_denorm_mode_32 3
		.amdhsa_float_denorm_mode_16_64 3
		.amdhsa_dx10_clamp 1
		.amdhsa_ieee_mode 1
		.amdhsa_fp16_overflow 0
		.amdhsa_workgroup_processor_mode 1
		.amdhsa_memory_ordered 1
		.amdhsa_forward_progress 0
		.amdhsa_shared_vgpr_count 0
		.amdhsa_exception_fp_ieee_invalid_op 0
		.amdhsa_exception_fp_denorm_src 0
		.amdhsa_exception_fp_ieee_div_zero 0
		.amdhsa_exception_fp_ieee_overflow 0
		.amdhsa_exception_fp_ieee_underflow 0
		.amdhsa_exception_fp_ieee_inexact 0
		.amdhsa_exception_int_div_zero 0
	.end_amdhsa_kernel
	.section	.text._ZN7rocprim17ROCPRIM_400000_NS6detail17trampoline_kernelINS0_14default_configENS1_32segmented_reduce_config_selectorIN3c108BFloat16EEEZNS1_21segmented_reduce_implIS3_PKS6_PS6_PKiS6_N6hipcub16HIPCUB_304000_NS6detail27convert_result_type_wrapperISA_SB_N2at6native12_GLOBAL__N_110CustomProdEEEEE10hipError_tPvRmT0_T1_jT2_SS_T4_T3_P12ihipStream_tbEUlT_E_NS1_11comp_targetILNS1_3genE0ELNS1_11target_archE4294967295ELNS1_3gpuE0ELNS1_3repE0EEENS1_30default_config_static_selectorELNS0_4arch9wavefront6targetE0EEEvSR_,"axG",@progbits,_ZN7rocprim17ROCPRIM_400000_NS6detail17trampoline_kernelINS0_14default_configENS1_32segmented_reduce_config_selectorIN3c108BFloat16EEEZNS1_21segmented_reduce_implIS3_PKS6_PS6_PKiS6_N6hipcub16HIPCUB_304000_NS6detail27convert_result_type_wrapperISA_SB_N2at6native12_GLOBAL__N_110CustomProdEEEEE10hipError_tPvRmT0_T1_jT2_SS_T4_T3_P12ihipStream_tbEUlT_E_NS1_11comp_targetILNS1_3genE0ELNS1_11target_archE4294967295ELNS1_3gpuE0ELNS1_3repE0EEENS1_30default_config_static_selectorELNS0_4arch9wavefront6targetE0EEEvSR_,comdat
.Lfunc_end136:
	.size	_ZN7rocprim17ROCPRIM_400000_NS6detail17trampoline_kernelINS0_14default_configENS1_32segmented_reduce_config_selectorIN3c108BFloat16EEEZNS1_21segmented_reduce_implIS3_PKS6_PS6_PKiS6_N6hipcub16HIPCUB_304000_NS6detail27convert_result_type_wrapperISA_SB_N2at6native12_GLOBAL__N_110CustomProdEEEEE10hipError_tPvRmT0_T1_jT2_SS_T4_T3_P12ihipStream_tbEUlT_E_NS1_11comp_targetILNS1_3genE0ELNS1_11target_archE4294967295ELNS1_3gpuE0ELNS1_3repE0EEENS1_30default_config_static_selectorELNS0_4arch9wavefront6targetE0EEEvSR_, .Lfunc_end136-_ZN7rocprim17ROCPRIM_400000_NS6detail17trampoline_kernelINS0_14default_configENS1_32segmented_reduce_config_selectorIN3c108BFloat16EEEZNS1_21segmented_reduce_implIS3_PKS6_PS6_PKiS6_N6hipcub16HIPCUB_304000_NS6detail27convert_result_type_wrapperISA_SB_N2at6native12_GLOBAL__N_110CustomProdEEEEE10hipError_tPvRmT0_T1_jT2_SS_T4_T3_P12ihipStream_tbEUlT_E_NS1_11comp_targetILNS1_3genE0ELNS1_11target_archE4294967295ELNS1_3gpuE0ELNS1_3repE0EEENS1_30default_config_static_selectorELNS0_4arch9wavefront6targetE0EEEvSR_
                                        ; -- End function
	.section	.AMDGPU.csdata,"",@progbits
; Kernel info:
; codeLenInByte = 0
; NumSgprs: 0
; NumVgprs: 0
; ScratchSize: 0
; MemoryBound: 0
; FloatMode: 240
; IeeeMode: 1
; LDSByteSize: 0 bytes/workgroup (compile time only)
; SGPRBlocks: 0
; VGPRBlocks: 0
; NumSGPRsForWavesPerEU: 1
; NumVGPRsForWavesPerEU: 1
; Occupancy: 16
; WaveLimiterHint : 0
; COMPUTE_PGM_RSRC2:SCRATCH_EN: 0
; COMPUTE_PGM_RSRC2:USER_SGPR: 15
; COMPUTE_PGM_RSRC2:TRAP_HANDLER: 0
; COMPUTE_PGM_RSRC2:TGID_X_EN: 1
; COMPUTE_PGM_RSRC2:TGID_Y_EN: 0
; COMPUTE_PGM_RSRC2:TGID_Z_EN: 0
; COMPUTE_PGM_RSRC2:TIDIG_COMP_CNT: 0
	.section	.text._ZN7rocprim17ROCPRIM_400000_NS6detail17trampoline_kernelINS0_14default_configENS1_32segmented_reduce_config_selectorIN3c108BFloat16EEEZNS1_21segmented_reduce_implIS3_PKS6_PS6_PKiS6_N6hipcub16HIPCUB_304000_NS6detail27convert_result_type_wrapperISA_SB_N2at6native12_GLOBAL__N_110CustomProdEEEEE10hipError_tPvRmT0_T1_jT2_SS_T4_T3_P12ihipStream_tbEUlT_E_NS1_11comp_targetILNS1_3genE5ELNS1_11target_archE942ELNS1_3gpuE9ELNS1_3repE0EEENS1_30default_config_static_selectorELNS0_4arch9wavefront6targetE0EEEvSR_,"axG",@progbits,_ZN7rocprim17ROCPRIM_400000_NS6detail17trampoline_kernelINS0_14default_configENS1_32segmented_reduce_config_selectorIN3c108BFloat16EEEZNS1_21segmented_reduce_implIS3_PKS6_PS6_PKiS6_N6hipcub16HIPCUB_304000_NS6detail27convert_result_type_wrapperISA_SB_N2at6native12_GLOBAL__N_110CustomProdEEEEE10hipError_tPvRmT0_T1_jT2_SS_T4_T3_P12ihipStream_tbEUlT_E_NS1_11comp_targetILNS1_3genE5ELNS1_11target_archE942ELNS1_3gpuE9ELNS1_3repE0EEENS1_30default_config_static_selectorELNS0_4arch9wavefront6targetE0EEEvSR_,comdat
	.globl	_ZN7rocprim17ROCPRIM_400000_NS6detail17trampoline_kernelINS0_14default_configENS1_32segmented_reduce_config_selectorIN3c108BFloat16EEEZNS1_21segmented_reduce_implIS3_PKS6_PS6_PKiS6_N6hipcub16HIPCUB_304000_NS6detail27convert_result_type_wrapperISA_SB_N2at6native12_GLOBAL__N_110CustomProdEEEEE10hipError_tPvRmT0_T1_jT2_SS_T4_T3_P12ihipStream_tbEUlT_E_NS1_11comp_targetILNS1_3genE5ELNS1_11target_archE942ELNS1_3gpuE9ELNS1_3repE0EEENS1_30default_config_static_selectorELNS0_4arch9wavefront6targetE0EEEvSR_ ; -- Begin function _ZN7rocprim17ROCPRIM_400000_NS6detail17trampoline_kernelINS0_14default_configENS1_32segmented_reduce_config_selectorIN3c108BFloat16EEEZNS1_21segmented_reduce_implIS3_PKS6_PS6_PKiS6_N6hipcub16HIPCUB_304000_NS6detail27convert_result_type_wrapperISA_SB_N2at6native12_GLOBAL__N_110CustomProdEEEEE10hipError_tPvRmT0_T1_jT2_SS_T4_T3_P12ihipStream_tbEUlT_E_NS1_11comp_targetILNS1_3genE5ELNS1_11target_archE942ELNS1_3gpuE9ELNS1_3repE0EEENS1_30default_config_static_selectorELNS0_4arch9wavefront6targetE0EEEvSR_
	.p2align	8
	.type	_ZN7rocprim17ROCPRIM_400000_NS6detail17trampoline_kernelINS0_14default_configENS1_32segmented_reduce_config_selectorIN3c108BFloat16EEEZNS1_21segmented_reduce_implIS3_PKS6_PS6_PKiS6_N6hipcub16HIPCUB_304000_NS6detail27convert_result_type_wrapperISA_SB_N2at6native12_GLOBAL__N_110CustomProdEEEEE10hipError_tPvRmT0_T1_jT2_SS_T4_T3_P12ihipStream_tbEUlT_E_NS1_11comp_targetILNS1_3genE5ELNS1_11target_archE942ELNS1_3gpuE9ELNS1_3repE0EEENS1_30default_config_static_selectorELNS0_4arch9wavefront6targetE0EEEvSR_,@function
_ZN7rocprim17ROCPRIM_400000_NS6detail17trampoline_kernelINS0_14default_configENS1_32segmented_reduce_config_selectorIN3c108BFloat16EEEZNS1_21segmented_reduce_implIS3_PKS6_PS6_PKiS6_N6hipcub16HIPCUB_304000_NS6detail27convert_result_type_wrapperISA_SB_N2at6native12_GLOBAL__N_110CustomProdEEEEE10hipError_tPvRmT0_T1_jT2_SS_T4_T3_P12ihipStream_tbEUlT_E_NS1_11comp_targetILNS1_3genE5ELNS1_11target_archE942ELNS1_3gpuE9ELNS1_3repE0EEENS1_30default_config_static_selectorELNS0_4arch9wavefront6targetE0EEEvSR_: ; @_ZN7rocprim17ROCPRIM_400000_NS6detail17trampoline_kernelINS0_14default_configENS1_32segmented_reduce_config_selectorIN3c108BFloat16EEEZNS1_21segmented_reduce_implIS3_PKS6_PS6_PKiS6_N6hipcub16HIPCUB_304000_NS6detail27convert_result_type_wrapperISA_SB_N2at6native12_GLOBAL__N_110CustomProdEEEEE10hipError_tPvRmT0_T1_jT2_SS_T4_T3_P12ihipStream_tbEUlT_E_NS1_11comp_targetILNS1_3genE5ELNS1_11target_archE942ELNS1_3gpuE9ELNS1_3repE0EEENS1_30default_config_static_selectorELNS0_4arch9wavefront6targetE0EEEvSR_
; %bb.0:
	.section	.rodata,"a",@progbits
	.p2align	6, 0x0
	.amdhsa_kernel _ZN7rocprim17ROCPRIM_400000_NS6detail17trampoline_kernelINS0_14default_configENS1_32segmented_reduce_config_selectorIN3c108BFloat16EEEZNS1_21segmented_reduce_implIS3_PKS6_PS6_PKiS6_N6hipcub16HIPCUB_304000_NS6detail27convert_result_type_wrapperISA_SB_N2at6native12_GLOBAL__N_110CustomProdEEEEE10hipError_tPvRmT0_T1_jT2_SS_T4_T3_P12ihipStream_tbEUlT_E_NS1_11comp_targetILNS1_3genE5ELNS1_11target_archE942ELNS1_3gpuE9ELNS1_3repE0EEENS1_30default_config_static_selectorELNS0_4arch9wavefront6targetE0EEEvSR_
		.amdhsa_group_segment_fixed_size 0
		.amdhsa_private_segment_fixed_size 0
		.amdhsa_kernarg_size 48
		.amdhsa_user_sgpr_count 15
		.amdhsa_user_sgpr_dispatch_ptr 0
		.amdhsa_user_sgpr_queue_ptr 0
		.amdhsa_user_sgpr_kernarg_segment_ptr 1
		.amdhsa_user_sgpr_dispatch_id 0
		.amdhsa_user_sgpr_private_segment_size 0
		.amdhsa_wavefront_size32 1
		.amdhsa_uses_dynamic_stack 0
		.amdhsa_enable_private_segment 0
		.amdhsa_system_sgpr_workgroup_id_x 1
		.amdhsa_system_sgpr_workgroup_id_y 0
		.amdhsa_system_sgpr_workgroup_id_z 0
		.amdhsa_system_sgpr_workgroup_info 0
		.amdhsa_system_vgpr_workitem_id 0
		.amdhsa_next_free_vgpr 1
		.amdhsa_next_free_sgpr 1
		.amdhsa_reserve_vcc 0
		.amdhsa_float_round_mode_32 0
		.amdhsa_float_round_mode_16_64 0
		.amdhsa_float_denorm_mode_32 3
		.amdhsa_float_denorm_mode_16_64 3
		.amdhsa_dx10_clamp 1
		.amdhsa_ieee_mode 1
		.amdhsa_fp16_overflow 0
		.amdhsa_workgroup_processor_mode 1
		.amdhsa_memory_ordered 1
		.amdhsa_forward_progress 0
		.amdhsa_shared_vgpr_count 0
		.amdhsa_exception_fp_ieee_invalid_op 0
		.amdhsa_exception_fp_denorm_src 0
		.amdhsa_exception_fp_ieee_div_zero 0
		.amdhsa_exception_fp_ieee_overflow 0
		.amdhsa_exception_fp_ieee_underflow 0
		.amdhsa_exception_fp_ieee_inexact 0
		.amdhsa_exception_int_div_zero 0
	.end_amdhsa_kernel
	.section	.text._ZN7rocprim17ROCPRIM_400000_NS6detail17trampoline_kernelINS0_14default_configENS1_32segmented_reduce_config_selectorIN3c108BFloat16EEEZNS1_21segmented_reduce_implIS3_PKS6_PS6_PKiS6_N6hipcub16HIPCUB_304000_NS6detail27convert_result_type_wrapperISA_SB_N2at6native12_GLOBAL__N_110CustomProdEEEEE10hipError_tPvRmT0_T1_jT2_SS_T4_T3_P12ihipStream_tbEUlT_E_NS1_11comp_targetILNS1_3genE5ELNS1_11target_archE942ELNS1_3gpuE9ELNS1_3repE0EEENS1_30default_config_static_selectorELNS0_4arch9wavefront6targetE0EEEvSR_,"axG",@progbits,_ZN7rocprim17ROCPRIM_400000_NS6detail17trampoline_kernelINS0_14default_configENS1_32segmented_reduce_config_selectorIN3c108BFloat16EEEZNS1_21segmented_reduce_implIS3_PKS6_PS6_PKiS6_N6hipcub16HIPCUB_304000_NS6detail27convert_result_type_wrapperISA_SB_N2at6native12_GLOBAL__N_110CustomProdEEEEE10hipError_tPvRmT0_T1_jT2_SS_T4_T3_P12ihipStream_tbEUlT_E_NS1_11comp_targetILNS1_3genE5ELNS1_11target_archE942ELNS1_3gpuE9ELNS1_3repE0EEENS1_30default_config_static_selectorELNS0_4arch9wavefront6targetE0EEEvSR_,comdat
.Lfunc_end137:
	.size	_ZN7rocprim17ROCPRIM_400000_NS6detail17trampoline_kernelINS0_14default_configENS1_32segmented_reduce_config_selectorIN3c108BFloat16EEEZNS1_21segmented_reduce_implIS3_PKS6_PS6_PKiS6_N6hipcub16HIPCUB_304000_NS6detail27convert_result_type_wrapperISA_SB_N2at6native12_GLOBAL__N_110CustomProdEEEEE10hipError_tPvRmT0_T1_jT2_SS_T4_T3_P12ihipStream_tbEUlT_E_NS1_11comp_targetILNS1_3genE5ELNS1_11target_archE942ELNS1_3gpuE9ELNS1_3repE0EEENS1_30default_config_static_selectorELNS0_4arch9wavefront6targetE0EEEvSR_, .Lfunc_end137-_ZN7rocprim17ROCPRIM_400000_NS6detail17trampoline_kernelINS0_14default_configENS1_32segmented_reduce_config_selectorIN3c108BFloat16EEEZNS1_21segmented_reduce_implIS3_PKS6_PS6_PKiS6_N6hipcub16HIPCUB_304000_NS6detail27convert_result_type_wrapperISA_SB_N2at6native12_GLOBAL__N_110CustomProdEEEEE10hipError_tPvRmT0_T1_jT2_SS_T4_T3_P12ihipStream_tbEUlT_E_NS1_11comp_targetILNS1_3genE5ELNS1_11target_archE942ELNS1_3gpuE9ELNS1_3repE0EEENS1_30default_config_static_selectorELNS0_4arch9wavefront6targetE0EEEvSR_
                                        ; -- End function
	.section	.AMDGPU.csdata,"",@progbits
; Kernel info:
; codeLenInByte = 0
; NumSgprs: 0
; NumVgprs: 0
; ScratchSize: 0
; MemoryBound: 0
; FloatMode: 240
; IeeeMode: 1
; LDSByteSize: 0 bytes/workgroup (compile time only)
; SGPRBlocks: 0
; VGPRBlocks: 0
; NumSGPRsForWavesPerEU: 1
; NumVGPRsForWavesPerEU: 1
; Occupancy: 16
; WaveLimiterHint : 0
; COMPUTE_PGM_RSRC2:SCRATCH_EN: 0
; COMPUTE_PGM_RSRC2:USER_SGPR: 15
; COMPUTE_PGM_RSRC2:TRAP_HANDLER: 0
; COMPUTE_PGM_RSRC2:TGID_X_EN: 1
; COMPUTE_PGM_RSRC2:TGID_Y_EN: 0
; COMPUTE_PGM_RSRC2:TGID_Z_EN: 0
; COMPUTE_PGM_RSRC2:TIDIG_COMP_CNT: 0
	.section	.text._ZN7rocprim17ROCPRIM_400000_NS6detail17trampoline_kernelINS0_14default_configENS1_32segmented_reduce_config_selectorIN3c108BFloat16EEEZNS1_21segmented_reduce_implIS3_PKS6_PS6_PKiS6_N6hipcub16HIPCUB_304000_NS6detail27convert_result_type_wrapperISA_SB_N2at6native12_GLOBAL__N_110CustomProdEEEEE10hipError_tPvRmT0_T1_jT2_SS_T4_T3_P12ihipStream_tbEUlT_E_NS1_11comp_targetILNS1_3genE10ELNS1_11target_archE1201ELNS1_3gpuE5ELNS1_3repE0EEENS1_30default_config_static_selectorELNS0_4arch9wavefront6targetE0EEEvSR_,"axG",@progbits,_ZN7rocprim17ROCPRIM_400000_NS6detail17trampoline_kernelINS0_14default_configENS1_32segmented_reduce_config_selectorIN3c108BFloat16EEEZNS1_21segmented_reduce_implIS3_PKS6_PS6_PKiS6_N6hipcub16HIPCUB_304000_NS6detail27convert_result_type_wrapperISA_SB_N2at6native12_GLOBAL__N_110CustomProdEEEEE10hipError_tPvRmT0_T1_jT2_SS_T4_T3_P12ihipStream_tbEUlT_E_NS1_11comp_targetILNS1_3genE10ELNS1_11target_archE1201ELNS1_3gpuE5ELNS1_3repE0EEENS1_30default_config_static_selectorELNS0_4arch9wavefront6targetE0EEEvSR_,comdat
	.globl	_ZN7rocprim17ROCPRIM_400000_NS6detail17trampoline_kernelINS0_14default_configENS1_32segmented_reduce_config_selectorIN3c108BFloat16EEEZNS1_21segmented_reduce_implIS3_PKS6_PS6_PKiS6_N6hipcub16HIPCUB_304000_NS6detail27convert_result_type_wrapperISA_SB_N2at6native12_GLOBAL__N_110CustomProdEEEEE10hipError_tPvRmT0_T1_jT2_SS_T4_T3_P12ihipStream_tbEUlT_E_NS1_11comp_targetILNS1_3genE10ELNS1_11target_archE1201ELNS1_3gpuE5ELNS1_3repE0EEENS1_30default_config_static_selectorELNS0_4arch9wavefront6targetE0EEEvSR_ ; -- Begin function _ZN7rocprim17ROCPRIM_400000_NS6detail17trampoline_kernelINS0_14default_configENS1_32segmented_reduce_config_selectorIN3c108BFloat16EEEZNS1_21segmented_reduce_implIS3_PKS6_PS6_PKiS6_N6hipcub16HIPCUB_304000_NS6detail27convert_result_type_wrapperISA_SB_N2at6native12_GLOBAL__N_110CustomProdEEEEE10hipError_tPvRmT0_T1_jT2_SS_T4_T3_P12ihipStream_tbEUlT_E_NS1_11comp_targetILNS1_3genE10ELNS1_11target_archE1201ELNS1_3gpuE5ELNS1_3repE0EEENS1_30default_config_static_selectorELNS0_4arch9wavefront6targetE0EEEvSR_
	.p2align	8
	.type	_ZN7rocprim17ROCPRIM_400000_NS6detail17trampoline_kernelINS0_14default_configENS1_32segmented_reduce_config_selectorIN3c108BFloat16EEEZNS1_21segmented_reduce_implIS3_PKS6_PS6_PKiS6_N6hipcub16HIPCUB_304000_NS6detail27convert_result_type_wrapperISA_SB_N2at6native12_GLOBAL__N_110CustomProdEEEEE10hipError_tPvRmT0_T1_jT2_SS_T4_T3_P12ihipStream_tbEUlT_E_NS1_11comp_targetILNS1_3genE10ELNS1_11target_archE1201ELNS1_3gpuE5ELNS1_3repE0EEENS1_30default_config_static_selectorELNS0_4arch9wavefront6targetE0EEEvSR_,@function
_ZN7rocprim17ROCPRIM_400000_NS6detail17trampoline_kernelINS0_14default_configENS1_32segmented_reduce_config_selectorIN3c108BFloat16EEEZNS1_21segmented_reduce_implIS3_PKS6_PS6_PKiS6_N6hipcub16HIPCUB_304000_NS6detail27convert_result_type_wrapperISA_SB_N2at6native12_GLOBAL__N_110CustomProdEEEEE10hipError_tPvRmT0_T1_jT2_SS_T4_T3_P12ihipStream_tbEUlT_E_NS1_11comp_targetILNS1_3genE10ELNS1_11target_archE1201ELNS1_3gpuE5ELNS1_3repE0EEENS1_30default_config_static_selectorELNS0_4arch9wavefront6targetE0EEEvSR_: ; @_ZN7rocprim17ROCPRIM_400000_NS6detail17trampoline_kernelINS0_14default_configENS1_32segmented_reduce_config_selectorIN3c108BFloat16EEEZNS1_21segmented_reduce_implIS3_PKS6_PS6_PKiS6_N6hipcub16HIPCUB_304000_NS6detail27convert_result_type_wrapperISA_SB_N2at6native12_GLOBAL__N_110CustomProdEEEEE10hipError_tPvRmT0_T1_jT2_SS_T4_T3_P12ihipStream_tbEUlT_E_NS1_11comp_targetILNS1_3genE10ELNS1_11target_archE1201ELNS1_3gpuE5ELNS1_3repE0EEENS1_30default_config_static_selectorELNS0_4arch9wavefront6targetE0EEEvSR_
; %bb.0:
	.section	.rodata,"a",@progbits
	.p2align	6, 0x0
	.amdhsa_kernel _ZN7rocprim17ROCPRIM_400000_NS6detail17trampoline_kernelINS0_14default_configENS1_32segmented_reduce_config_selectorIN3c108BFloat16EEEZNS1_21segmented_reduce_implIS3_PKS6_PS6_PKiS6_N6hipcub16HIPCUB_304000_NS6detail27convert_result_type_wrapperISA_SB_N2at6native12_GLOBAL__N_110CustomProdEEEEE10hipError_tPvRmT0_T1_jT2_SS_T4_T3_P12ihipStream_tbEUlT_E_NS1_11comp_targetILNS1_3genE10ELNS1_11target_archE1201ELNS1_3gpuE5ELNS1_3repE0EEENS1_30default_config_static_selectorELNS0_4arch9wavefront6targetE0EEEvSR_
		.amdhsa_group_segment_fixed_size 0
		.amdhsa_private_segment_fixed_size 0
		.amdhsa_kernarg_size 48
		.amdhsa_user_sgpr_count 15
		.amdhsa_user_sgpr_dispatch_ptr 0
		.amdhsa_user_sgpr_queue_ptr 0
		.amdhsa_user_sgpr_kernarg_segment_ptr 1
		.amdhsa_user_sgpr_dispatch_id 0
		.amdhsa_user_sgpr_private_segment_size 0
		.amdhsa_wavefront_size32 1
		.amdhsa_uses_dynamic_stack 0
		.amdhsa_enable_private_segment 0
		.amdhsa_system_sgpr_workgroup_id_x 1
		.amdhsa_system_sgpr_workgroup_id_y 0
		.amdhsa_system_sgpr_workgroup_id_z 0
		.amdhsa_system_sgpr_workgroup_info 0
		.amdhsa_system_vgpr_workitem_id 0
		.amdhsa_next_free_vgpr 1
		.amdhsa_next_free_sgpr 1
		.amdhsa_reserve_vcc 0
		.amdhsa_float_round_mode_32 0
		.amdhsa_float_round_mode_16_64 0
		.amdhsa_float_denorm_mode_32 3
		.amdhsa_float_denorm_mode_16_64 3
		.amdhsa_dx10_clamp 1
		.amdhsa_ieee_mode 1
		.amdhsa_fp16_overflow 0
		.amdhsa_workgroup_processor_mode 1
		.amdhsa_memory_ordered 1
		.amdhsa_forward_progress 0
		.amdhsa_shared_vgpr_count 0
		.amdhsa_exception_fp_ieee_invalid_op 0
		.amdhsa_exception_fp_denorm_src 0
		.amdhsa_exception_fp_ieee_div_zero 0
		.amdhsa_exception_fp_ieee_overflow 0
		.amdhsa_exception_fp_ieee_underflow 0
		.amdhsa_exception_fp_ieee_inexact 0
		.amdhsa_exception_int_div_zero 0
	.end_amdhsa_kernel
	.section	.text._ZN7rocprim17ROCPRIM_400000_NS6detail17trampoline_kernelINS0_14default_configENS1_32segmented_reduce_config_selectorIN3c108BFloat16EEEZNS1_21segmented_reduce_implIS3_PKS6_PS6_PKiS6_N6hipcub16HIPCUB_304000_NS6detail27convert_result_type_wrapperISA_SB_N2at6native12_GLOBAL__N_110CustomProdEEEEE10hipError_tPvRmT0_T1_jT2_SS_T4_T3_P12ihipStream_tbEUlT_E_NS1_11comp_targetILNS1_3genE10ELNS1_11target_archE1201ELNS1_3gpuE5ELNS1_3repE0EEENS1_30default_config_static_selectorELNS0_4arch9wavefront6targetE0EEEvSR_,"axG",@progbits,_ZN7rocprim17ROCPRIM_400000_NS6detail17trampoline_kernelINS0_14default_configENS1_32segmented_reduce_config_selectorIN3c108BFloat16EEEZNS1_21segmented_reduce_implIS3_PKS6_PS6_PKiS6_N6hipcub16HIPCUB_304000_NS6detail27convert_result_type_wrapperISA_SB_N2at6native12_GLOBAL__N_110CustomProdEEEEE10hipError_tPvRmT0_T1_jT2_SS_T4_T3_P12ihipStream_tbEUlT_E_NS1_11comp_targetILNS1_3genE10ELNS1_11target_archE1201ELNS1_3gpuE5ELNS1_3repE0EEENS1_30default_config_static_selectorELNS0_4arch9wavefront6targetE0EEEvSR_,comdat
.Lfunc_end138:
	.size	_ZN7rocprim17ROCPRIM_400000_NS6detail17trampoline_kernelINS0_14default_configENS1_32segmented_reduce_config_selectorIN3c108BFloat16EEEZNS1_21segmented_reduce_implIS3_PKS6_PS6_PKiS6_N6hipcub16HIPCUB_304000_NS6detail27convert_result_type_wrapperISA_SB_N2at6native12_GLOBAL__N_110CustomProdEEEEE10hipError_tPvRmT0_T1_jT2_SS_T4_T3_P12ihipStream_tbEUlT_E_NS1_11comp_targetILNS1_3genE10ELNS1_11target_archE1201ELNS1_3gpuE5ELNS1_3repE0EEENS1_30default_config_static_selectorELNS0_4arch9wavefront6targetE0EEEvSR_, .Lfunc_end138-_ZN7rocprim17ROCPRIM_400000_NS6detail17trampoline_kernelINS0_14default_configENS1_32segmented_reduce_config_selectorIN3c108BFloat16EEEZNS1_21segmented_reduce_implIS3_PKS6_PS6_PKiS6_N6hipcub16HIPCUB_304000_NS6detail27convert_result_type_wrapperISA_SB_N2at6native12_GLOBAL__N_110CustomProdEEEEE10hipError_tPvRmT0_T1_jT2_SS_T4_T3_P12ihipStream_tbEUlT_E_NS1_11comp_targetILNS1_3genE10ELNS1_11target_archE1201ELNS1_3gpuE5ELNS1_3repE0EEENS1_30default_config_static_selectorELNS0_4arch9wavefront6targetE0EEEvSR_
                                        ; -- End function
	.section	.AMDGPU.csdata,"",@progbits
; Kernel info:
; codeLenInByte = 0
; NumSgprs: 0
; NumVgprs: 0
; ScratchSize: 0
; MemoryBound: 0
; FloatMode: 240
; IeeeMode: 1
; LDSByteSize: 0 bytes/workgroup (compile time only)
; SGPRBlocks: 0
; VGPRBlocks: 0
; NumSGPRsForWavesPerEU: 1
; NumVGPRsForWavesPerEU: 1
; Occupancy: 16
; WaveLimiterHint : 0
; COMPUTE_PGM_RSRC2:SCRATCH_EN: 0
; COMPUTE_PGM_RSRC2:USER_SGPR: 15
; COMPUTE_PGM_RSRC2:TRAP_HANDLER: 0
; COMPUTE_PGM_RSRC2:TGID_X_EN: 1
; COMPUTE_PGM_RSRC2:TGID_Y_EN: 0
; COMPUTE_PGM_RSRC2:TGID_Z_EN: 0
; COMPUTE_PGM_RSRC2:TIDIG_COMP_CNT: 0
	.section	.text._ZN7rocprim17ROCPRIM_400000_NS6detail17trampoline_kernelINS0_14default_configENS1_32segmented_reduce_config_selectorIN3c108BFloat16EEEZNS1_21segmented_reduce_implIS3_PKS6_PS6_PKiS6_N6hipcub16HIPCUB_304000_NS6detail27convert_result_type_wrapperISA_SB_N2at6native12_GLOBAL__N_110CustomProdEEEEE10hipError_tPvRmT0_T1_jT2_SS_T4_T3_P12ihipStream_tbEUlT_E_NS1_11comp_targetILNS1_3genE4ELNS1_11target_archE910ELNS1_3gpuE8ELNS1_3repE0EEENS1_30default_config_static_selectorELNS0_4arch9wavefront6targetE0EEEvSR_,"axG",@progbits,_ZN7rocprim17ROCPRIM_400000_NS6detail17trampoline_kernelINS0_14default_configENS1_32segmented_reduce_config_selectorIN3c108BFloat16EEEZNS1_21segmented_reduce_implIS3_PKS6_PS6_PKiS6_N6hipcub16HIPCUB_304000_NS6detail27convert_result_type_wrapperISA_SB_N2at6native12_GLOBAL__N_110CustomProdEEEEE10hipError_tPvRmT0_T1_jT2_SS_T4_T3_P12ihipStream_tbEUlT_E_NS1_11comp_targetILNS1_3genE4ELNS1_11target_archE910ELNS1_3gpuE8ELNS1_3repE0EEENS1_30default_config_static_selectorELNS0_4arch9wavefront6targetE0EEEvSR_,comdat
	.globl	_ZN7rocprim17ROCPRIM_400000_NS6detail17trampoline_kernelINS0_14default_configENS1_32segmented_reduce_config_selectorIN3c108BFloat16EEEZNS1_21segmented_reduce_implIS3_PKS6_PS6_PKiS6_N6hipcub16HIPCUB_304000_NS6detail27convert_result_type_wrapperISA_SB_N2at6native12_GLOBAL__N_110CustomProdEEEEE10hipError_tPvRmT0_T1_jT2_SS_T4_T3_P12ihipStream_tbEUlT_E_NS1_11comp_targetILNS1_3genE4ELNS1_11target_archE910ELNS1_3gpuE8ELNS1_3repE0EEENS1_30default_config_static_selectorELNS0_4arch9wavefront6targetE0EEEvSR_ ; -- Begin function _ZN7rocprim17ROCPRIM_400000_NS6detail17trampoline_kernelINS0_14default_configENS1_32segmented_reduce_config_selectorIN3c108BFloat16EEEZNS1_21segmented_reduce_implIS3_PKS6_PS6_PKiS6_N6hipcub16HIPCUB_304000_NS6detail27convert_result_type_wrapperISA_SB_N2at6native12_GLOBAL__N_110CustomProdEEEEE10hipError_tPvRmT0_T1_jT2_SS_T4_T3_P12ihipStream_tbEUlT_E_NS1_11comp_targetILNS1_3genE4ELNS1_11target_archE910ELNS1_3gpuE8ELNS1_3repE0EEENS1_30default_config_static_selectorELNS0_4arch9wavefront6targetE0EEEvSR_
	.p2align	8
	.type	_ZN7rocprim17ROCPRIM_400000_NS6detail17trampoline_kernelINS0_14default_configENS1_32segmented_reduce_config_selectorIN3c108BFloat16EEEZNS1_21segmented_reduce_implIS3_PKS6_PS6_PKiS6_N6hipcub16HIPCUB_304000_NS6detail27convert_result_type_wrapperISA_SB_N2at6native12_GLOBAL__N_110CustomProdEEEEE10hipError_tPvRmT0_T1_jT2_SS_T4_T3_P12ihipStream_tbEUlT_E_NS1_11comp_targetILNS1_3genE4ELNS1_11target_archE910ELNS1_3gpuE8ELNS1_3repE0EEENS1_30default_config_static_selectorELNS0_4arch9wavefront6targetE0EEEvSR_,@function
_ZN7rocprim17ROCPRIM_400000_NS6detail17trampoline_kernelINS0_14default_configENS1_32segmented_reduce_config_selectorIN3c108BFloat16EEEZNS1_21segmented_reduce_implIS3_PKS6_PS6_PKiS6_N6hipcub16HIPCUB_304000_NS6detail27convert_result_type_wrapperISA_SB_N2at6native12_GLOBAL__N_110CustomProdEEEEE10hipError_tPvRmT0_T1_jT2_SS_T4_T3_P12ihipStream_tbEUlT_E_NS1_11comp_targetILNS1_3genE4ELNS1_11target_archE910ELNS1_3gpuE8ELNS1_3repE0EEENS1_30default_config_static_selectorELNS0_4arch9wavefront6targetE0EEEvSR_: ; @_ZN7rocprim17ROCPRIM_400000_NS6detail17trampoline_kernelINS0_14default_configENS1_32segmented_reduce_config_selectorIN3c108BFloat16EEEZNS1_21segmented_reduce_implIS3_PKS6_PS6_PKiS6_N6hipcub16HIPCUB_304000_NS6detail27convert_result_type_wrapperISA_SB_N2at6native12_GLOBAL__N_110CustomProdEEEEE10hipError_tPvRmT0_T1_jT2_SS_T4_T3_P12ihipStream_tbEUlT_E_NS1_11comp_targetILNS1_3genE4ELNS1_11target_archE910ELNS1_3gpuE8ELNS1_3repE0EEENS1_30default_config_static_selectorELNS0_4arch9wavefront6targetE0EEEvSR_
; %bb.0:
	.section	.rodata,"a",@progbits
	.p2align	6, 0x0
	.amdhsa_kernel _ZN7rocprim17ROCPRIM_400000_NS6detail17trampoline_kernelINS0_14default_configENS1_32segmented_reduce_config_selectorIN3c108BFloat16EEEZNS1_21segmented_reduce_implIS3_PKS6_PS6_PKiS6_N6hipcub16HIPCUB_304000_NS6detail27convert_result_type_wrapperISA_SB_N2at6native12_GLOBAL__N_110CustomProdEEEEE10hipError_tPvRmT0_T1_jT2_SS_T4_T3_P12ihipStream_tbEUlT_E_NS1_11comp_targetILNS1_3genE4ELNS1_11target_archE910ELNS1_3gpuE8ELNS1_3repE0EEENS1_30default_config_static_selectorELNS0_4arch9wavefront6targetE0EEEvSR_
		.amdhsa_group_segment_fixed_size 0
		.amdhsa_private_segment_fixed_size 0
		.amdhsa_kernarg_size 48
		.amdhsa_user_sgpr_count 15
		.amdhsa_user_sgpr_dispatch_ptr 0
		.amdhsa_user_sgpr_queue_ptr 0
		.amdhsa_user_sgpr_kernarg_segment_ptr 1
		.amdhsa_user_sgpr_dispatch_id 0
		.amdhsa_user_sgpr_private_segment_size 0
		.amdhsa_wavefront_size32 1
		.amdhsa_uses_dynamic_stack 0
		.amdhsa_enable_private_segment 0
		.amdhsa_system_sgpr_workgroup_id_x 1
		.amdhsa_system_sgpr_workgroup_id_y 0
		.amdhsa_system_sgpr_workgroup_id_z 0
		.amdhsa_system_sgpr_workgroup_info 0
		.amdhsa_system_vgpr_workitem_id 0
		.amdhsa_next_free_vgpr 1
		.amdhsa_next_free_sgpr 1
		.amdhsa_reserve_vcc 0
		.amdhsa_float_round_mode_32 0
		.amdhsa_float_round_mode_16_64 0
		.amdhsa_float_denorm_mode_32 3
		.amdhsa_float_denorm_mode_16_64 3
		.amdhsa_dx10_clamp 1
		.amdhsa_ieee_mode 1
		.amdhsa_fp16_overflow 0
		.amdhsa_workgroup_processor_mode 1
		.amdhsa_memory_ordered 1
		.amdhsa_forward_progress 0
		.amdhsa_shared_vgpr_count 0
		.amdhsa_exception_fp_ieee_invalid_op 0
		.amdhsa_exception_fp_denorm_src 0
		.amdhsa_exception_fp_ieee_div_zero 0
		.amdhsa_exception_fp_ieee_overflow 0
		.amdhsa_exception_fp_ieee_underflow 0
		.amdhsa_exception_fp_ieee_inexact 0
		.amdhsa_exception_int_div_zero 0
	.end_amdhsa_kernel
	.section	.text._ZN7rocprim17ROCPRIM_400000_NS6detail17trampoline_kernelINS0_14default_configENS1_32segmented_reduce_config_selectorIN3c108BFloat16EEEZNS1_21segmented_reduce_implIS3_PKS6_PS6_PKiS6_N6hipcub16HIPCUB_304000_NS6detail27convert_result_type_wrapperISA_SB_N2at6native12_GLOBAL__N_110CustomProdEEEEE10hipError_tPvRmT0_T1_jT2_SS_T4_T3_P12ihipStream_tbEUlT_E_NS1_11comp_targetILNS1_3genE4ELNS1_11target_archE910ELNS1_3gpuE8ELNS1_3repE0EEENS1_30default_config_static_selectorELNS0_4arch9wavefront6targetE0EEEvSR_,"axG",@progbits,_ZN7rocprim17ROCPRIM_400000_NS6detail17trampoline_kernelINS0_14default_configENS1_32segmented_reduce_config_selectorIN3c108BFloat16EEEZNS1_21segmented_reduce_implIS3_PKS6_PS6_PKiS6_N6hipcub16HIPCUB_304000_NS6detail27convert_result_type_wrapperISA_SB_N2at6native12_GLOBAL__N_110CustomProdEEEEE10hipError_tPvRmT0_T1_jT2_SS_T4_T3_P12ihipStream_tbEUlT_E_NS1_11comp_targetILNS1_3genE4ELNS1_11target_archE910ELNS1_3gpuE8ELNS1_3repE0EEENS1_30default_config_static_selectorELNS0_4arch9wavefront6targetE0EEEvSR_,comdat
.Lfunc_end139:
	.size	_ZN7rocprim17ROCPRIM_400000_NS6detail17trampoline_kernelINS0_14default_configENS1_32segmented_reduce_config_selectorIN3c108BFloat16EEEZNS1_21segmented_reduce_implIS3_PKS6_PS6_PKiS6_N6hipcub16HIPCUB_304000_NS6detail27convert_result_type_wrapperISA_SB_N2at6native12_GLOBAL__N_110CustomProdEEEEE10hipError_tPvRmT0_T1_jT2_SS_T4_T3_P12ihipStream_tbEUlT_E_NS1_11comp_targetILNS1_3genE4ELNS1_11target_archE910ELNS1_3gpuE8ELNS1_3repE0EEENS1_30default_config_static_selectorELNS0_4arch9wavefront6targetE0EEEvSR_, .Lfunc_end139-_ZN7rocprim17ROCPRIM_400000_NS6detail17trampoline_kernelINS0_14default_configENS1_32segmented_reduce_config_selectorIN3c108BFloat16EEEZNS1_21segmented_reduce_implIS3_PKS6_PS6_PKiS6_N6hipcub16HIPCUB_304000_NS6detail27convert_result_type_wrapperISA_SB_N2at6native12_GLOBAL__N_110CustomProdEEEEE10hipError_tPvRmT0_T1_jT2_SS_T4_T3_P12ihipStream_tbEUlT_E_NS1_11comp_targetILNS1_3genE4ELNS1_11target_archE910ELNS1_3gpuE8ELNS1_3repE0EEENS1_30default_config_static_selectorELNS0_4arch9wavefront6targetE0EEEvSR_
                                        ; -- End function
	.section	.AMDGPU.csdata,"",@progbits
; Kernel info:
; codeLenInByte = 0
; NumSgprs: 0
; NumVgprs: 0
; ScratchSize: 0
; MemoryBound: 0
; FloatMode: 240
; IeeeMode: 1
; LDSByteSize: 0 bytes/workgroup (compile time only)
; SGPRBlocks: 0
; VGPRBlocks: 0
; NumSGPRsForWavesPerEU: 1
; NumVGPRsForWavesPerEU: 1
; Occupancy: 16
; WaveLimiterHint : 0
; COMPUTE_PGM_RSRC2:SCRATCH_EN: 0
; COMPUTE_PGM_RSRC2:USER_SGPR: 15
; COMPUTE_PGM_RSRC2:TRAP_HANDLER: 0
; COMPUTE_PGM_RSRC2:TGID_X_EN: 1
; COMPUTE_PGM_RSRC2:TGID_Y_EN: 0
; COMPUTE_PGM_RSRC2:TGID_Z_EN: 0
; COMPUTE_PGM_RSRC2:TIDIG_COMP_CNT: 0
	.section	.text._ZN7rocprim17ROCPRIM_400000_NS6detail17trampoline_kernelINS0_14default_configENS1_32segmented_reduce_config_selectorIN3c108BFloat16EEEZNS1_21segmented_reduce_implIS3_PKS6_PS6_PKiS6_N6hipcub16HIPCUB_304000_NS6detail27convert_result_type_wrapperISA_SB_N2at6native12_GLOBAL__N_110CustomProdEEEEE10hipError_tPvRmT0_T1_jT2_SS_T4_T3_P12ihipStream_tbEUlT_E_NS1_11comp_targetILNS1_3genE3ELNS1_11target_archE908ELNS1_3gpuE7ELNS1_3repE0EEENS1_30default_config_static_selectorELNS0_4arch9wavefront6targetE0EEEvSR_,"axG",@progbits,_ZN7rocprim17ROCPRIM_400000_NS6detail17trampoline_kernelINS0_14default_configENS1_32segmented_reduce_config_selectorIN3c108BFloat16EEEZNS1_21segmented_reduce_implIS3_PKS6_PS6_PKiS6_N6hipcub16HIPCUB_304000_NS6detail27convert_result_type_wrapperISA_SB_N2at6native12_GLOBAL__N_110CustomProdEEEEE10hipError_tPvRmT0_T1_jT2_SS_T4_T3_P12ihipStream_tbEUlT_E_NS1_11comp_targetILNS1_3genE3ELNS1_11target_archE908ELNS1_3gpuE7ELNS1_3repE0EEENS1_30default_config_static_selectorELNS0_4arch9wavefront6targetE0EEEvSR_,comdat
	.globl	_ZN7rocprim17ROCPRIM_400000_NS6detail17trampoline_kernelINS0_14default_configENS1_32segmented_reduce_config_selectorIN3c108BFloat16EEEZNS1_21segmented_reduce_implIS3_PKS6_PS6_PKiS6_N6hipcub16HIPCUB_304000_NS6detail27convert_result_type_wrapperISA_SB_N2at6native12_GLOBAL__N_110CustomProdEEEEE10hipError_tPvRmT0_T1_jT2_SS_T4_T3_P12ihipStream_tbEUlT_E_NS1_11comp_targetILNS1_3genE3ELNS1_11target_archE908ELNS1_3gpuE7ELNS1_3repE0EEENS1_30default_config_static_selectorELNS0_4arch9wavefront6targetE0EEEvSR_ ; -- Begin function _ZN7rocprim17ROCPRIM_400000_NS6detail17trampoline_kernelINS0_14default_configENS1_32segmented_reduce_config_selectorIN3c108BFloat16EEEZNS1_21segmented_reduce_implIS3_PKS6_PS6_PKiS6_N6hipcub16HIPCUB_304000_NS6detail27convert_result_type_wrapperISA_SB_N2at6native12_GLOBAL__N_110CustomProdEEEEE10hipError_tPvRmT0_T1_jT2_SS_T4_T3_P12ihipStream_tbEUlT_E_NS1_11comp_targetILNS1_3genE3ELNS1_11target_archE908ELNS1_3gpuE7ELNS1_3repE0EEENS1_30default_config_static_selectorELNS0_4arch9wavefront6targetE0EEEvSR_
	.p2align	8
	.type	_ZN7rocprim17ROCPRIM_400000_NS6detail17trampoline_kernelINS0_14default_configENS1_32segmented_reduce_config_selectorIN3c108BFloat16EEEZNS1_21segmented_reduce_implIS3_PKS6_PS6_PKiS6_N6hipcub16HIPCUB_304000_NS6detail27convert_result_type_wrapperISA_SB_N2at6native12_GLOBAL__N_110CustomProdEEEEE10hipError_tPvRmT0_T1_jT2_SS_T4_T3_P12ihipStream_tbEUlT_E_NS1_11comp_targetILNS1_3genE3ELNS1_11target_archE908ELNS1_3gpuE7ELNS1_3repE0EEENS1_30default_config_static_selectorELNS0_4arch9wavefront6targetE0EEEvSR_,@function
_ZN7rocprim17ROCPRIM_400000_NS6detail17trampoline_kernelINS0_14default_configENS1_32segmented_reduce_config_selectorIN3c108BFloat16EEEZNS1_21segmented_reduce_implIS3_PKS6_PS6_PKiS6_N6hipcub16HIPCUB_304000_NS6detail27convert_result_type_wrapperISA_SB_N2at6native12_GLOBAL__N_110CustomProdEEEEE10hipError_tPvRmT0_T1_jT2_SS_T4_T3_P12ihipStream_tbEUlT_E_NS1_11comp_targetILNS1_3genE3ELNS1_11target_archE908ELNS1_3gpuE7ELNS1_3repE0EEENS1_30default_config_static_selectorELNS0_4arch9wavefront6targetE0EEEvSR_: ; @_ZN7rocprim17ROCPRIM_400000_NS6detail17trampoline_kernelINS0_14default_configENS1_32segmented_reduce_config_selectorIN3c108BFloat16EEEZNS1_21segmented_reduce_implIS3_PKS6_PS6_PKiS6_N6hipcub16HIPCUB_304000_NS6detail27convert_result_type_wrapperISA_SB_N2at6native12_GLOBAL__N_110CustomProdEEEEE10hipError_tPvRmT0_T1_jT2_SS_T4_T3_P12ihipStream_tbEUlT_E_NS1_11comp_targetILNS1_3genE3ELNS1_11target_archE908ELNS1_3gpuE7ELNS1_3repE0EEENS1_30default_config_static_selectorELNS0_4arch9wavefront6targetE0EEEvSR_
; %bb.0:
	.section	.rodata,"a",@progbits
	.p2align	6, 0x0
	.amdhsa_kernel _ZN7rocprim17ROCPRIM_400000_NS6detail17trampoline_kernelINS0_14default_configENS1_32segmented_reduce_config_selectorIN3c108BFloat16EEEZNS1_21segmented_reduce_implIS3_PKS6_PS6_PKiS6_N6hipcub16HIPCUB_304000_NS6detail27convert_result_type_wrapperISA_SB_N2at6native12_GLOBAL__N_110CustomProdEEEEE10hipError_tPvRmT0_T1_jT2_SS_T4_T3_P12ihipStream_tbEUlT_E_NS1_11comp_targetILNS1_3genE3ELNS1_11target_archE908ELNS1_3gpuE7ELNS1_3repE0EEENS1_30default_config_static_selectorELNS0_4arch9wavefront6targetE0EEEvSR_
		.amdhsa_group_segment_fixed_size 0
		.amdhsa_private_segment_fixed_size 0
		.amdhsa_kernarg_size 48
		.amdhsa_user_sgpr_count 15
		.amdhsa_user_sgpr_dispatch_ptr 0
		.amdhsa_user_sgpr_queue_ptr 0
		.amdhsa_user_sgpr_kernarg_segment_ptr 1
		.amdhsa_user_sgpr_dispatch_id 0
		.amdhsa_user_sgpr_private_segment_size 0
		.amdhsa_wavefront_size32 1
		.amdhsa_uses_dynamic_stack 0
		.amdhsa_enable_private_segment 0
		.amdhsa_system_sgpr_workgroup_id_x 1
		.amdhsa_system_sgpr_workgroup_id_y 0
		.amdhsa_system_sgpr_workgroup_id_z 0
		.amdhsa_system_sgpr_workgroup_info 0
		.amdhsa_system_vgpr_workitem_id 0
		.amdhsa_next_free_vgpr 1
		.amdhsa_next_free_sgpr 1
		.amdhsa_reserve_vcc 0
		.amdhsa_float_round_mode_32 0
		.amdhsa_float_round_mode_16_64 0
		.amdhsa_float_denorm_mode_32 3
		.amdhsa_float_denorm_mode_16_64 3
		.amdhsa_dx10_clamp 1
		.amdhsa_ieee_mode 1
		.amdhsa_fp16_overflow 0
		.amdhsa_workgroup_processor_mode 1
		.amdhsa_memory_ordered 1
		.amdhsa_forward_progress 0
		.amdhsa_shared_vgpr_count 0
		.amdhsa_exception_fp_ieee_invalid_op 0
		.amdhsa_exception_fp_denorm_src 0
		.amdhsa_exception_fp_ieee_div_zero 0
		.amdhsa_exception_fp_ieee_overflow 0
		.amdhsa_exception_fp_ieee_underflow 0
		.amdhsa_exception_fp_ieee_inexact 0
		.amdhsa_exception_int_div_zero 0
	.end_amdhsa_kernel
	.section	.text._ZN7rocprim17ROCPRIM_400000_NS6detail17trampoline_kernelINS0_14default_configENS1_32segmented_reduce_config_selectorIN3c108BFloat16EEEZNS1_21segmented_reduce_implIS3_PKS6_PS6_PKiS6_N6hipcub16HIPCUB_304000_NS6detail27convert_result_type_wrapperISA_SB_N2at6native12_GLOBAL__N_110CustomProdEEEEE10hipError_tPvRmT0_T1_jT2_SS_T4_T3_P12ihipStream_tbEUlT_E_NS1_11comp_targetILNS1_3genE3ELNS1_11target_archE908ELNS1_3gpuE7ELNS1_3repE0EEENS1_30default_config_static_selectorELNS0_4arch9wavefront6targetE0EEEvSR_,"axG",@progbits,_ZN7rocprim17ROCPRIM_400000_NS6detail17trampoline_kernelINS0_14default_configENS1_32segmented_reduce_config_selectorIN3c108BFloat16EEEZNS1_21segmented_reduce_implIS3_PKS6_PS6_PKiS6_N6hipcub16HIPCUB_304000_NS6detail27convert_result_type_wrapperISA_SB_N2at6native12_GLOBAL__N_110CustomProdEEEEE10hipError_tPvRmT0_T1_jT2_SS_T4_T3_P12ihipStream_tbEUlT_E_NS1_11comp_targetILNS1_3genE3ELNS1_11target_archE908ELNS1_3gpuE7ELNS1_3repE0EEENS1_30default_config_static_selectorELNS0_4arch9wavefront6targetE0EEEvSR_,comdat
.Lfunc_end140:
	.size	_ZN7rocprim17ROCPRIM_400000_NS6detail17trampoline_kernelINS0_14default_configENS1_32segmented_reduce_config_selectorIN3c108BFloat16EEEZNS1_21segmented_reduce_implIS3_PKS6_PS6_PKiS6_N6hipcub16HIPCUB_304000_NS6detail27convert_result_type_wrapperISA_SB_N2at6native12_GLOBAL__N_110CustomProdEEEEE10hipError_tPvRmT0_T1_jT2_SS_T4_T3_P12ihipStream_tbEUlT_E_NS1_11comp_targetILNS1_3genE3ELNS1_11target_archE908ELNS1_3gpuE7ELNS1_3repE0EEENS1_30default_config_static_selectorELNS0_4arch9wavefront6targetE0EEEvSR_, .Lfunc_end140-_ZN7rocprim17ROCPRIM_400000_NS6detail17trampoline_kernelINS0_14default_configENS1_32segmented_reduce_config_selectorIN3c108BFloat16EEEZNS1_21segmented_reduce_implIS3_PKS6_PS6_PKiS6_N6hipcub16HIPCUB_304000_NS6detail27convert_result_type_wrapperISA_SB_N2at6native12_GLOBAL__N_110CustomProdEEEEE10hipError_tPvRmT0_T1_jT2_SS_T4_T3_P12ihipStream_tbEUlT_E_NS1_11comp_targetILNS1_3genE3ELNS1_11target_archE908ELNS1_3gpuE7ELNS1_3repE0EEENS1_30default_config_static_selectorELNS0_4arch9wavefront6targetE0EEEvSR_
                                        ; -- End function
	.section	.AMDGPU.csdata,"",@progbits
; Kernel info:
; codeLenInByte = 0
; NumSgprs: 0
; NumVgprs: 0
; ScratchSize: 0
; MemoryBound: 0
; FloatMode: 240
; IeeeMode: 1
; LDSByteSize: 0 bytes/workgroup (compile time only)
; SGPRBlocks: 0
; VGPRBlocks: 0
; NumSGPRsForWavesPerEU: 1
; NumVGPRsForWavesPerEU: 1
; Occupancy: 16
; WaveLimiterHint : 0
; COMPUTE_PGM_RSRC2:SCRATCH_EN: 0
; COMPUTE_PGM_RSRC2:USER_SGPR: 15
; COMPUTE_PGM_RSRC2:TRAP_HANDLER: 0
; COMPUTE_PGM_RSRC2:TGID_X_EN: 1
; COMPUTE_PGM_RSRC2:TGID_Y_EN: 0
; COMPUTE_PGM_RSRC2:TGID_Z_EN: 0
; COMPUTE_PGM_RSRC2:TIDIG_COMP_CNT: 0
	.section	.text._ZN7rocprim17ROCPRIM_400000_NS6detail17trampoline_kernelINS0_14default_configENS1_32segmented_reduce_config_selectorIN3c108BFloat16EEEZNS1_21segmented_reduce_implIS3_PKS6_PS6_PKiS6_N6hipcub16HIPCUB_304000_NS6detail27convert_result_type_wrapperISA_SB_N2at6native12_GLOBAL__N_110CustomProdEEEEE10hipError_tPvRmT0_T1_jT2_SS_T4_T3_P12ihipStream_tbEUlT_E_NS1_11comp_targetILNS1_3genE2ELNS1_11target_archE906ELNS1_3gpuE6ELNS1_3repE0EEENS1_30default_config_static_selectorELNS0_4arch9wavefront6targetE0EEEvSR_,"axG",@progbits,_ZN7rocprim17ROCPRIM_400000_NS6detail17trampoline_kernelINS0_14default_configENS1_32segmented_reduce_config_selectorIN3c108BFloat16EEEZNS1_21segmented_reduce_implIS3_PKS6_PS6_PKiS6_N6hipcub16HIPCUB_304000_NS6detail27convert_result_type_wrapperISA_SB_N2at6native12_GLOBAL__N_110CustomProdEEEEE10hipError_tPvRmT0_T1_jT2_SS_T4_T3_P12ihipStream_tbEUlT_E_NS1_11comp_targetILNS1_3genE2ELNS1_11target_archE906ELNS1_3gpuE6ELNS1_3repE0EEENS1_30default_config_static_selectorELNS0_4arch9wavefront6targetE0EEEvSR_,comdat
	.globl	_ZN7rocprim17ROCPRIM_400000_NS6detail17trampoline_kernelINS0_14default_configENS1_32segmented_reduce_config_selectorIN3c108BFloat16EEEZNS1_21segmented_reduce_implIS3_PKS6_PS6_PKiS6_N6hipcub16HIPCUB_304000_NS6detail27convert_result_type_wrapperISA_SB_N2at6native12_GLOBAL__N_110CustomProdEEEEE10hipError_tPvRmT0_T1_jT2_SS_T4_T3_P12ihipStream_tbEUlT_E_NS1_11comp_targetILNS1_3genE2ELNS1_11target_archE906ELNS1_3gpuE6ELNS1_3repE0EEENS1_30default_config_static_selectorELNS0_4arch9wavefront6targetE0EEEvSR_ ; -- Begin function _ZN7rocprim17ROCPRIM_400000_NS6detail17trampoline_kernelINS0_14default_configENS1_32segmented_reduce_config_selectorIN3c108BFloat16EEEZNS1_21segmented_reduce_implIS3_PKS6_PS6_PKiS6_N6hipcub16HIPCUB_304000_NS6detail27convert_result_type_wrapperISA_SB_N2at6native12_GLOBAL__N_110CustomProdEEEEE10hipError_tPvRmT0_T1_jT2_SS_T4_T3_P12ihipStream_tbEUlT_E_NS1_11comp_targetILNS1_3genE2ELNS1_11target_archE906ELNS1_3gpuE6ELNS1_3repE0EEENS1_30default_config_static_selectorELNS0_4arch9wavefront6targetE0EEEvSR_
	.p2align	8
	.type	_ZN7rocprim17ROCPRIM_400000_NS6detail17trampoline_kernelINS0_14default_configENS1_32segmented_reduce_config_selectorIN3c108BFloat16EEEZNS1_21segmented_reduce_implIS3_PKS6_PS6_PKiS6_N6hipcub16HIPCUB_304000_NS6detail27convert_result_type_wrapperISA_SB_N2at6native12_GLOBAL__N_110CustomProdEEEEE10hipError_tPvRmT0_T1_jT2_SS_T4_T3_P12ihipStream_tbEUlT_E_NS1_11comp_targetILNS1_3genE2ELNS1_11target_archE906ELNS1_3gpuE6ELNS1_3repE0EEENS1_30default_config_static_selectorELNS0_4arch9wavefront6targetE0EEEvSR_,@function
_ZN7rocprim17ROCPRIM_400000_NS6detail17trampoline_kernelINS0_14default_configENS1_32segmented_reduce_config_selectorIN3c108BFloat16EEEZNS1_21segmented_reduce_implIS3_PKS6_PS6_PKiS6_N6hipcub16HIPCUB_304000_NS6detail27convert_result_type_wrapperISA_SB_N2at6native12_GLOBAL__N_110CustomProdEEEEE10hipError_tPvRmT0_T1_jT2_SS_T4_T3_P12ihipStream_tbEUlT_E_NS1_11comp_targetILNS1_3genE2ELNS1_11target_archE906ELNS1_3gpuE6ELNS1_3repE0EEENS1_30default_config_static_selectorELNS0_4arch9wavefront6targetE0EEEvSR_: ; @_ZN7rocprim17ROCPRIM_400000_NS6detail17trampoline_kernelINS0_14default_configENS1_32segmented_reduce_config_selectorIN3c108BFloat16EEEZNS1_21segmented_reduce_implIS3_PKS6_PS6_PKiS6_N6hipcub16HIPCUB_304000_NS6detail27convert_result_type_wrapperISA_SB_N2at6native12_GLOBAL__N_110CustomProdEEEEE10hipError_tPvRmT0_T1_jT2_SS_T4_T3_P12ihipStream_tbEUlT_E_NS1_11comp_targetILNS1_3genE2ELNS1_11target_archE906ELNS1_3gpuE6ELNS1_3repE0EEENS1_30default_config_static_selectorELNS0_4arch9wavefront6targetE0EEEvSR_
; %bb.0:
	.section	.rodata,"a",@progbits
	.p2align	6, 0x0
	.amdhsa_kernel _ZN7rocprim17ROCPRIM_400000_NS6detail17trampoline_kernelINS0_14default_configENS1_32segmented_reduce_config_selectorIN3c108BFloat16EEEZNS1_21segmented_reduce_implIS3_PKS6_PS6_PKiS6_N6hipcub16HIPCUB_304000_NS6detail27convert_result_type_wrapperISA_SB_N2at6native12_GLOBAL__N_110CustomProdEEEEE10hipError_tPvRmT0_T1_jT2_SS_T4_T3_P12ihipStream_tbEUlT_E_NS1_11comp_targetILNS1_3genE2ELNS1_11target_archE906ELNS1_3gpuE6ELNS1_3repE0EEENS1_30default_config_static_selectorELNS0_4arch9wavefront6targetE0EEEvSR_
		.amdhsa_group_segment_fixed_size 0
		.amdhsa_private_segment_fixed_size 0
		.amdhsa_kernarg_size 48
		.amdhsa_user_sgpr_count 15
		.amdhsa_user_sgpr_dispatch_ptr 0
		.amdhsa_user_sgpr_queue_ptr 0
		.amdhsa_user_sgpr_kernarg_segment_ptr 1
		.amdhsa_user_sgpr_dispatch_id 0
		.amdhsa_user_sgpr_private_segment_size 0
		.amdhsa_wavefront_size32 1
		.amdhsa_uses_dynamic_stack 0
		.amdhsa_enable_private_segment 0
		.amdhsa_system_sgpr_workgroup_id_x 1
		.amdhsa_system_sgpr_workgroup_id_y 0
		.amdhsa_system_sgpr_workgroup_id_z 0
		.amdhsa_system_sgpr_workgroup_info 0
		.amdhsa_system_vgpr_workitem_id 0
		.amdhsa_next_free_vgpr 1
		.amdhsa_next_free_sgpr 1
		.amdhsa_reserve_vcc 0
		.amdhsa_float_round_mode_32 0
		.amdhsa_float_round_mode_16_64 0
		.amdhsa_float_denorm_mode_32 3
		.amdhsa_float_denorm_mode_16_64 3
		.amdhsa_dx10_clamp 1
		.amdhsa_ieee_mode 1
		.amdhsa_fp16_overflow 0
		.amdhsa_workgroup_processor_mode 1
		.amdhsa_memory_ordered 1
		.amdhsa_forward_progress 0
		.amdhsa_shared_vgpr_count 0
		.amdhsa_exception_fp_ieee_invalid_op 0
		.amdhsa_exception_fp_denorm_src 0
		.amdhsa_exception_fp_ieee_div_zero 0
		.amdhsa_exception_fp_ieee_overflow 0
		.amdhsa_exception_fp_ieee_underflow 0
		.amdhsa_exception_fp_ieee_inexact 0
		.amdhsa_exception_int_div_zero 0
	.end_amdhsa_kernel
	.section	.text._ZN7rocprim17ROCPRIM_400000_NS6detail17trampoline_kernelINS0_14default_configENS1_32segmented_reduce_config_selectorIN3c108BFloat16EEEZNS1_21segmented_reduce_implIS3_PKS6_PS6_PKiS6_N6hipcub16HIPCUB_304000_NS6detail27convert_result_type_wrapperISA_SB_N2at6native12_GLOBAL__N_110CustomProdEEEEE10hipError_tPvRmT0_T1_jT2_SS_T4_T3_P12ihipStream_tbEUlT_E_NS1_11comp_targetILNS1_3genE2ELNS1_11target_archE906ELNS1_3gpuE6ELNS1_3repE0EEENS1_30default_config_static_selectorELNS0_4arch9wavefront6targetE0EEEvSR_,"axG",@progbits,_ZN7rocprim17ROCPRIM_400000_NS6detail17trampoline_kernelINS0_14default_configENS1_32segmented_reduce_config_selectorIN3c108BFloat16EEEZNS1_21segmented_reduce_implIS3_PKS6_PS6_PKiS6_N6hipcub16HIPCUB_304000_NS6detail27convert_result_type_wrapperISA_SB_N2at6native12_GLOBAL__N_110CustomProdEEEEE10hipError_tPvRmT0_T1_jT2_SS_T4_T3_P12ihipStream_tbEUlT_E_NS1_11comp_targetILNS1_3genE2ELNS1_11target_archE906ELNS1_3gpuE6ELNS1_3repE0EEENS1_30default_config_static_selectorELNS0_4arch9wavefront6targetE0EEEvSR_,comdat
.Lfunc_end141:
	.size	_ZN7rocprim17ROCPRIM_400000_NS6detail17trampoline_kernelINS0_14default_configENS1_32segmented_reduce_config_selectorIN3c108BFloat16EEEZNS1_21segmented_reduce_implIS3_PKS6_PS6_PKiS6_N6hipcub16HIPCUB_304000_NS6detail27convert_result_type_wrapperISA_SB_N2at6native12_GLOBAL__N_110CustomProdEEEEE10hipError_tPvRmT0_T1_jT2_SS_T4_T3_P12ihipStream_tbEUlT_E_NS1_11comp_targetILNS1_3genE2ELNS1_11target_archE906ELNS1_3gpuE6ELNS1_3repE0EEENS1_30default_config_static_selectorELNS0_4arch9wavefront6targetE0EEEvSR_, .Lfunc_end141-_ZN7rocprim17ROCPRIM_400000_NS6detail17trampoline_kernelINS0_14default_configENS1_32segmented_reduce_config_selectorIN3c108BFloat16EEEZNS1_21segmented_reduce_implIS3_PKS6_PS6_PKiS6_N6hipcub16HIPCUB_304000_NS6detail27convert_result_type_wrapperISA_SB_N2at6native12_GLOBAL__N_110CustomProdEEEEE10hipError_tPvRmT0_T1_jT2_SS_T4_T3_P12ihipStream_tbEUlT_E_NS1_11comp_targetILNS1_3genE2ELNS1_11target_archE906ELNS1_3gpuE6ELNS1_3repE0EEENS1_30default_config_static_selectorELNS0_4arch9wavefront6targetE0EEEvSR_
                                        ; -- End function
	.section	.AMDGPU.csdata,"",@progbits
; Kernel info:
; codeLenInByte = 0
; NumSgprs: 0
; NumVgprs: 0
; ScratchSize: 0
; MemoryBound: 0
; FloatMode: 240
; IeeeMode: 1
; LDSByteSize: 0 bytes/workgroup (compile time only)
; SGPRBlocks: 0
; VGPRBlocks: 0
; NumSGPRsForWavesPerEU: 1
; NumVGPRsForWavesPerEU: 1
; Occupancy: 16
; WaveLimiterHint : 0
; COMPUTE_PGM_RSRC2:SCRATCH_EN: 0
; COMPUTE_PGM_RSRC2:USER_SGPR: 15
; COMPUTE_PGM_RSRC2:TRAP_HANDLER: 0
; COMPUTE_PGM_RSRC2:TGID_X_EN: 1
; COMPUTE_PGM_RSRC2:TGID_Y_EN: 0
; COMPUTE_PGM_RSRC2:TGID_Z_EN: 0
; COMPUTE_PGM_RSRC2:TIDIG_COMP_CNT: 0
	.section	.text._ZN7rocprim17ROCPRIM_400000_NS6detail17trampoline_kernelINS0_14default_configENS1_32segmented_reduce_config_selectorIN3c108BFloat16EEEZNS1_21segmented_reduce_implIS3_PKS6_PS6_PKiS6_N6hipcub16HIPCUB_304000_NS6detail27convert_result_type_wrapperISA_SB_N2at6native12_GLOBAL__N_110CustomProdEEEEE10hipError_tPvRmT0_T1_jT2_SS_T4_T3_P12ihipStream_tbEUlT_E_NS1_11comp_targetILNS1_3genE9ELNS1_11target_archE1100ELNS1_3gpuE3ELNS1_3repE0EEENS1_30default_config_static_selectorELNS0_4arch9wavefront6targetE0EEEvSR_,"axG",@progbits,_ZN7rocprim17ROCPRIM_400000_NS6detail17trampoline_kernelINS0_14default_configENS1_32segmented_reduce_config_selectorIN3c108BFloat16EEEZNS1_21segmented_reduce_implIS3_PKS6_PS6_PKiS6_N6hipcub16HIPCUB_304000_NS6detail27convert_result_type_wrapperISA_SB_N2at6native12_GLOBAL__N_110CustomProdEEEEE10hipError_tPvRmT0_T1_jT2_SS_T4_T3_P12ihipStream_tbEUlT_E_NS1_11comp_targetILNS1_3genE9ELNS1_11target_archE1100ELNS1_3gpuE3ELNS1_3repE0EEENS1_30default_config_static_selectorELNS0_4arch9wavefront6targetE0EEEvSR_,comdat
	.globl	_ZN7rocprim17ROCPRIM_400000_NS6detail17trampoline_kernelINS0_14default_configENS1_32segmented_reduce_config_selectorIN3c108BFloat16EEEZNS1_21segmented_reduce_implIS3_PKS6_PS6_PKiS6_N6hipcub16HIPCUB_304000_NS6detail27convert_result_type_wrapperISA_SB_N2at6native12_GLOBAL__N_110CustomProdEEEEE10hipError_tPvRmT0_T1_jT2_SS_T4_T3_P12ihipStream_tbEUlT_E_NS1_11comp_targetILNS1_3genE9ELNS1_11target_archE1100ELNS1_3gpuE3ELNS1_3repE0EEENS1_30default_config_static_selectorELNS0_4arch9wavefront6targetE0EEEvSR_ ; -- Begin function _ZN7rocprim17ROCPRIM_400000_NS6detail17trampoline_kernelINS0_14default_configENS1_32segmented_reduce_config_selectorIN3c108BFloat16EEEZNS1_21segmented_reduce_implIS3_PKS6_PS6_PKiS6_N6hipcub16HIPCUB_304000_NS6detail27convert_result_type_wrapperISA_SB_N2at6native12_GLOBAL__N_110CustomProdEEEEE10hipError_tPvRmT0_T1_jT2_SS_T4_T3_P12ihipStream_tbEUlT_E_NS1_11comp_targetILNS1_3genE9ELNS1_11target_archE1100ELNS1_3gpuE3ELNS1_3repE0EEENS1_30default_config_static_selectorELNS0_4arch9wavefront6targetE0EEEvSR_
	.p2align	8
	.type	_ZN7rocprim17ROCPRIM_400000_NS6detail17trampoline_kernelINS0_14default_configENS1_32segmented_reduce_config_selectorIN3c108BFloat16EEEZNS1_21segmented_reduce_implIS3_PKS6_PS6_PKiS6_N6hipcub16HIPCUB_304000_NS6detail27convert_result_type_wrapperISA_SB_N2at6native12_GLOBAL__N_110CustomProdEEEEE10hipError_tPvRmT0_T1_jT2_SS_T4_T3_P12ihipStream_tbEUlT_E_NS1_11comp_targetILNS1_3genE9ELNS1_11target_archE1100ELNS1_3gpuE3ELNS1_3repE0EEENS1_30default_config_static_selectorELNS0_4arch9wavefront6targetE0EEEvSR_,@function
_ZN7rocprim17ROCPRIM_400000_NS6detail17trampoline_kernelINS0_14default_configENS1_32segmented_reduce_config_selectorIN3c108BFloat16EEEZNS1_21segmented_reduce_implIS3_PKS6_PS6_PKiS6_N6hipcub16HIPCUB_304000_NS6detail27convert_result_type_wrapperISA_SB_N2at6native12_GLOBAL__N_110CustomProdEEEEE10hipError_tPvRmT0_T1_jT2_SS_T4_T3_P12ihipStream_tbEUlT_E_NS1_11comp_targetILNS1_3genE9ELNS1_11target_archE1100ELNS1_3gpuE3ELNS1_3repE0EEENS1_30default_config_static_selectorELNS0_4arch9wavefront6targetE0EEEvSR_: ; @_ZN7rocprim17ROCPRIM_400000_NS6detail17trampoline_kernelINS0_14default_configENS1_32segmented_reduce_config_selectorIN3c108BFloat16EEEZNS1_21segmented_reduce_implIS3_PKS6_PS6_PKiS6_N6hipcub16HIPCUB_304000_NS6detail27convert_result_type_wrapperISA_SB_N2at6native12_GLOBAL__N_110CustomProdEEEEE10hipError_tPvRmT0_T1_jT2_SS_T4_T3_P12ihipStream_tbEUlT_E_NS1_11comp_targetILNS1_3genE9ELNS1_11target_archE1100ELNS1_3gpuE3ELNS1_3repE0EEENS1_30default_config_static_selectorELNS0_4arch9wavefront6targetE0EEEvSR_
; %bb.0:
	s_clause 0x2
	s_load_b256 s[16:23], s[0:1], 0x0
	s_load_b32 s4, s[0:1], 0x28
	s_load_b64 s[0:1], s[0:1], 0x20
	s_mov_b32 s24, s15
	s_mov_b32 s25, 0
	v_cmp_eq_u32_e32 vcc_lo, 0, v0
	s_waitcnt lgkmcnt(0)
	s_lshl_b64 s[2:3], s[20:21], 2
	s_lshr_b32 s15, s4, 16
	s_add_u32 s4, s22, s2
	s_addc_u32 s5, s23, s3
	s_add_u32 s6, s0, s2
	s_addc_u32 s7, s1, s3
	s_lshl_b64 s[0:1], s[24:25], 2
	s_delay_alu instid0(SALU_CYCLE_1)
	s_add_u32 s2, s4, s0
	s_addc_u32 s3, s5, s1
	s_add_u32 s0, s6, s0
	s_addc_u32 s1, s7, s1
	s_load_b32 s22, s[2:3], 0x0
	s_load_b32 s29, s[0:1], 0x0
	s_waitcnt lgkmcnt(0)
	s_cmp_gt_i32 s29, s22
	s_cbranch_scc1 .LBB142_3
; %bb.1:
	s_and_b32 s28, vcc_lo, exec_lo
	s_cbranch_execz .LBB142_4
; %bb.2:
	v_mov_b32_e32 v1, s15
	s_and_saveexec_b32 s0, s28
	s_cbranch_execnz .LBB142_115
	s_branch .LBB142_116
.LBB142_3:
	s_mov_b32 s28, s25
.LBB142_4:
	s_add_i32 s0, s22, 0x1000
	s_delay_alu instid0(SALU_CYCLE_1)
	s_cmp_le_i32 s0, s29
	s_cbranch_scc0 .LBB142_61
; %bb.5:
	s_ashr_i32 s23, s22, 31
	v_lshlrev_b32_e32 v18, 1, v0
	s_lshl_b64 s[2:3], s[22:23], 1
	s_delay_alu instid0(SALU_CYCLE_1) | instskip(SKIP_1) | instid1(VALU_DEP_1)
	s_add_u32 s2, s16, s2
	s_addc_u32 s3, s17, s3
	v_add_co_u32 v1, s1, s2, v18
	s_clause 0x7
	global_load_u16 v15, v18, s[2:3] offset:512
	global_load_u16 v16, v18, s[2:3]
	global_load_u16 v14, v18, s[2:3] offset:1024
	global_load_u16 v13, v18, s[2:3] offset:1536
	;; [unrolled: 1-line block ×6, first 2 shown]
	v_add_co_ci_u32_e64 v2, null, s3, 0, s1
	v_add_co_u32 v19, vcc_lo, 0x1000, v1
	s_add_i32 s1, s22, 0x2000
	s_delay_alu instid0(VALU_DEP_2)
	v_add_co_ci_u32_e32 v20, vcc_lo, 0, v2, vcc_lo
	s_cmp_ge_i32 s1, s29
	s_clause 0x6
	global_load_u16 v8, v[19:20], off
	global_load_u16 v7, v[19:20], off offset:512
	global_load_u16 v6, v[19:20], off offset:1024
	;; [unrolled: 1-line block ×6, first 2 shown]
	s_waitcnt vmcnt(13)
	v_lshlrev_b32_e32 v17, 16, v16
	s_waitcnt vmcnt(12)
	v_lshlrev_b32_e32 v21, 16, v14
	v_lshlrev_b32_e32 v2, 16, v15
	s_delay_alu instid0(VALU_DEP_1) | instskip(NEXT) | instid1(VALU_DEP_1)
	v_mul_f32_e32 v2, v17, v2
	v_bfe_u32 v17, v2, 16, 1
	s_delay_alu instid0(VALU_DEP_1) | instskip(NEXT) | instid1(VALU_DEP_1)
	v_add3_u32 v17, v2, v17, 0x7fff
	v_and_b32_e32 v17, 0xffff0000, v17
	v_cmp_o_f32_e32 vcc_lo, v2, v2
	global_load_u16 v2, v[19:20], off offset:3584
	v_cndmask_b32_e32 v17, 0x7fc00000, v17, vcc_lo
	s_delay_alu instid0(VALU_DEP_1) | instskip(NEXT) | instid1(VALU_DEP_1)
	v_mul_f32_e32 v17, v17, v21
	v_bfe_u32 v19, v17, 16, 1
	v_cmp_o_f32_e32 vcc_lo, v17, v17
	s_delay_alu instid0(VALU_DEP_2) | instskip(NEXT) | instid1(VALU_DEP_1)
	v_add3_u32 v19, v17, v19, 0x7fff
	v_and_b32_e32 v19, 0xffff0000, v19
	s_waitcnt vmcnt(12)
	s_delay_alu instid0(VALU_DEP_1) | instskip(NEXT) | instid1(VALU_DEP_1)
	v_dual_cndmask_b32 v17, 0x7fc00000, v19 :: v_dual_lshlrev_b32 v20, 16, v13
	v_mul_f32_e32 v17, v17, v20
	s_delay_alu instid0(VALU_DEP_1) | instskip(SKIP_1) | instid1(VALU_DEP_2)
	v_bfe_u32 v19, v17, 16, 1
	v_cmp_o_f32_e32 vcc_lo, v17, v17
	v_add3_u32 v19, v17, v19, 0x7fff
	s_delay_alu instid0(VALU_DEP_1) | instskip(SKIP_1) | instid1(VALU_DEP_1)
	v_and_b32_e32 v19, 0xffff0000, v19
	s_waitcnt vmcnt(11)
	v_dual_cndmask_b32 v17, 0x7fc00000, v19 :: v_dual_lshlrev_b32 v20, 16, v12
	s_waitcnt vmcnt(10)
	s_delay_alu instid0(VALU_DEP_1) | instskip(NEXT) | instid1(VALU_DEP_1)
	v_dual_mul_f32 v17, v17, v20 :: v_dual_lshlrev_b32 v20, 16, v11
	v_bfe_u32 v19, v17, 16, 1
	v_cmp_o_f32_e32 vcc_lo, v17, v17
	s_delay_alu instid0(VALU_DEP_2) | instskip(NEXT) | instid1(VALU_DEP_1)
	v_add3_u32 v19, v17, v19, 0x7fff
	v_and_b32_e32 v19, 0xffff0000, v19
	s_delay_alu instid0(VALU_DEP_1) | instskip(SKIP_1) | instid1(VALU_DEP_1)
	v_cndmask_b32_e32 v17, 0x7fc00000, v19, vcc_lo
	s_waitcnt vmcnt(9)
	v_dual_mul_f32 v17, v17, v20 :: v_dual_lshlrev_b32 v20, 16, v10
	s_delay_alu instid0(VALU_DEP_1) | instskip(SKIP_1) | instid1(VALU_DEP_2)
	v_bfe_u32 v19, v17, 16, 1
	v_cmp_o_f32_e32 vcc_lo, v17, v17
	v_add3_u32 v19, v17, v19, 0x7fff
	s_delay_alu instid0(VALU_DEP_1) | instskip(NEXT) | instid1(VALU_DEP_1)
	v_and_b32_e32 v19, 0xffff0000, v19
	v_cndmask_b32_e32 v17, 0x7fc00000, v19, vcc_lo
	s_waitcnt vmcnt(8)
	s_delay_alu instid0(VALU_DEP_1) | instskip(NEXT) | instid1(VALU_DEP_1)
	v_dual_mul_f32 v17, v17, v20 :: v_dual_lshlrev_b32 v20, 16, v9
	v_bfe_u32 v19, v17, 16, 1
	v_cmp_o_f32_e32 vcc_lo, v17, v17
	s_delay_alu instid0(VALU_DEP_2) | instskip(NEXT) | instid1(VALU_DEP_1)
	v_add3_u32 v19, v17, v19, 0x7fff
	v_and_b32_e32 v19, 0xffff0000, v19
	s_delay_alu instid0(VALU_DEP_1) | instskip(NEXT) | instid1(VALU_DEP_1)
	v_cndmask_b32_e32 v17, 0x7fc00000, v19, vcc_lo
	v_mul_f32_e32 v17, v17, v20
	s_waitcnt vmcnt(7)
	v_lshlrev_b32_e32 v20, 16, v8
	s_delay_alu instid0(VALU_DEP_2) | instskip(SKIP_1) | instid1(VALU_DEP_2)
	v_bfe_u32 v19, v17, 16, 1
	v_cmp_o_f32_e32 vcc_lo, v17, v17
	v_add3_u32 v19, v17, v19, 0x7fff
	s_delay_alu instid0(VALU_DEP_1) | instskip(NEXT) | instid1(VALU_DEP_1)
	v_and_b32_e32 v19, 0xffff0000, v19
	v_cndmask_b32_e32 v17, 0x7fc00000, v19, vcc_lo
	s_waitcnt vmcnt(6)
	s_delay_alu instid0(VALU_DEP_1) | instskip(NEXT) | instid1(VALU_DEP_1)
	v_dual_mul_f32 v17, v17, v20 :: v_dual_lshlrev_b32 v20, 16, v7
	v_bfe_u32 v19, v17, 16, 1
	v_cmp_o_f32_e32 vcc_lo, v17, v17
	s_delay_alu instid0(VALU_DEP_2) | instskip(NEXT) | instid1(VALU_DEP_1)
	v_add3_u32 v19, v17, v19, 0x7fff
	v_and_b32_e32 v19, 0xffff0000, v19
	s_delay_alu instid0(VALU_DEP_1) | instskip(SKIP_1) | instid1(VALU_DEP_1)
	v_cndmask_b32_e32 v17, 0x7fc00000, v19, vcc_lo
	s_waitcnt vmcnt(5)
	v_dual_mul_f32 v17, v17, v20 :: v_dual_lshlrev_b32 v20, 16, v6
	s_delay_alu instid0(VALU_DEP_1) | instskip(SKIP_1) | instid1(VALU_DEP_2)
	v_bfe_u32 v19, v17, 16, 1
	v_cmp_o_f32_e32 vcc_lo, v17, v17
	v_add3_u32 v19, v17, v19, 0x7fff
	s_delay_alu instid0(VALU_DEP_1) | instskip(NEXT) | instid1(VALU_DEP_1)
	v_and_b32_e32 v19, 0xffff0000, v19
	v_cndmask_b32_e32 v17, 0x7fc00000, v19, vcc_lo
	s_waitcnt vmcnt(4)
	s_delay_alu instid0(VALU_DEP_1) | instskip(NEXT) | instid1(VALU_DEP_1)
	v_dual_mul_f32 v17, v17, v20 :: v_dual_lshlrev_b32 v20, 16, v5
	v_bfe_u32 v19, v17, 16, 1
	v_cmp_o_f32_e32 vcc_lo, v17, v17
	s_delay_alu instid0(VALU_DEP_2) | instskip(NEXT) | instid1(VALU_DEP_1)
	v_add3_u32 v19, v17, v19, 0x7fff
	v_and_b32_e32 v19, 0xffff0000, v19
	s_delay_alu instid0(VALU_DEP_1) | instskip(NEXT) | instid1(VALU_DEP_1)
	v_cndmask_b32_e32 v17, 0x7fc00000, v19, vcc_lo
	v_mul_f32_e32 v17, v17, v20
	s_waitcnt vmcnt(3)
	v_lshlrev_b32_e32 v20, 16, v4
	s_delay_alu instid0(VALU_DEP_2) | instskip(SKIP_1) | instid1(VALU_DEP_2)
	v_bfe_u32 v19, v17, 16, 1
	v_cmp_o_f32_e32 vcc_lo, v17, v17
	v_add3_u32 v19, v17, v19, 0x7fff
	s_delay_alu instid0(VALU_DEP_1) | instskip(NEXT) | instid1(VALU_DEP_1)
	v_and_b32_e32 v19, 0xffff0000, v19
	v_cndmask_b32_e32 v17, 0x7fc00000, v19, vcc_lo
	s_waitcnt vmcnt(2)
	s_delay_alu instid0(VALU_DEP_1) | instskip(NEXT) | instid1(VALU_DEP_1)
	v_dual_mul_f32 v17, v17, v20 :: v_dual_lshlrev_b32 v20, 16, v3
	v_bfe_u32 v19, v17, 16, 1
	v_cmp_o_f32_e32 vcc_lo, v17, v17
	s_delay_alu instid0(VALU_DEP_2) | instskip(NEXT) | instid1(VALU_DEP_1)
	v_add3_u32 v19, v17, v19, 0x7fff
	v_and_b32_e32 v19, 0xffff0000, v19
	s_delay_alu instid0(VALU_DEP_1) | instskip(SKIP_1) | instid1(VALU_DEP_1)
	v_cndmask_b32_e32 v17, 0x7fc00000, v19, vcc_lo
	s_waitcnt vmcnt(1)
	v_dual_mul_f32 v17, v17, v20 :: v_dual_lshlrev_b32 v20, 16, v1
	s_delay_alu instid0(VALU_DEP_1) | instskip(SKIP_1) | instid1(VALU_DEP_2)
	v_bfe_u32 v19, v17, 16, 1
	v_cmp_o_f32_e32 vcc_lo, v17, v17
	v_add3_u32 v19, v17, v19, 0x7fff
	s_delay_alu instid0(VALU_DEP_1) | instskip(NEXT) | instid1(VALU_DEP_1)
	v_and_b32_e32 v19, 0xffff0000, v19
	v_cndmask_b32_e32 v17, 0x7fc00000, v19, vcc_lo
	s_delay_alu instid0(VALU_DEP_1) | instskip(NEXT) | instid1(VALU_DEP_1)
	v_mul_f32_e32 v17, v17, v20
	v_bfe_u32 v19, v17, 16, 1
	v_cmp_o_f32_e32 vcc_lo, v17, v17
	s_delay_alu instid0(VALU_DEP_2) | instskip(SKIP_2) | instid1(VALU_DEP_2)
	v_add3_u32 v19, v17, v19, 0x7fff
	s_waitcnt vmcnt(0)
	v_lshlrev_b32_e32 v20, 16, v2
	v_and_b32_e32 v19, 0xffff0000, v19
	s_delay_alu instid0(VALU_DEP_1) | instskip(NEXT) | instid1(VALU_DEP_1)
	v_cndmask_b32_e32 v17, 0x7fc00000, v19, vcc_lo
	v_mul_f32_e32 v17, v17, v20
	s_delay_alu instid0(VALU_DEP_1) | instskip(SKIP_1) | instid1(VALU_DEP_2)
	v_bfe_u32 v19, v17, 16, 1
	v_cmp_o_f32_e32 vcc_lo, v17, v17
	v_add3_u32 v19, v17, v19, 0x7fff
	s_delay_alu instid0(VALU_DEP_1) | instskip(NEXT) | instid1(VALU_DEP_1)
	v_lshrrev_b32_e32 v19, 16, v19
	v_cndmask_b32_e32 v17, 0x7fc0, v19, vcc_lo
	s_cbranch_scc1 .LBB142_8
; %bb.6:
	v_add_co_u32 v19, s1, s16, v18
	s_delay_alu instid0(VALU_DEP_1)
	v_add_co_ci_u32_e64 v20, null, s17, 0, s1
.LBB142_7:                              ; =>This Inner Loop Header: Depth=1
	s_ashr_i32 s1, s0, 31
	s_delay_alu instid0(SALU_CYCLE_1) | instskip(SKIP_4) | instid1(VALU_DEP_2)
	s_lshl_b64 s[2:3], s[0:1], 1
	s_add_i32 s1, s0, 0x2000
	v_add_co_u32 v1, vcc_lo, v19, s2
	v_add_co_ci_u32_e32 v2, vcc_lo, s3, v20, vcc_lo
	s_addk_i32 s0, 0x1000
	v_add_co_u32 v21, vcc_lo, 0x1000, v1
	s_clause 0x7
	global_load_u16 v16, v[1:2], off
	global_load_u16 v15, v[1:2], off offset:512
	global_load_u16 v14, v[1:2], off offset:1024
	;; [unrolled: 1-line block ×7, first 2 shown]
	v_add_co_ci_u32_e32 v22, vcc_lo, 0, v2, vcc_lo
	v_lshlrev_b32_e32 v1, 16, v17
	s_cmp_lt_i32 s1, s29
	s_clause 0x5
	global_load_u16 v8, v[21:22], off
	global_load_u16 v7, v[21:22], off offset:512
	global_load_u16 v6, v[21:22], off offset:1024
	;; [unrolled: 1-line block ×5, first 2 shown]
	s_waitcnt vmcnt(13)
	v_lshlrev_b32_e32 v2, 16, v16
	s_waitcnt vmcnt(12)
	v_lshlrev_b32_e32 v17, 16, v15
	;; [unrolled: 2-line block ×3, first 2 shown]
	v_mul_f32_e32 v1, v1, v2
	s_delay_alu instid0(VALU_DEP_1) | instskip(SKIP_1) | instid1(VALU_DEP_2)
	v_bfe_u32 v2, v1, 16, 1
	v_cmp_o_f32_e32 vcc_lo, v1, v1
	v_add3_u32 v2, v1, v2, 0x7fff
	global_load_u16 v1, v[21:22], off offset:3072
	v_and_b32_e32 v2, 0xffff0000, v2
	s_delay_alu instid0(VALU_DEP_1) | instskip(NEXT) | instid1(VALU_DEP_1)
	v_cndmask_b32_e32 v2, 0x7fc00000, v2, vcc_lo
	v_mul_f32_e32 v2, v2, v17
	s_delay_alu instid0(VALU_DEP_1) | instskip(SKIP_1) | instid1(VALU_DEP_2)
	v_bfe_u32 v17, v2, 16, 1
	v_cmp_o_f32_e32 vcc_lo, v2, v2
	v_add3_u32 v17, v2, v17, 0x7fff
	global_load_u16 v2, v[21:22], off offset:3584
	s_waitcnt vmcnt(12)
	v_lshlrev_b32_e32 v22, 16, v13
	v_and_b32_e32 v17, 0xffff0000, v17
	s_delay_alu instid0(VALU_DEP_1) | instskip(NEXT) | instid1(VALU_DEP_1)
	v_cndmask_b32_e32 v17, 0x7fc00000, v17, vcc_lo
	v_mul_f32_e32 v17, v17, v23
	s_delay_alu instid0(VALU_DEP_1) | instskip(SKIP_1) | instid1(VALU_DEP_2)
	v_bfe_u32 v21, v17, 16, 1
	v_cmp_o_f32_e32 vcc_lo, v17, v17
	v_add3_u32 v21, v17, v21, 0x7fff
	s_delay_alu instid0(VALU_DEP_1) | instskip(NEXT) | instid1(VALU_DEP_1)
	v_and_b32_e32 v21, 0xffff0000, v21
	v_cndmask_b32_e32 v17, 0x7fc00000, v21, vcc_lo
	s_waitcnt vmcnt(11)
	s_delay_alu instid0(VALU_DEP_1) | instskip(NEXT) | instid1(VALU_DEP_1)
	v_dual_mul_f32 v17, v17, v22 :: v_dual_lshlrev_b32 v22, 16, v12
	v_bfe_u32 v21, v17, 16, 1
	v_cmp_o_f32_e32 vcc_lo, v17, v17
	s_delay_alu instid0(VALU_DEP_2) | instskip(NEXT) | instid1(VALU_DEP_1)
	v_add3_u32 v21, v17, v21, 0x7fff
	v_and_b32_e32 v21, 0xffff0000, v21
	s_delay_alu instid0(VALU_DEP_1) | instskip(SKIP_1) | instid1(VALU_DEP_1)
	v_cndmask_b32_e32 v17, 0x7fc00000, v21, vcc_lo
	s_waitcnt vmcnt(10)
	v_dual_mul_f32 v17, v17, v22 :: v_dual_lshlrev_b32 v22, 16, v11
	s_delay_alu instid0(VALU_DEP_1) | instskip(SKIP_1) | instid1(VALU_DEP_2)
	v_bfe_u32 v21, v17, 16, 1
	v_cmp_o_f32_e32 vcc_lo, v17, v17
	v_add3_u32 v21, v17, v21, 0x7fff
	s_delay_alu instid0(VALU_DEP_1) | instskip(NEXT) | instid1(VALU_DEP_1)
	v_and_b32_e32 v21, 0xffff0000, v21
	v_cndmask_b32_e32 v17, 0x7fc00000, v21, vcc_lo
	s_delay_alu instid0(VALU_DEP_1) | instskip(SKIP_2) | instid1(VALU_DEP_2)
	v_mul_f32_e32 v17, v17, v22
	s_waitcnt vmcnt(9)
	v_lshlrev_b32_e32 v22, 16, v10
	v_bfe_u32 v21, v17, 16, 1
	v_cmp_o_f32_e32 vcc_lo, v17, v17
	s_delay_alu instid0(VALU_DEP_2) | instskip(NEXT) | instid1(VALU_DEP_1)
	v_add3_u32 v21, v17, v21, 0x7fff
	v_and_b32_e32 v21, 0xffff0000, v21
	s_delay_alu instid0(VALU_DEP_1) | instskip(SKIP_1) | instid1(VALU_DEP_1)
	v_cndmask_b32_e32 v17, 0x7fc00000, v21, vcc_lo
	s_waitcnt vmcnt(8)
	v_dual_mul_f32 v17, v17, v22 :: v_dual_lshlrev_b32 v22, 16, v9
	s_delay_alu instid0(VALU_DEP_1) | instskip(SKIP_1) | instid1(VALU_DEP_2)
	v_bfe_u32 v21, v17, 16, 1
	v_cmp_o_f32_e32 vcc_lo, v17, v17
	v_add3_u32 v21, v17, v21, 0x7fff
	s_delay_alu instid0(VALU_DEP_1) | instskip(NEXT) | instid1(VALU_DEP_1)
	v_and_b32_e32 v21, 0xffff0000, v21
	v_cndmask_b32_e32 v17, 0x7fc00000, v21, vcc_lo
	s_waitcnt vmcnt(7)
	s_delay_alu instid0(VALU_DEP_1) | instskip(NEXT) | instid1(VALU_DEP_1)
	v_dual_mul_f32 v17, v17, v22 :: v_dual_lshlrev_b32 v22, 16, v8
	v_bfe_u32 v21, v17, 16, 1
	v_cmp_o_f32_e32 vcc_lo, v17, v17
	s_delay_alu instid0(VALU_DEP_2) | instskip(NEXT) | instid1(VALU_DEP_1)
	v_add3_u32 v21, v17, v21, 0x7fff
	v_and_b32_e32 v21, 0xffff0000, v21
	s_delay_alu instid0(VALU_DEP_1) | instskip(SKIP_1) | instid1(VALU_DEP_1)
	v_cndmask_b32_e32 v17, 0x7fc00000, v21, vcc_lo
	s_waitcnt vmcnt(6)
	v_dual_mul_f32 v17, v17, v22 :: v_dual_lshlrev_b32 v22, 16, v7
	s_delay_alu instid0(VALU_DEP_1) | instskip(SKIP_1) | instid1(VALU_DEP_2)
	v_bfe_u32 v21, v17, 16, 1
	v_cmp_o_f32_e32 vcc_lo, v17, v17
	v_add3_u32 v21, v17, v21, 0x7fff
	s_delay_alu instid0(VALU_DEP_1) | instskip(NEXT) | instid1(VALU_DEP_1)
	v_and_b32_e32 v21, 0xffff0000, v21
	v_cndmask_b32_e32 v17, 0x7fc00000, v21, vcc_lo
	s_delay_alu instid0(VALU_DEP_1) | instskip(SKIP_2) | instid1(VALU_DEP_2)
	v_mul_f32_e32 v17, v17, v22
	s_waitcnt vmcnt(5)
	v_lshlrev_b32_e32 v22, 16, v6
	v_bfe_u32 v21, v17, 16, 1
	v_cmp_o_f32_e32 vcc_lo, v17, v17
	s_delay_alu instid0(VALU_DEP_2) | instskip(NEXT) | instid1(VALU_DEP_1)
	v_add3_u32 v21, v17, v21, 0x7fff
	v_and_b32_e32 v21, 0xffff0000, v21
	s_delay_alu instid0(VALU_DEP_1) | instskip(SKIP_1) | instid1(VALU_DEP_1)
	v_cndmask_b32_e32 v17, 0x7fc00000, v21, vcc_lo
	s_waitcnt vmcnt(4)
	v_dual_mul_f32 v17, v17, v22 :: v_dual_lshlrev_b32 v22, 16, v5
	s_delay_alu instid0(VALU_DEP_1) | instskip(SKIP_1) | instid1(VALU_DEP_2)
	v_bfe_u32 v21, v17, 16, 1
	v_cmp_o_f32_e32 vcc_lo, v17, v17
	v_add3_u32 v21, v17, v21, 0x7fff
	s_delay_alu instid0(VALU_DEP_1) | instskip(NEXT) | instid1(VALU_DEP_1)
	v_and_b32_e32 v21, 0xffff0000, v21
	v_cndmask_b32_e32 v17, 0x7fc00000, v21, vcc_lo
	s_waitcnt vmcnt(3)
	s_delay_alu instid0(VALU_DEP_1) | instskip(NEXT) | instid1(VALU_DEP_1)
	v_dual_mul_f32 v17, v17, v22 :: v_dual_lshlrev_b32 v22, 16, v4
	v_bfe_u32 v21, v17, 16, 1
	v_cmp_o_f32_e32 vcc_lo, v17, v17
	s_delay_alu instid0(VALU_DEP_2) | instskip(NEXT) | instid1(VALU_DEP_1)
	v_add3_u32 v21, v17, v21, 0x7fff
	v_and_b32_e32 v21, 0xffff0000, v21
	s_delay_alu instid0(VALU_DEP_1) | instskip(SKIP_1) | instid1(VALU_DEP_1)
	v_cndmask_b32_e32 v17, 0x7fc00000, v21, vcc_lo
	s_waitcnt vmcnt(2)
	v_dual_mul_f32 v17, v17, v22 :: v_dual_lshlrev_b32 v22, 16, v3
	s_delay_alu instid0(VALU_DEP_1) | instskip(SKIP_1) | instid1(VALU_DEP_2)
	v_bfe_u32 v21, v17, 16, 1
	v_cmp_o_f32_e32 vcc_lo, v17, v17
	v_add3_u32 v21, v17, v21, 0x7fff
	s_delay_alu instid0(VALU_DEP_1) | instskip(NEXT) | instid1(VALU_DEP_1)
	v_and_b32_e32 v21, 0xffff0000, v21
	v_cndmask_b32_e32 v17, 0x7fc00000, v21, vcc_lo
	s_delay_alu instid0(VALU_DEP_1) | instskip(NEXT) | instid1(VALU_DEP_1)
	v_mul_f32_e32 v17, v17, v22
	v_bfe_u32 v21, v17, 16, 1
	s_waitcnt vmcnt(1)
	v_lshlrev_b32_e32 v22, 16, v1
	v_cmp_o_f32_e32 vcc_lo, v17, v17
	s_delay_alu instid0(VALU_DEP_3) | instskip(NEXT) | instid1(VALU_DEP_1)
	v_add3_u32 v21, v17, v21, 0x7fff
	v_and_b32_e32 v21, 0xffff0000, v21
	s_delay_alu instid0(VALU_DEP_1) | instskip(NEXT) | instid1(VALU_DEP_1)
	v_cndmask_b32_e32 v17, 0x7fc00000, v21, vcc_lo
	v_mul_f32_e32 v17, v17, v22
	s_delay_alu instid0(VALU_DEP_1) | instskip(SKIP_3) | instid1(VALU_DEP_3)
	v_bfe_u32 v21, v17, 16, 1
	v_cmp_o_f32_e32 vcc_lo, v17, v17
	s_waitcnt vmcnt(0)
	v_lshlrev_b32_e32 v22, 16, v2
	v_add3_u32 v21, v17, v21, 0x7fff
	s_delay_alu instid0(VALU_DEP_1) | instskip(NEXT) | instid1(VALU_DEP_1)
	v_and_b32_e32 v21, 0xffff0000, v21
	v_cndmask_b32_e32 v17, 0x7fc00000, v21, vcc_lo
	s_delay_alu instid0(VALU_DEP_1) | instskip(NEXT) | instid1(VALU_DEP_1)
	v_mul_f32_e32 v17, v17, v22
	v_bfe_u32 v21, v17, 16, 1
	v_cmp_o_f32_e32 vcc_lo, v17, v17
	s_delay_alu instid0(VALU_DEP_2) | instskip(NEXT) | instid1(VALU_DEP_1)
	v_add3_u32 v21, v17, v21, 0x7fff
	v_lshrrev_b32_e32 v21, 16, v21
	s_delay_alu instid0(VALU_DEP_1)
	v_cndmask_b32_e32 v17, 0x7fc0, v21, vcc_lo
	s_cbranch_scc1 .LBB142_7
.LBB142_8:
	s_ashr_i32 s1, s0, 31
	s_sub_i32 s23, s29, s0
	s_lshl_b64 s[0:1], s[0:1], 1
	v_cmp_gt_u32_e64 s14, s23, v0
	s_add_u32 s26, s16, s0
	s_addc_u32 s27, s17, s1
	s_delay_alu instid0(VALU_DEP_1)
	s_and_saveexec_b32 s0, s14
	s_cbranch_execz .LBB142_10
; %bb.9:
	global_load_u16 v16, v18, s[26:27]
.LBB142_10:
	s_or_b32 exec_lo, exec_lo, s0
	v_or_b32_e32 v19, 0x100, v0
	s_delay_alu instid0(VALU_DEP_1) | instskip(NEXT) | instid1(VALU_DEP_1)
	v_cmp_gt_u32_e64 s13, s23, v19
	s_and_saveexec_b32 s0, s13
	s_cbranch_execz .LBB142_12
; %bb.11:
	global_load_u16 v15, v18, s[26:27] offset:512
.LBB142_12:
	s_or_b32 exec_lo, exec_lo, s0
	v_or_b32_e32 v19, 0x200, v0
	s_delay_alu instid0(VALU_DEP_1) | instskip(NEXT) | instid1(VALU_DEP_1)
	v_cmp_gt_u32_e64 s12, s23, v19
	s_and_saveexec_b32 s0, s12
	s_cbranch_execz .LBB142_14
; %bb.13:
	global_load_u16 v14, v18, s[26:27] offset:1024
.LBB142_14:
	s_or_b32 exec_lo, exec_lo, s0
	v_or_b32_e32 v19, 0x300, v0
	s_delay_alu instid0(VALU_DEP_1) | instskip(NEXT) | instid1(VALU_DEP_1)
	v_cmp_gt_u32_e64 s11, s23, v19
	s_and_saveexec_b32 s0, s11
	s_cbranch_execz .LBB142_16
; %bb.15:
	global_load_u16 v13, v18, s[26:27] offset:1536
.LBB142_16:
	s_or_b32 exec_lo, exec_lo, s0
	v_or_b32_e32 v19, 0x400, v0
	s_delay_alu instid0(VALU_DEP_1) | instskip(NEXT) | instid1(VALU_DEP_1)
	v_cmp_gt_u32_e64 s10, s23, v19
	s_and_saveexec_b32 s0, s10
	s_cbranch_execz .LBB142_18
; %bb.17:
	global_load_u16 v12, v18, s[26:27] offset:2048
.LBB142_18:
	s_or_b32 exec_lo, exec_lo, s0
	v_or_b32_e32 v19, 0x500, v0
	s_delay_alu instid0(VALU_DEP_1) | instskip(NEXT) | instid1(VALU_DEP_1)
	v_cmp_gt_u32_e64 s9, s23, v19
	s_and_saveexec_b32 s0, s9
	s_cbranch_execz .LBB142_20
; %bb.19:
	global_load_u16 v11, v18, s[26:27] offset:2560
.LBB142_20:
	s_or_b32 exec_lo, exec_lo, s0
	v_or_b32_e32 v19, 0x600, v0
	s_delay_alu instid0(VALU_DEP_1) | instskip(NEXT) | instid1(VALU_DEP_1)
	v_cmp_gt_u32_e64 s8, s23, v19
	s_and_saveexec_b32 s0, s8
	s_cbranch_execz .LBB142_22
; %bb.21:
	global_load_u16 v10, v18, s[26:27] offset:3072
.LBB142_22:
	s_or_b32 exec_lo, exec_lo, s0
	v_or_b32_e32 v19, 0x700, v0
	s_delay_alu instid0(VALU_DEP_1) | instskip(NEXT) | instid1(VALU_DEP_1)
	v_cmp_gt_u32_e64 s7, s23, v19
	s_and_saveexec_b32 s0, s7
	s_cbranch_execz .LBB142_24
; %bb.23:
	global_load_u16 v9, v18, s[26:27] offset:3584
.LBB142_24:
	s_or_b32 exec_lo, exec_lo, s0
	v_or_b32_e32 v18, 0x800, v0
	s_delay_alu instid0(VALU_DEP_1) | instskip(NEXT) | instid1(VALU_DEP_1)
	v_cmp_gt_u32_e64 s6, s23, v18
	s_and_saveexec_b32 s0, s6
	s_cbranch_execz .LBB142_26
; %bb.25:
	v_lshlrev_b32_e32 v8, 1, v18
	global_load_u16 v8, v8, s[26:27]
.LBB142_26:
	s_or_b32 exec_lo, exec_lo, s0
	v_or_b32_e32 v18, 0x900, v0
	s_delay_alu instid0(VALU_DEP_1) | instskip(NEXT) | instid1(VALU_DEP_1)
	v_cmp_gt_u32_e64 s5, s23, v18
	s_and_saveexec_b32 s0, s5
	s_cbranch_execz .LBB142_28
; %bb.27:
	v_lshlrev_b32_e32 v7, 1, v18
	global_load_u16 v7, v7, s[26:27]
.LBB142_28:
	;; [unrolled: 10-line block ×7, first 2 shown]
	s_or_b32 exec_lo, exec_lo, s30
	v_or_b32_e32 v18, 0xf00, v0
	s_delay_alu instid0(VALU_DEP_1)
	v_cmp_gt_u32_e32 vcc_lo, s23, v18
	s_and_saveexec_b32 s23, vcc_lo
	s_cbranch_execnz .LBB142_90
; %bb.39:
	s_or_b32 exec_lo, exec_lo, s23
	s_and_saveexec_b32 s23, s14
	s_cbranch_execnz .LBB142_91
.LBB142_40:
	s_or_b32 exec_lo, exec_lo, s23
	s_and_saveexec_b32 s14, s13
	s_cbranch_execnz .LBB142_92
.LBB142_41:
	s_or_b32 exec_lo, exec_lo, s14
	s_and_saveexec_b32 s13, s12
	s_cbranch_execnz .LBB142_93
.LBB142_42:
	s_or_b32 exec_lo, exec_lo, s13
	s_and_saveexec_b32 s12, s11
	s_cbranch_execnz .LBB142_94
.LBB142_43:
	s_or_b32 exec_lo, exec_lo, s12
	s_and_saveexec_b32 s11, s10
	s_cbranch_execnz .LBB142_95
.LBB142_44:
	s_or_b32 exec_lo, exec_lo, s11
	s_and_saveexec_b32 s10, s9
	s_cbranch_execnz .LBB142_96
.LBB142_45:
	s_or_b32 exec_lo, exec_lo, s10
	s_and_saveexec_b32 s9, s8
	s_cbranch_execnz .LBB142_97
.LBB142_46:
	s_or_b32 exec_lo, exec_lo, s9
	s_and_saveexec_b32 s8, s7
	s_cbranch_execnz .LBB142_98
.LBB142_47:
	s_or_b32 exec_lo, exec_lo, s8
	s_and_saveexec_b32 s7, s6
	s_cbranch_execnz .LBB142_99
.LBB142_48:
	s_or_b32 exec_lo, exec_lo, s7
	s_and_saveexec_b32 s6, s5
	s_cbranch_execnz .LBB142_100
.LBB142_49:
	s_or_b32 exec_lo, exec_lo, s6
	s_and_saveexec_b32 s5, s4
	s_cbranch_execnz .LBB142_101
.LBB142_50:
	s_or_b32 exec_lo, exec_lo, s5
	s_and_saveexec_b32 s4, s3
	s_cbranch_execnz .LBB142_102
.LBB142_51:
	s_or_b32 exec_lo, exec_lo, s4
	s_and_saveexec_b32 s3, s2
	s_cbranch_execnz .LBB142_103
.LBB142_52:
	s_or_b32 exec_lo, exec_lo, s3
	s_and_saveexec_b32 s2, s1
	s_cbranch_execnz .LBB142_104
.LBB142_53:
	s_or_b32 exec_lo, exec_lo, s2
	s_and_saveexec_b32 s1, s0
	s_cbranch_execnz .LBB142_105
.LBB142_54:
	s_or_b32 exec_lo, exec_lo, s1
	s_and_saveexec_b32 s0, vcc_lo
	s_cbranch_execz .LBB142_56
.LBB142_55:
	s_waitcnt vmcnt(0)
	v_lshlrev_b32_e32 v1, 16, v17
	v_lshlrev_b32_e32 v2, 16, v2
	s_delay_alu instid0(VALU_DEP_1) | instskip(NEXT) | instid1(VALU_DEP_1)
	v_mul_f32_e32 v1, v2, v1
	v_bfe_u32 v2, v1, 16, 1
	v_cmp_o_f32_e32 vcc_lo, v1, v1
	s_delay_alu instid0(VALU_DEP_2) | instskip(NEXT) | instid1(VALU_DEP_1)
	v_add3_u32 v2, v1, v2, 0x7fff
	v_lshrrev_b32_e32 v2, 16, v2
	s_delay_alu instid0(VALU_DEP_1)
	v_cndmask_b32_e32 v17, 0x7fc0, v2, vcc_lo
.LBB142_56:
	s_or_b32 exec_lo, exec_lo, s0
	s_waitcnt vmcnt(0)
	s_delay_alu instid0(VALU_DEP_1) | instskip(SKIP_2) | instid1(VALU_DEP_2)
	v_and_b32_e32 v1, 0xffff, v17
	v_lshlrev_b32_e32 v2, 16, v17
	s_mov_b32 s0, exec_lo
	v_mov_b32_dpp v1, v1 quad_perm:[1,0,3,2] row_mask:0xf bank_mask:0xf
	s_delay_alu instid0(VALU_DEP_1) | instskip(NEXT) | instid1(VALU_DEP_1)
	v_lshlrev_b32_e32 v1, 16, v1
	v_mul_f32_e32 v1, v2, v1
	s_delay_alu instid0(VALU_DEP_1) | instskip(SKIP_1) | instid1(VALU_DEP_2)
	v_bfe_u32 v2, v1, 16, 1
	v_cmp_o_f32_e32 vcc_lo, v1, v1
	v_add3_u32 v2, v1, v2, 0x7fff
	s_delay_alu instid0(VALU_DEP_1) | instskip(NEXT) | instid1(VALU_DEP_1)
	v_lshrrev_b32_e32 v2, 16, v2
	v_cndmask_b32_e32 v1, 0x7fc0, v2, vcc_lo
	s_delay_alu instid0(VALU_DEP_1) | instskip(SKIP_1) | instid1(VALU_DEP_2)
	v_mov_b32_dpp v2, v1 quad_perm:[2,3,0,1] row_mask:0xf bank_mask:0xf
	v_lshlrev_b32_e32 v1, 16, v1
	v_lshlrev_b32_e32 v2, 16, v2
	s_delay_alu instid0(VALU_DEP_1) | instskip(NEXT) | instid1(VALU_DEP_1)
	v_mul_f32_e32 v1, v2, v1
	v_bfe_u32 v2, v1, 16, 1
	v_cmp_o_f32_e32 vcc_lo, v1, v1
	s_delay_alu instid0(VALU_DEP_2) | instskip(NEXT) | instid1(VALU_DEP_1)
	v_add3_u32 v2, v1, v2, 0x7fff
	v_lshrrev_b32_e32 v2, 16, v2
	s_delay_alu instid0(VALU_DEP_1) | instskip(NEXT) | instid1(VALU_DEP_1)
	v_cndmask_b32_e32 v1, 0x7fc0, v2, vcc_lo
	v_mov_b32_dpp v2, v1 row_ror:4 row_mask:0xf bank_mask:0xf
	v_lshlrev_b32_e32 v1, 16, v1
	s_delay_alu instid0(VALU_DEP_2) | instskip(NEXT) | instid1(VALU_DEP_1)
	v_lshlrev_b32_e32 v2, 16, v2
	v_mul_f32_e32 v1, v2, v1
	s_delay_alu instid0(VALU_DEP_1) | instskip(SKIP_1) | instid1(VALU_DEP_2)
	v_bfe_u32 v2, v1, 16, 1
	v_cmp_o_f32_e32 vcc_lo, v1, v1
	v_add3_u32 v2, v1, v2, 0x7fff
	s_delay_alu instid0(VALU_DEP_1) | instskip(NEXT) | instid1(VALU_DEP_1)
	v_lshrrev_b32_e32 v2, 16, v2
	v_cndmask_b32_e32 v1, 0x7fc0, v2, vcc_lo
	s_delay_alu instid0(VALU_DEP_1) | instskip(SKIP_1) | instid1(VALU_DEP_2)
	v_mov_b32_dpp v2, v1 row_ror:8 row_mask:0xf bank_mask:0xf
	v_lshlrev_b32_e32 v1, 16, v1
	v_lshlrev_b32_e32 v2, 16, v2
	s_delay_alu instid0(VALU_DEP_1) | instskip(NEXT) | instid1(VALU_DEP_1)
	v_mul_f32_e32 v1, v2, v1
	v_bfe_u32 v2, v1, 16, 1
	v_cmp_o_f32_e32 vcc_lo, v1, v1
	s_delay_alu instid0(VALU_DEP_2) | instskip(NEXT) | instid1(VALU_DEP_1)
	v_add3_u32 v2, v1, v2, 0x7fff
	v_lshrrev_b32_e32 v2, 16, v2
	s_delay_alu instid0(VALU_DEP_1) | instskip(SKIP_4) | instid1(VALU_DEP_1)
	v_cndmask_b32_e32 v1, 0x7fc0, v2, vcc_lo
	ds_swizzle_b32 v2, v1 offset:swizzle(BROADCAST,32,15)
	v_lshlrev_b32_e32 v1, 16, v1
	s_waitcnt lgkmcnt(0)
	v_lshlrev_b32_e32 v2, 16, v2
	v_mul_f32_e32 v1, v2, v1
	s_delay_alu instid0(VALU_DEP_1) | instskip(SKIP_1) | instid1(VALU_DEP_2)
	v_bfe_u32 v2, v1, 16, 1
	v_cmp_o_f32_e32 vcc_lo, v1, v1
	v_add3_u32 v2, v1, v2, 0x7fff
	s_delay_alu instid0(VALU_DEP_1) | instskip(NEXT) | instid1(VALU_DEP_1)
	v_lshrrev_b32_e32 v2, 16, v2
	v_dual_cndmask_b32 v1, 0x7fc0, v2 :: v_dual_mov_b32 v2, 0
	ds_bpermute_b32 v2, v2, v1 offset:124
	v_mbcnt_lo_u32_b32 v1, -1, 0
	s_delay_alu instid0(VALU_DEP_1)
	v_cmpx_eq_u32_e32 0, v1
	s_xor_b32 s0, exec_lo, s0
	s_cbranch_execz .LBB142_58
; %bb.57:
	v_lshrrev_b32_e32 v3, 4, v0
	s_delay_alu instid0(VALU_DEP_1)
	v_and_b32_e32 v3, 14, v3
	s_waitcnt lgkmcnt(0)
	ds_store_b16 v3, v2
.LBB142_58:
	s_or_b32 exec_lo, exec_lo, s0
	s_delay_alu instid0(SALU_CYCLE_1)
	s_mov_b32 s0, exec_lo
	s_waitcnt lgkmcnt(0)
	s_barrier
	buffer_gl0_inv
	v_cmpx_gt_u32_e32 32, v0
	s_cbranch_execz .LBB142_60
; %bb.59:
	v_and_b32_e32 v2, 7, v1
	s_delay_alu instid0(VALU_DEP_1) | instskip(SKIP_3) | instid1(VALU_DEP_1)
	v_lshlrev_b32_e32 v3, 1, v2
	v_cmp_ne_u32_e32 vcc_lo, 7, v2
	ds_load_u16 v3, v3
	v_add_co_ci_u32_e32 v4, vcc_lo, 0, v1, vcc_lo
	v_lshlrev_b32_e32 v4, 2, v4
	s_waitcnt lgkmcnt(0)
	ds_bpermute_b32 v4, v4, v3
	v_lshlrev_b32_e32 v3, 16, v3
	s_waitcnt lgkmcnt(0)
	v_lshlrev_b32_e32 v4, 16, v4
	s_delay_alu instid0(VALU_DEP_1) | instskip(SKIP_1) | instid1(VALU_DEP_2)
	v_mul_f32_e32 v3, v3, v4
	v_cmp_gt_u32_e32 vcc_lo, 6, v2
	v_bfe_u32 v4, v3, 16, 1
	v_cndmask_b32_e64 v5, 0, 1, vcc_lo
	v_cmp_o_f32_e32 vcc_lo, v3, v3
	s_delay_alu instid0(VALU_DEP_3) | instskip(NEXT) | instid1(VALU_DEP_3)
	v_add3_u32 v4, v3, v4, 0x7fff
	v_lshlrev_b32_e32 v5, 1, v5
	s_delay_alu instid0(VALU_DEP_2) | instskip(NEXT) | instid1(VALU_DEP_2)
	v_lshrrev_b32_e32 v4, 16, v4
	v_add_lshl_u32 v5, v5, v1, 2
	s_delay_alu instid0(VALU_DEP_2) | instskip(SKIP_2) | instid1(VALU_DEP_1)
	v_cndmask_b32_e32 v3, 0x7fc0, v4, vcc_lo
	v_cmp_gt_u32_e32 vcc_lo, 4, v2
	v_cndmask_b32_e64 v2, 0, 1, vcc_lo
	v_lshlrev_b32_e32 v2, 2, v2
	ds_bpermute_b32 v4, v5, v3
	v_lshlrev_b32_e32 v3, 16, v3
	v_add_lshl_u32 v1, v2, v1, 2
	s_waitcnt lgkmcnt(0)
	v_lshlrev_b32_e32 v4, 16, v4
	s_delay_alu instid0(VALU_DEP_1) | instskip(NEXT) | instid1(VALU_DEP_1)
	v_mul_f32_e32 v3, v4, v3
	v_bfe_u32 v4, v3, 16, 1
	v_cmp_o_f32_e32 vcc_lo, v3, v3
	s_delay_alu instid0(VALU_DEP_2) | instskip(NEXT) | instid1(VALU_DEP_1)
	v_add3_u32 v4, v3, v4, 0x7fff
	v_lshrrev_b32_e32 v4, 16, v4
	s_delay_alu instid0(VALU_DEP_1) | instskip(SKIP_4) | instid1(VALU_DEP_1)
	v_cndmask_b32_e32 v3, 0x7fc0, v4, vcc_lo
	ds_bpermute_b32 v1, v1, v3
	v_lshlrev_b32_e32 v2, 16, v3
	s_waitcnt lgkmcnt(0)
	v_lshlrev_b32_e32 v1, 16, v1
	v_mul_f32_e32 v1, v1, v2
	s_delay_alu instid0(VALU_DEP_1) | instskip(SKIP_1) | instid1(VALU_DEP_2)
	v_bfe_u32 v2, v1, 16, 1
	v_cmp_o_f32_e32 vcc_lo, v1, v1
	v_add3_u32 v2, v1, v2, 0x7fff
	s_delay_alu instid0(VALU_DEP_1) | instskip(NEXT) | instid1(VALU_DEP_1)
	v_lshrrev_b32_e32 v2, 16, v2
	v_cndmask_b32_e32 v2, 0x7fc0, v2, vcc_lo
.LBB142_60:
	s_or_b32 exec_lo, exec_lo, s0
	s_branch .LBB142_112
.LBB142_61:
                                        ; implicit-def: $vgpr2
	s_cbranch_execz .LBB142_112
; %bb.62:
	s_sub_i32 s1, s29, s22
	s_mov_b32 s2, exec_lo
                                        ; implicit-def: $vgpr3
	v_cmpx_gt_u32_e64 s1, v0
	s_cbranch_execz .LBB142_68
; %bb.63:
	v_add_nc_u32_e32 v1, s22, v0
	s_mov_b32 s3, exec_lo
	s_delay_alu instid0(VALU_DEP_1) | instskip(NEXT) | instid1(VALU_DEP_1)
	v_ashrrev_i32_e32 v2, 31, v1
	v_lshlrev_b64 v[2:3], 1, v[1:2]
	v_add_nc_u32_e32 v1, 0x100, v1
	s_delay_alu instid0(VALU_DEP_2) | instskip(NEXT) | instid1(VALU_DEP_3)
	v_add_co_u32 v2, vcc_lo, s16, v2
	v_add_co_ci_u32_e32 v3, vcc_lo, s17, v3, vcc_lo
	global_load_u16 v3, v[2:3], off
	v_cmpx_gt_i32_e64 s29, v1
	s_cbranch_execz .LBB142_67
; %bb.64:
	s_mov_b32 s4, 0
	.p2align	6
.LBB142_65:                             ; =>This Inner Loop Header: Depth=1
	v_ashrrev_i32_e32 v2, 31, v1
	s_waitcnt vmcnt(0)
	v_lshlrev_b32_e32 v3, 16, v3
	s_delay_alu instid0(VALU_DEP_2) | instskip(SKIP_1) | instid1(VALU_DEP_2)
	v_lshlrev_b64 v[4:5], 1, v[1:2]
	v_add_nc_u32_e32 v1, 0x100, v1
	v_add_co_u32 v4, vcc_lo, s16, v4
	s_delay_alu instid0(VALU_DEP_3) | instskip(NEXT) | instid1(VALU_DEP_3)
	v_add_co_ci_u32_e32 v5, vcc_lo, s17, v5, vcc_lo
	v_cmp_le_i32_e32 vcc_lo, s29, v1
	global_load_u16 v2, v[4:5], off
	s_or_b32 s4, vcc_lo, s4
	s_waitcnt vmcnt(0)
	v_lshlrev_b32_e32 v2, 16, v2
	s_delay_alu instid0(VALU_DEP_1) | instskip(NEXT) | instid1(VALU_DEP_1)
	v_mul_f32_e32 v2, v3, v2
	v_bfe_u32 v3, v2, 16, 1
	v_cmp_o_f32_e64 s0, v2, v2
	s_delay_alu instid0(VALU_DEP_2) | instskip(NEXT) | instid1(VALU_DEP_1)
	v_add3_u32 v3, v2, v3, 0x7fff
	v_lshrrev_b32_e32 v3, 16, v3
	s_delay_alu instid0(VALU_DEP_1)
	v_cndmask_b32_e64 v3, 0x7fc0, v3, s0
	s_and_not1_b32 exec_lo, exec_lo, s4
	s_cbranch_execnz .LBB142_65
; %bb.66:
	s_or_b32 exec_lo, exec_lo, s4
.LBB142_67:
	s_delay_alu instid0(SALU_CYCLE_1)
	s_or_b32 exec_lo, exec_lo, s3
.LBB142_68:
	s_delay_alu instid0(SALU_CYCLE_1)
	s_or_b32 exec_lo, exec_lo, s2
	v_mbcnt_lo_u32_b32 v1, -1, 0
	s_waitcnt vmcnt(0)
	v_and_b32_e32 v4, 0xffff, v3
	s_cmpk_lt_u32 s1, 0x100
	s_cbranch_scc0 .LBB142_106
; %bb.69:
	v_cmp_ne_u32_e32 vcc_lo, 31, v1
	s_delay_alu instid0(VALU_DEP_2) | instskip(SKIP_1) | instid1(VALU_DEP_1)
	v_mov_b32_e32 v6, v4
	v_add_co_ci_u32_e32 v2, vcc_lo, 0, v1, vcc_lo
	v_lshlrev_b32_e32 v2, 2, v2
	ds_bpermute_b32 v7, v2, v4
	v_and_b32_e32 v2, 0xe0, v0
	s_delay_alu instid0(VALU_DEP_1) | instskip(SKIP_1) | instid1(VALU_DEP_1)
	v_sub_nc_u32_e64 v5, s1, v2 clamp
	v_add_nc_u32_e32 v2, 1, v1
	v_cmp_lt_u32_e32 vcc_lo, v2, v5
	v_mov_b32_e32 v2, v3
	s_and_saveexec_b32 s0, vcc_lo
	s_cbranch_execz .LBB142_71
; %bb.70:
	v_lshlrev_b32_e32 v2, 16, v4
	s_waitcnt lgkmcnt(0)
	v_lshlrev_b32_e32 v6, 16, v7
	s_delay_alu instid0(VALU_DEP_1) | instskip(NEXT) | instid1(VALU_DEP_1)
	v_mul_f32_e32 v2, v2, v6
	v_bfe_u32 v6, v2, 16, 1
	v_cmp_o_f32_e32 vcc_lo, v2, v2
	s_delay_alu instid0(VALU_DEP_2) | instskip(NEXT) | instid1(VALU_DEP_1)
	v_add3_u32 v6, v2, v6, 0x7fff
	v_lshrrev_b32_e32 v6, 16, v6
	s_delay_alu instid0(VALU_DEP_1) | instskip(NEXT) | instid1(VALU_DEP_1)
	v_cndmask_b32_e32 v2, 0x7fc0, v6, vcc_lo
	v_and_b32_e32 v6, 0xffff, v2
.LBB142_71:
	s_or_b32 exec_lo, exec_lo, s0
	v_cmp_gt_u32_e32 vcc_lo, 30, v1
	v_add_nc_u32_e32 v8, 2, v1
	s_mov_b32 s0, exec_lo
	s_waitcnt lgkmcnt(0)
	v_cndmask_b32_e64 v7, 0, 1, vcc_lo
	s_delay_alu instid0(VALU_DEP_1) | instskip(NEXT) | instid1(VALU_DEP_1)
	v_lshlrev_b32_e32 v7, 1, v7
	v_add_lshl_u32 v7, v7, v1, 2
	ds_bpermute_b32 v7, v7, v6
	v_cmpx_lt_u32_e64 v8, v5
	s_cbranch_execz .LBB142_73
; %bb.72:
	v_lshlrev_b32_e32 v2, 16, v6
	s_waitcnt lgkmcnt(0)
	v_lshlrev_b32_e32 v6, 16, v7
	s_delay_alu instid0(VALU_DEP_1) | instskip(NEXT) | instid1(VALU_DEP_1)
	v_mul_f32_e32 v2, v2, v6
	v_bfe_u32 v6, v2, 16, 1
	v_cmp_o_f32_e32 vcc_lo, v2, v2
	s_delay_alu instid0(VALU_DEP_2) | instskip(NEXT) | instid1(VALU_DEP_1)
	v_add3_u32 v6, v2, v6, 0x7fff
	v_lshrrev_b32_e32 v6, 16, v6
	s_delay_alu instid0(VALU_DEP_1) | instskip(NEXT) | instid1(VALU_DEP_1)
	v_cndmask_b32_e32 v2, 0x7fc0, v6, vcc_lo
	v_and_b32_e32 v6, 0xffff, v2
.LBB142_73:
	s_or_b32 exec_lo, exec_lo, s0
	v_cmp_gt_u32_e32 vcc_lo, 28, v1
	v_add_nc_u32_e32 v8, 4, v1
	s_mov_b32 s0, exec_lo
	s_waitcnt lgkmcnt(0)
	v_cndmask_b32_e64 v7, 0, 1, vcc_lo
	s_delay_alu instid0(VALU_DEP_1) | instskip(NEXT) | instid1(VALU_DEP_1)
	v_lshlrev_b32_e32 v7, 2, v7
	v_add_lshl_u32 v7, v7, v1, 2
	ds_bpermute_b32 v7, v7, v6
	v_cmpx_lt_u32_e64 v8, v5
	;; [unrolled: 27-line block ×4, first 2 shown]
	s_cbranch_execz .LBB142_79
; %bb.78:
	v_lshlrev_b32_e32 v2, 16, v6
	s_waitcnt lgkmcnt(0)
	v_lshlrev_b32_e32 v5, 16, v7
	s_delay_alu instid0(VALU_DEP_1) | instskip(NEXT) | instid1(VALU_DEP_1)
	v_mul_f32_e32 v2, v2, v5
	v_bfe_u32 v5, v2, 16, 1
	v_cmp_o_f32_e32 vcc_lo, v2, v2
	s_delay_alu instid0(VALU_DEP_2) | instskip(NEXT) | instid1(VALU_DEP_1)
	v_add3_u32 v5, v2, v5, 0x7fff
	v_lshrrev_b32_e32 v5, 16, v5
	s_delay_alu instid0(VALU_DEP_1)
	v_cndmask_b32_e32 v2, 0x7fc0, v5, vcc_lo
.LBB142_79:
	s_or_b32 exec_lo, exec_lo, s0
	s_delay_alu instid0(SALU_CYCLE_1)
	s_mov_b32 s0, exec_lo
	v_cmpx_eq_u32_e32 0, v1
	s_cbranch_execz .LBB142_81
; %bb.80:
	v_lshrrev_b32_e32 v5, 4, v0
	s_delay_alu instid0(VALU_DEP_1)
	v_and_b32_e32 v5, 14, v5
	ds_store_b16 v5, v2
.LBB142_81:
	s_or_b32 exec_lo, exec_lo, s0
	s_delay_alu instid0(SALU_CYCLE_1)
	s_mov_b32 s0, exec_lo
	s_waitcnt lgkmcnt(0)
	s_barrier
	buffer_gl0_inv
	v_cmpx_gt_u32_e32 8, v0
	s_cbranch_execz .LBB142_89
; %bb.82:
	v_lshlrev_b32_e32 v2, 1, v1
	v_and_b32_e32 v5, 7, v1
	s_add_i32 s1, s1, 31
	s_mov_b32 s2, exec_lo
	s_lshr_b32 s1, s1, 5
	ds_load_u16 v2, v2
	v_cmp_ne_u32_e32 vcc_lo, 7, v5
	v_add_nc_u32_e32 v8, 1, v5
	v_add_co_ci_u32_e32 v7, vcc_lo, 0, v1, vcc_lo
	s_delay_alu instid0(VALU_DEP_1)
	v_lshlrev_b32_e32 v7, 2, v7
	s_waitcnt lgkmcnt(0)
	v_and_b32_e32 v6, 0xffff, v2
	ds_bpermute_b32 v7, v7, v6
	v_cmpx_gt_u32_e64 s1, v8
	s_cbranch_execz .LBB142_84
; %bb.83:
	v_lshlrev_b32_e32 v2, 16, v6
	s_waitcnt lgkmcnt(0)
	v_lshlrev_b32_e32 v6, 16, v7
	s_delay_alu instid0(VALU_DEP_1) | instskip(NEXT) | instid1(VALU_DEP_1)
	v_mul_f32_e32 v2, v2, v6
	v_bfe_u32 v6, v2, 16, 1
	v_cmp_o_f32_e32 vcc_lo, v2, v2
	s_delay_alu instid0(VALU_DEP_2) | instskip(NEXT) | instid1(VALU_DEP_1)
	v_add3_u32 v6, v2, v6, 0x7fff
	v_lshrrev_b32_e32 v6, 16, v6
	s_delay_alu instid0(VALU_DEP_1) | instskip(NEXT) | instid1(VALU_DEP_1)
	v_cndmask_b32_e32 v2, 0x7fc0, v6, vcc_lo
	v_and_b32_e32 v6, 0xffff, v2
.LBB142_84:
	s_or_b32 exec_lo, exec_lo, s2
	v_cmp_gt_u32_e32 vcc_lo, 6, v5
	v_add_nc_u32_e32 v8, 2, v5
	s_mov_b32 s2, exec_lo
	s_waitcnt lgkmcnt(0)
	v_cndmask_b32_e64 v7, 0, 1, vcc_lo
	s_delay_alu instid0(VALU_DEP_1) | instskip(NEXT) | instid1(VALU_DEP_1)
	v_lshlrev_b32_e32 v7, 1, v7
	v_add_lshl_u32 v7, v7, v1, 2
	ds_bpermute_b32 v7, v7, v6
	v_cmpx_gt_u32_e64 s1, v8
	s_cbranch_execz .LBB142_86
; %bb.85:
	v_lshlrev_b32_e32 v2, 16, v6
	s_waitcnt lgkmcnt(0)
	v_lshlrev_b32_e32 v6, 16, v7
	s_delay_alu instid0(VALU_DEP_1) | instskip(NEXT) | instid1(VALU_DEP_1)
	v_mul_f32_e32 v2, v2, v6
	v_bfe_u32 v6, v2, 16, 1
	v_cmp_o_f32_e32 vcc_lo, v2, v2
	s_delay_alu instid0(VALU_DEP_2) | instskip(NEXT) | instid1(VALU_DEP_1)
	v_add3_u32 v6, v2, v6, 0x7fff
	v_lshrrev_b32_e32 v6, 16, v6
	s_delay_alu instid0(VALU_DEP_1) | instskip(NEXT) | instid1(VALU_DEP_1)
	v_cndmask_b32_e32 v2, 0x7fc0, v6, vcc_lo
	v_and_b32_e32 v6, 0xffff, v2
.LBB142_86:
	s_or_b32 exec_lo, exec_lo, s2
	v_cmp_gt_u32_e32 vcc_lo, 4, v5
	v_add_nc_u32_e32 v5, 4, v5
	s_waitcnt lgkmcnt(0)
	v_cndmask_b32_e64 v7, 0, 1, vcc_lo
	s_delay_alu instid0(VALU_DEP_2) | instskip(NEXT) | instid1(VALU_DEP_2)
	v_cmp_gt_u32_e32 vcc_lo, s1, v5
	v_lshlrev_b32_e32 v7, 2, v7
	s_delay_alu instid0(VALU_DEP_1)
	v_add_lshl_u32 v7, v7, v1, 2
	ds_bpermute_b32 v7, v7, v6
	s_and_saveexec_b32 s1, vcc_lo
	s_cbranch_execz .LBB142_88
; %bb.87:
	v_lshlrev_b32_e32 v2, 16, v6
	s_waitcnt lgkmcnt(0)
	v_lshlrev_b32_e32 v5, 16, v7
	s_delay_alu instid0(VALU_DEP_1) | instskip(NEXT) | instid1(VALU_DEP_1)
	v_mul_f32_e32 v2, v2, v5
	v_bfe_u32 v5, v2, 16, 1
	v_cmp_o_f32_e32 vcc_lo, v2, v2
	s_delay_alu instid0(VALU_DEP_2) | instskip(NEXT) | instid1(VALU_DEP_1)
	v_add3_u32 v5, v2, v5, 0x7fff
	v_lshrrev_b32_e32 v5, 16, v5
	s_delay_alu instid0(VALU_DEP_1)
	v_cndmask_b32_e32 v2, 0x7fc0, v5, vcc_lo
.LBB142_88:
	s_or_b32 exec_lo, exec_lo, s1
.LBB142_89:
	s_delay_alu instid0(SALU_CYCLE_1)
	s_or_b32 exec_lo, exec_lo, s0
	s_branch .LBB142_112
.LBB142_90:
	v_lshlrev_b32_e32 v2, 1, v18
	global_load_u16 v2, v2, s[26:27]
	s_or_b32 exec_lo, exec_lo, s23
	s_and_saveexec_b32 s23, s14
	s_cbranch_execz .LBB142_40
.LBB142_91:
	v_lshlrev_b32_e32 v17, 16, v17
	s_waitcnt vmcnt(0)
	v_lshlrev_b32_e32 v16, 16, v16
	s_delay_alu instid0(VALU_DEP_1) | instskip(NEXT) | instid1(VALU_DEP_1)
	v_mul_f32_e32 v16, v17, v16
	v_bfe_u32 v17, v16, 16, 1
	v_cmp_o_f32_e64 s14, v16, v16
	s_delay_alu instid0(VALU_DEP_2) | instskip(NEXT) | instid1(VALU_DEP_1)
	v_add3_u32 v17, v16, v17, 0x7fff
	v_lshrrev_b32_e32 v17, 16, v17
	s_delay_alu instid0(VALU_DEP_1)
	v_cndmask_b32_e64 v17, 0x7fc0, v17, s14
	s_or_b32 exec_lo, exec_lo, s23
	s_and_saveexec_b32 s14, s13
	s_cbranch_execz .LBB142_41
.LBB142_92:
	s_waitcnt vmcnt(0)
	v_lshlrev_b32_e32 v16, 16, v17
	v_lshlrev_b32_e32 v15, 16, v15
	s_delay_alu instid0(VALU_DEP_1) | instskip(NEXT) | instid1(VALU_DEP_1)
	v_mul_f32_e32 v15, v15, v16
	v_bfe_u32 v16, v15, 16, 1
	v_cmp_o_f32_e64 s13, v15, v15
	s_delay_alu instid0(VALU_DEP_2) | instskip(NEXT) | instid1(VALU_DEP_1)
	v_add3_u32 v16, v15, v16, 0x7fff
	v_lshrrev_b32_e32 v16, 16, v16
	s_delay_alu instid0(VALU_DEP_1)
	v_cndmask_b32_e64 v17, 0x7fc0, v16, s13
	s_or_b32 exec_lo, exec_lo, s14
	s_and_saveexec_b32 s13, s12
	s_cbranch_execz .LBB142_42
.LBB142_93:
	s_waitcnt vmcnt(0)
	v_lshlrev_b32_e32 v15, 16, v17
	v_lshlrev_b32_e32 v14, 16, v14
	s_delay_alu instid0(VALU_DEP_1) | instskip(NEXT) | instid1(VALU_DEP_1)
	v_mul_f32_e32 v14, v14, v15
	v_bfe_u32 v15, v14, 16, 1
	v_cmp_o_f32_e64 s12, v14, v14
	s_delay_alu instid0(VALU_DEP_2) | instskip(NEXT) | instid1(VALU_DEP_1)
	v_add3_u32 v15, v14, v15, 0x7fff
	v_lshrrev_b32_e32 v15, 16, v15
	s_delay_alu instid0(VALU_DEP_1)
	v_cndmask_b32_e64 v17, 0x7fc0, v15, s12
	s_or_b32 exec_lo, exec_lo, s13
	s_and_saveexec_b32 s12, s11
	s_cbranch_execz .LBB142_43
.LBB142_94:
	s_waitcnt vmcnt(0)
	v_lshlrev_b32_e32 v14, 16, v17
	v_lshlrev_b32_e32 v13, 16, v13
	s_delay_alu instid0(VALU_DEP_1) | instskip(NEXT) | instid1(VALU_DEP_1)
	v_mul_f32_e32 v13, v13, v14
	v_bfe_u32 v14, v13, 16, 1
	v_cmp_o_f32_e64 s11, v13, v13
	s_delay_alu instid0(VALU_DEP_2) | instskip(NEXT) | instid1(VALU_DEP_1)
	v_add3_u32 v14, v13, v14, 0x7fff
	v_lshrrev_b32_e32 v14, 16, v14
	s_delay_alu instid0(VALU_DEP_1)
	v_cndmask_b32_e64 v17, 0x7fc0, v14, s11
	s_or_b32 exec_lo, exec_lo, s12
	s_and_saveexec_b32 s11, s10
	s_cbranch_execz .LBB142_44
.LBB142_95:
	s_waitcnt vmcnt(0)
	v_lshlrev_b32_e32 v13, 16, v17
	v_lshlrev_b32_e32 v12, 16, v12
	s_delay_alu instid0(VALU_DEP_1) | instskip(NEXT) | instid1(VALU_DEP_1)
	v_mul_f32_e32 v12, v12, v13
	v_bfe_u32 v13, v12, 16, 1
	v_cmp_o_f32_e64 s10, v12, v12
	s_delay_alu instid0(VALU_DEP_2) | instskip(NEXT) | instid1(VALU_DEP_1)
	v_add3_u32 v13, v12, v13, 0x7fff
	v_lshrrev_b32_e32 v13, 16, v13
	s_delay_alu instid0(VALU_DEP_1)
	v_cndmask_b32_e64 v17, 0x7fc0, v13, s10
	s_or_b32 exec_lo, exec_lo, s11
	s_and_saveexec_b32 s10, s9
	s_cbranch_execz .LBB142_45
.LBB142_96:
	s_waitcnt vmcnt(0)
	v_lshlrev_b32_e32 v12, 16, v17
	v_lshlrev_b32_e32 v11, 16, v11
	s_delay_alu instid0(VALU_DEP_1) | instskip(NEXT) | instid1(VALU_DEP_1)
	v_mul_f32_e32 v11, v11, v12
	v_bfe_u32 v12, v11, 16, 1
	v_cmp_o_f32_e64 s9, v11, v11
	s_delay_alu instid0(VALU_DEP_2) | instskip(NEXT) | instid1(VALU_DEP_1)
	v_add3_u32 v12, v11, v12, 0x7fff
	v_lshrrev_b32_e32 v12, 16, v12
	s_delay_alu instid0(VALU_DEP_1)
	v_cndmask_b32_e64 v17, 0x7fc0, v12, s9
	s_or_b32 exec_lo, exec_lo, s10
	s_and_saveexec_b32 s9, s8
	s_cbranch_execz .LBB142_46
.LBB142_97:
	s_waitcnt vmcnt(0)
	v_lshlrev_b32_e32 v11, 16, v17
	v_lshlrev_b32_e32 v10, 16, v10
	s_delay_alu instid0(VALU_DEP_1) | instskip(NEXT) | instid1(VALU_DEP_1)
	v_mul_f32_e32 v10, v10, v11
	v_bfe_u32 v11, v10, 16, 1
	v_cmp_o_f32_e64 s8, v10, v10
	s_delay_alu instid0(VALU_DEP_2) | instskip(NEXT) | instid1(VALU_DEP_1)
	v_add3_u32 v11, v10, v11, 0x7fff
	v_lshrrev_b32_e32 v11, 16, v11
	s_delay_alu instid0(VALU_DEP_1)
	v_cndmask_b32_e64 v17, 0x7fc0, v11, s8
	s_or_b32 exec_lo, exec_lo, s9
	s_and_saveexec_b32 s8, s7
	s_cbranch_execz .LBB142_47
.LBB142_98:
	s_waitcnt vmcnt(0)
	v_lshlrev_b32_e32 v10, 16, v17
	v_lshlrev_b32_e32 v9, 16, v9
	s_delay_alu instid0(VALU_DEP_1) | instskip(NEXT) | instid1(VALU_DEP_1)
	v_mul_f32_e32 v9, v9, v10
	v_bfe_u32 v10, v9, 16, 1
	v_cmp_o_f32_e64 s7, v9, v9
	s_delay_alu instid0(VALU_DEP_2) | instskip(NEXT) | instid1(VALU_DEP_1)
	v_add3_u32 v10, v9, v10, 0x7fff
	v_lshrrev_b32_e32 v10, 16, v10
	s_delay_alu instid0(VALU_DEP_1)
	v_cndmask_b32_e64 v17, 0x7fc0, v10, s7
	s_or_b32 exec_lo, exec_lo, s8
	s_and_saveexec_b32 s7, s6
	s_cbranch_execz .LBB142_48
.LBB142_99:
	s_waitcnt vmcnt(0)
	v_lshlrev_b32_e32 v9, 16, v17
	v_lshlrev_b32_e32 v8, 16, v8
	s_delay_alu instid0(VALU_DEP_1) | instskip(NEXT) | instid1(VALU_DEP_1)
	v_mul_f32_e32 v8, v8, v9
	v_bfe_u32 v9, v8, 16, 1
	v_cmp_o_f32_e64 s6, v8, v8
	s_delay_alu instid0(VALU_DEP_2) | instskip(NEXT) | instid1(VALU_DEP_1)
	v_add3_u32 v9, v8, v9, 0x7fff
	v_lshrrev_b32_e32 v9, 16, v9
	s_delay_alu instid0(VALU_DEP_1)
	v_cndmask_b32_e64 v17, 0x7fc0, v9, s6
	s_or_b32 exec_lo, exec_lo, s7
	s_and_saveexec_b32 s6, s5
	s_cbranch_execz .LBB142_49
.LBB142_100:
	s_waitcnt vmcnt(0)
	v_lshlrev_b32_e32 v8, 16, v17
	v_lshlrev_b32_e32 v7, 16, v7
	s_delay_alu instid0(VALU_DEP_1) | instskip(NEXT) | instid1(VALU_DEP_1)
	v_mul_f32_e32 v7, v7, v8
	v_bfe_u32 v8, v7, 16, 1
	v_cmp_o_f32_e64 s5, v7, v7
	s_delay_alu instid0(VALU_DEP_2) | instskip(NEXT) | instid1(VALU_DEP_1)
	v_add3_u32 v8, v7, v8, 0x7fff
	v_lshrrev_b32_e32 v8, 16, v8
	s_delay_alu instid0(VALU_DEP_1)
	v_cndmask_b32_e64 v17, 0x7fc0, v8, s5
	s_or_b32 exec_lo, exec_lo, s6
	s_and_saveexec_b32 s5, s4
	s_cbranch_execz .LBB142_50
.LBB142_101:
	s_waitcnt vmcnt(0)
	v_lshlrev_b32_e32 v7, 16, v17
	v_lshlrev_b32_e32 v6, 16, v6
	s_delay_alu instid0(VALU_DEP_1) | instskip(NEXT) | instid1(VALU_DEP_1)
	v_mul_f32_e32 v6, v6, v7
	v_bfe_u32 v7, v6, 16, 1
	v_cmp_o_f32_e64 s4, v6, v6
	s_delay_alu instid0(VALU_DEP_2) | instskip(NEXT) | instid1(VALU_DEP_1)
	v_add3_u32 v7, v6, v7, 0x7fff
	v_lshrrev_b32_e32 v7, 16, v7
	s_delay_alu instid0(VALU_DEP_1)
	v_cndmask_b32_e64 v17, 0x7fc0, v7, s4
	s_or_b32 exec_lo, exec_lo, s5
	s_and_saveexec_b32 s4, s3
	s_cbranch_execz .LBB142_51
.LBB142_102:
	s_waitcnt vmcnt(0)
	v_lshlrev_b32_e32 v6, 16, v17
	v_lshlrev_b32_e32 v5, 16, v5
	s_delay_alu instid0(VALU_DEP_1) | instskip(NEXT) | instid1(VALU_DEP_1)
	v_mul_f32_e32 v5, v5, v6
	v_bfe_u32 v6, v5, 16, 1
	v_cmp_o_f32_e64 s3, v5, v5
	s_delay_alu instid0(VALU_DEP_2) | instskip(NEXT) | instid1(VALU_DEP_1)
	v_add3_u32 v6, v5, v6, 0x7fff
	v_lshrrev_b32_e32 v6, 16, v6
	s_delay_alu instid0(VALU_DEP_1)
	v_cndmask_b32_e64 v17, 0x7fc0, v6, s3
	s_or_b32 exec_lo, exec_lo, s4
	s_and_saveexec_b32 s3, s2
	s_cbranch_execz .LBB142_52
.LBB142_103:
	s_waitcnt vmcnt(0)
	v_lshlrev_b32_e32 v5, 16, v17
	v_lshlrev_b32_e32 v4, 16, v4
	s_delay_alu instid0(VALU_DEP_1) | instskip(NEXT) | instid1(VALU_DEP_1)
	v_mul_f32_e32 v4, v4, v5
	v_bfe_u32 v5, v4, 16, 1
	v_cmp_o_f32_e64 s2, v4, v4
	s_delay_alu instid0(VALU_DEP_2) | instskip(NEXT) | instid1(VALU_DEP_1)
	v_add3_u32 v5, v4, v5, 0x7fff
	v_lshrrev_b32_e32 v5, 16, v5
	s_delay_alu instid0(VALU_DEP_1)
	v_cndmask_b32_e64 v17, 0x7fc0, v5, s2
	s_or_b32 exec_lo, exec_lo, s3
	s_and_saveexec_b32 s2, s1
	s_cbranch_execz .LBB142_53
.LBB142_104:
	s_waitcnt vmcnt(0)
	v_lshlrev_b32_e32 v4, 16, v17
	v_lshlrev_b32_e32 v3, 16, v3
	s_delay_alu instid0(VALU_DEP_1) | instskip(NEXT) | instid1(VALU_DEP_1)
	v_mul_f32_e32 v3, v3, v4
	v_bfe_u32 v4, v3, 16, 1
	v_cmp_o_f32_e64 s1, v3, v3
	s_delay_alu instid0(VALU_DEP_2) | instskip(NEXT) | instid1(VALU_DEP_1)
	v_add3_u32 v4, v3, v4, 0x7fff
	v_lshrrev_b32_e32 v4, 16, v4
	s_delay_alu instid0(VALU_DEP_1)
	v_cndmask_b32_e64 v17, 0x7fc0, v4, s1
	s_or_b32 exec_lo, exec_lo, s2
	s_and_saveexec_b32 s1, s0
	s_cbranch_execz .LBB142_54
.LBB142_105:
	s_waitcnt vmcnt(0)
	v_lshlrev_b32_e32 v3, 16, v17
	v_lshlrev_b32_e32 v1, 16, v1
	s_delay_alu instid0(VALU_DEP_1) | instskip(NEXT) | instid1(VALU_DEP_1)
	v_mul_f32_e32 v1, v1, v3
	v_bfe_u32 v3, v1, 16, 1
	v_cmp_o_f32_e64 s0, v1, v1
	s_delay_alu instid0(VALU_DEP_2) | instskip(NEXT) | instid1(VALU_DEP_1)
	v_add3_u32 v3, v1, v3, 0x7fff
	v_lshrrev_b32_e32 v3, 16, v3
	s_delay_alu instid0(VALU_DEP_1)
	v_cndmask_b32_e64 v17, 0x7fc0, v3, s0
	s_or_b32 exec_lo, exec_lo, s1
	s_and_saveexec_b32 s0, vcc_lo
	s_cbranch_execnz .LBB142_55
	s_branch .LBB142_56
.LBB142_106:
                                        ; implicit-def: $vgpr2
	s_cbranch_execz .LBB142_112
; %bb.107:
	s_delay_alu instid0(VALU_DEP_1) | instskip(SKIP_2) | instid1(VALU_DEP_2)
	v_mov_b32_dpp v2, v4 quad_perm:[1,0,3,2] row_mask:0xf bank_mask:0xf
	v_lshlrev_b32_e32 v3, 16, v3
	s_mov_b32 s0, exec_lo
	v_lshlrev_b32_e32 v2, 16, v2
	s_delay_alu instid0(VALU_DEP_1) | instskip(NEXT) | instid1(VALU_DEP_1)
	v_mul_f32_e32 v2, v3, v2
	v_bfe_u32 v3, v2, 16, 1
	v_cmp_o_f32_e32 vcc_lo, v2, v2
	s_delay_alu instid0(VALU_DEP_2) | instskip(NEXT) | instid1(VALU_DEP_1)
	v_add3_u32 v3, v2, v3, 0x7fff
	v_lshrrev_b32_e32 v3, 16, v3
	s_delay_alu instid0(VALU_DEP_1) | instskip(NEXT) | instid1(VALU_DEP_1)
	v_cndmask_b32_e32 v2, 0x7fc0, v3, vcc_lo
	v_mov_b32_dpp v3, v2 quad_perm:[2,3,0,1] row_mask:0xf bank_mask:0xf
	v_lshlrev_b32_e32 v2, 16, v2
	s_delay_alu instid0(VALU_DEP_2) | instskip(NEXT) | instid1(VALU_DEP_1)
	v_lshlrev_b32_e32 v3, 16, v3
	v_mul_f32_e32 v2, v3, v2
	s_delay_alu instid0(VALU_DEP_1) | instskip(SKIP_1) | instid1(VALU_DEP_2)
	v_bfe_u32 v3, v2, 16, 1
	v_cmp_o_f32_e32 vcc_lo, v2, v2
	v_add3_u32 v3, v2, v3, 0x7fff
	s_delay_alu instid0(VALU_DEP_1) | instskip(NEXT) | instid1(VALU_DEP_1)
	v_lshrrev_b32_e32 v3, 16, v3
	v_cndmask_b32_e32 v2, 0x7fc0, v3, vcc_lo
	s_delay_alu instid0(VALU_DEP_1) | instskip(SKIP_1) | instid1(VALU_DEP_2)
	v_mov_b32_dpp v3, v2 row_ror:4 row_mask:0xf bank_mask:0xf
	v_lshlrev_b32_e32 v2, 16, v2
	v_lshlrev_b32_e32 v3, 16, v3
	s_delay_alu instid0(VALU_DEP_1) | instskip(NEXT) | instid1(VALU_DEP_1)
	v_mul_f32_e32 v2, v3, v2
	v_bfe_u32 v3, v2, 16, 1
	v_cmp_o_f32_e32 vcc_lo, v2, v2
	s_delay_alu instid0(VALU_DEP_2) | instskip(NEXT) | instid1(VALU_DEP_1)
	v_add3_u32 v3, v2, v3, 0x7fff
	v_lshrrev_b32_e32 v3, 16, v3
	s_delay_alu instid0(VALU_DEP_1) | instskip(NEXT) | instid1(VALU_DEP_1)
	v_cndmask_b32_e32 v2, 0x7fc0, v3, vcc_lo
	v_mov_b32_dpp v3, v2 row_ror:8 row_mask:0xf bank_mask:0xf
	v_lshlrev_b32_e32 v2, 16, v2
	s_delay_alu instid0(VALU_DEP_2) | instskip(NEXT) | instid1(VALU_DEP_1)
	v_lshlrev_b32_e32 v3, 16, v3
	v_mul_f32_e32 v2, v3, v2
	s_delay_alu instid0(VALU_DEP_1) | instskip(SKIP_1) | instid1(VALU_DEP_2)
	v_bfe_u32 v3, v2, 16, 1
	v_cmp_o_f32_e32 vcc_lo, v2, v2
	v_add3_u32 v3, v2, v3, 0x7fff
	s_delay_alu instid0(VALU_DEP_1) | instskip(NEXT) | instid1(VALU_DEP_1)
	v_lshrrev_b32_e32 v3, 16, v3
	v_cndmask_b32_e32 v2, 0x7fc0, v3, vcc_lo
	ds_swizzle_b32 v3, v2 offset:swizzle(BROADCAST,32,15)
	v_lshlrev_b32_e32 v2, 16, v2
	s_waitcnt lgkmcnt(0)
	v_lshlrev_b32_e32 v3, 16, v3
	s_delay_alu instid0(VALU_DEP_1) | instskip(NEXT) | instid1(VALU_DEP_1)
	v_mul_f32_e32 v2, v3, v2
	v_bfe_u32 v3, v2, 16, 1
	v_cmp_o_f32_e32 vcc_lo, v2, v2
	s_delay_alu instid0(VALU_DEP_2) | instskip(NEXT) | instid1(VALU_DEP_1)
	v_add3_u32 v3, v2, v3, 0x7fff
	v_lshrrev_b32_e32 v3, 16, v3
	s_delay_alu instid0(VALU_DEP_1)
	v_dual_cndmask_b32 v2, 0x7fc0, v3 :: v_dual_mov_b32 v3, 0
	ds_bpermute_b32 v2, v3, v2 offset:124
	v_cmpx_eq_u32_e32 0, v1
	s_cbranch_execz .LBB142_109
; %bb.108:
	v_lshrrev_b32_e32 v3, 4, v0
	s_delay_alu instid0(VALU_DEP_1)
	v_and_b32_e32 v3, 14, v3
	s_waitcnt lgkmcnt(0)
	ds_store_b16 v3, v2
.LBB142_109:
	s_or_b32 exec_lo, exec_lo, s0
	s_delay_alu instid0(SALU_CYCLE_1)
	s_mov_b32 s0, exec_lo
	s_waitcnt lgkmcnt(0)
	s_barrier
	buffer_gl0_inv
	v_cmpx_gt_u32_e32 32, v0
	s_cbranch_execz .LBB142_111
; %bb.110:
	v_and_b32_e32 v2, 7, v1
	s_delay_alu instid0(VALU_DEP_1) | instskip(SKIP_3) | instid1(VALU_DEP_1)
	v_lshlrev_b32_e32 v3, 1, v2
	v_cmp_ne_u32_e32 vcc_lo, 7, v2
	ds_load_u16 v3, v3
	v_add_co_ci_u32_e32 v4, vcc_lo, 0, v1, vcc_lo
	v_lshlrev_b32_e32 v4, 2, v4
	s_waitcnt lgkmcnt(0)
	ds_bpermute_b32 v4, v4, v3
	v_lshlrev_b32_e32 v3, 16, v3
	s_waitcnt lgkmcnt(0)
	v_lshlrev_b32_e32 v4, 16, v4
	s_delay_alu instid0(VALU_DEP_1) | instskip(SKIP_1) | instid1(VALU_DEP_2)
	v_mul_f32_e32 v3, v3, v4
	v_cmp_gt_u32_e32 vcc_lo, 6, v2
	v_bfe_u32 v4, v3, 16, 1
	v_cndmask_b32_e64 v5, 0, 1, vcc_lo
	v_cmp_o_f32_e32 vcc_lo, v3, v3
	s_delay_alu instid0(VALU_DEP_3) | instskip(NEXT) | instid1(VALU_DEP_3)
	v_add3_u32 v4, v3, v4, 0x7fff
	v_lshlrev_b32_e32 v5, 1, v5
	s_delay_alu instid0(VALU_DEP_2) | instskip(NEXT) | instid1(VALU_DEP_2)
	v_lshrrev_b32_e32 v4, 16, v4
	v_add_lshl_u32 v5, v5, v1, 2
	s_delay_alu instid0(VALU_DEP_2) | instskip(SKIP_2) | instid1(VALU_DEP_1)
	v_cndmask_b32_e32 v3, 0x7fc0, v4, vcc_lo
	v_cmp_gt_u32_e32 vcc_lo, 4, v2
	v_cndmask_b32_e64 v2, 0, 1, vcc_lo
	v_lshlrev_b32_e32 v2, 2, v2
	ds_bpermute_b32 v4, v5, v3
	v_lshlrev_b32_e32 v3, 16, v3
	v_add_lshl_u32 v1, v2, v1, 2
	s_waitcnt lgkmcnt(0)
	v_lshlrev_b32_e32 v4, 16, v4
	s_delay_alu instid0(VALU_DEP_1) | instskip(NEXT) | instid1(VALU_DEP_1)
	v_mul_f32_e32 v3, v4, v3
	v_bfe_u32 v4, v3, 16, 1
	v_cmp_o_f32_e32 vcc_lo, v3, v3
	s_delay_alu instid0(VALU_DEP_2) | instskip(NEXT) | instid1(VALU_DEP_1)
	v_add3_u32 v4, v3, v4, 0x7fff
	v_lshrrev_b32_e32 v4, 16, v4
	s_delay_alu instid0(VALU_DEP_1) | instskip(SKIP_4) | instid1(VALU_DEP_1)
	v_cndmask_b32_e32 v3, 0x7fc0, v4, vcc_lo
	ds_bpermute_b32 v1, v1, v3
	v_lshlrev_b32_e32 v2, 16, v3
	s_waitcnt lgkmcnt(0)
	v_lshlrev_b32_e32 v1, 16, v1
	v_mul_f32_e32 v1, v1, v2
	s_delay_alu instid0(VALU_DEP_1) | instskip(SKIP_1) | instid1(VALU_DEP_2)
	v_bfe_u32 v2, v1, 16, 1
	v_cmp_o_f32_e32 vcc_lo, v1, v1
	v_add3_u32 v2, v1, v2, 0x7fff
	s_delay_alu instid0(VALU_DEP_1) | instskip(NEXT) | instid1(VALU_DEP_1)
	v_lshrrev_b32_e32 v2, 16, v2
	v_cndmask_b32_e32 v2, 0x7fc0, v2, vcc_lo
.LBB142_111:
	s_or_b32 exec_lo, exec_lo, s0
.LBB142_112:
	s_delay_alu instid0(SALU_CYCLE_1)
	s_mov_b32 s0, exec_lo
                                        ; implicit-def: $vgpr1
	v_cmpx_eq_u32_e32 0, v0
; %bb.113:
	s_delay_alu instid0(VALU_DEP_2) | instskip(SKIP_2) | instid1(VALU_DEP_1)
	v_lshlrev_b32_e32 v0, 16, v2
	s_lshl_b32 s1, s15, 16
	s_or_b32 s28, s28, exec_lo
	v_mul_f32_e32 v0, s1, v0
	s_delay_alu instid0(VALU_DEP_1) | instskip(SKIP_1) | instid1(VALU_DEP_2)
	v_bfe_u32 v1, v0, 16, 1
	v_cmp_o_f32_e32 vcc_lo, v0, v0
	v_add3_u32 v1, v0, v1, 0x7fff
	s_delay_alu instid0(VALU_DEP_1) | instskip(NEXT) | instid1(VALU_DEP_1)
	v_lshrrev_b32_e32 v1, 16, v1
	v_cndmask_b32_e32 v1, 0x7fc0, v1, vcc_lo
; %bb.114:
	s_or_b32 exec_lo, exec_lo, s0
	s_and_saveexec_b32 s0, s28
	s_cbranch_execz .LBB142_116
.LBB142_115:
	s_lshl_b64 s[0:1], s[20:21], 1
	v_mov_b32_e32 v0, 0
	s_add_u32 s2, s18, s0
	s_addc_u32 s3, s19, s1
	s_lshl_b64 s[0:1], s[24:25], 1
	s_delay_alu instid0(SALU_CYCLE_1)
	s_add_u32 s0, s2, s0
	s_addc_u32 s1, s3, s1
	global_store_b16 v0, v1, s[0:1]
.LBB142_116:
	s_nop 0
	s_sendmsg sendmsg(MSG_DEALLOC_VGPRS)
	s_endpgm
	.section	.rodata,"a",@progbits
	.p2align	6, 0x0
	.amdhsa_kernel _ZN7rocprim17ROCPRIM_400000_NS6detail17trampoline_kernelINS0_14default_configENS1_32segmented_reduce_config_selectorIN3c108BFloat16EEEZNS1_21segmented_reduce_implIS3_PKS6_PS6_PKiS6_N6hipcub16HIPCUB_304000_NS6detail27convert_result_type_wrapperISA_SB_N2at6native12_GLOBAL__N_110CustomProdEEEEE10hipError_tPvRmT0_T1_jT2_SS_T4_T3_P12ihipStream_tbEUlT_E_NS1_11comp_targetILNS1_3genE9ELNS1_11target_archE1100ELNS1_3gpuE3ELNS1_3repE0EEENS1_30default_config_static_selectorELNS0_4arch9wavefront6targetE0EEEvSR_
		.amdhsa_group_segment_fixed_size 16
		.amdhsa_private_segment_fixed_size 0
		.amdhsa_kernarg_size 48
		.amdhsa_user_sgpr_count 15
		.amdhsa_user_sgpr_dispatch_ptr 0
		.amdhsa_user_sgpr_queue_ptr 0
		.amdhsa_user_sgpr_kernarg_segment_ptr 1
		.amdhsa_user_sgpr_dispatch_id 0
		.amdhsa_user_sgpr_private_segment_size 0
		.amdhsa_wavefront_size32 1
		.amdhsa_uses_dynamic_stack 0
		.amdhsa_enable_private_segment 0
		.amdhsa_system_sgpr_workgroup_id_x 1
		.amdhsa_system_sgpr_workgroup_id_y 0
		.amdhsa_system_sgpr_workgroup_id_z 0
		.amdhsa_system_sgpr_workgroup_info 0
		.amdhsa_system_vgpr_workitem_id 0
		.amdhsa_next_free_vgpr 24
		.amdhsa_next_free_sgpr 31
		.amdhsa_reserve_vcc 1
		.amdhsa_float_round_mode_32 0
		.amdhsa_float_round_mode_16_64 0
		.amdhsa_float_denorm_mode_32 3
		.amdhsa_float_denorm_mode_16_64 3
		.amdhsa_dx10_clamp 1
		.amdhsa_ieee_mode 1
		.amdhsa_fp16_overflow 0
		.amdhsa_workgroup_processor_mode 1
		.amdhsa_memory_ordered 1
		.amdhsa_forward_progress 0
		.amdhsa_shared_vgpr_count 0
		.amdhsa_exception_fp_ieee_invalid_op 0
		.amdhsa_exception_fp_denorm_src 0
		.amdhsa_exception_fp_ieee_div_zero 0
		.amdhsa_exception_fp_ieee_overflow 0
		.amdhsa_exception_fp_ieee_underflow 0
		.amdhsa_exception_fp_ieee_inexact 0
		.amdhsa_exception_int_div_zero 0
	.end_amdhsa_kernel
	.section	.text._ZN7rocprim17ROCPRIM_400000_NS6detail17trampoline_kernelINS0_14default_configENS1_32segmented_reduce_config_selectorIN3c108BFloat16EEEZNS1_21segmented_reduce_implIS3_PKS6_PS6_PKiS6_N6hipcub16HIPCUB_304000_NS6detail27convert_result_type_wrapperISA_SB_N2at6native12_GLOBAL__N_110CustomProdEEEEE10hipError_tPvRmT0_T1_jT2_SS_T4_T3_P12ihipStream_tbEUlT_E_NS1_11comp_targetILNS1_3genE9ELNS1_11target_archE1100ELNS1_3gpuE3ELNS1_3repE0EEENS1_30default_config_static_selectorELNS0_4arch9wavefront6targetE0EEEvSR_,"axG",@progbits,_ZN7rocprim17ROCPRIM_400000_NS6detail17trampoline_kernelINS0_14default_configENS1_32segmented_reduce_config_selectorIN3c108BFloat16EEEZNS1_21segmented_reduce_implIS3_PKS6_PS6_PKiS6_N6hipcub16HIPCUB_304000_NS6detail27convert_result_type_wrapperISA_SB_N2at6native12_GLOBAL__N_110CustomProdEEEEE10hipError_tPvRmT0_T1_jT2_SS_T4_T3_P12ihipStream_tbEUlT_E_NS1_11comp_targetILNS1_3genE9ELNS1_11target_archE1100ELNS1_3gpuE3ELNS1_3repE0EEENS1_30default_config_static_selectorELNS0_4arch9wavefront6targetE0EEEvSR_,comdat
.Lfunc_end142:
	.size	_ZN7rocprim17ROCPRIM_400000_NS6detail17trampoline_kernelINS0_14default_configENS1_32segmented_reduce_config_selectorIN3c108BFloat16EEEZNS1_21segmented_reduce_implIS3_PKS6_PS6_PKiS6_N6hipcub16HIPCUB_304000_NS6detail27convert_result_type_wrapperISA_SB_N2at6native12_GLOBAL__N_110CustomProdEEEEE10hipError_tPvRmT0_T1_jT2_SS_T4_T3_P12ihipStream_tbEUlT_E_NS1_11comp_targetILNS1_3genE9ELNS1_11target_archE1100ELNS1_3gpuE3ELNS1_3repE0EEENS1_30default_config_static_selectorELNS0_4arch9wavefront6targetE0EEEvSR_, .Lfunc_end142-_ZN7rocprim17ROCPRIM_400000_NS6detail17trampoline_kernelINS0_14default_configENS1_32segmented_reduce_config_selectorIN3c108BFloat16EEEZNS1_21segmented_reduce_implIS3_PKS6_PS6_PKiS6_N6hipcub16HIPCUB_304000_NS6detail27convert_result_type_wrapperISA_SB_N2at6native12_GLOBAL__N_110CustomProdEEEEE10hipError_tPvRmT0_T1_jT2_SS_T4_T3_P12ihipStream_tbEUlT_E_NS1_11comp_targetILNS1_3genE9ELNS1_11target_archE1100ELNS1_3gpuE3ELNS1_3repE0EEENS1_30default_config_static_selectorELNS0_4arch9wavefront6targetE0EEEvSR_
                                        ; -- End function
	.section	.AMDGPU.csdata,"",@progbits
; Kernel info:
; codeLenInByte = 7848
; NumSgprs: 33
; NumVgprs: 24
; ScratchSize: 0
; MemoryBound: 0
; FloatMode: 240
; IeeeMode: 1
; LDSByteSize: 16 bytes/workgroup (compile time only)
; SGPRBlocks: 4
; VGPRBlocks: 2
; NumSGPRsForWavesPerEU: 33
; NumVGPRsForWavesPerEU: 24
; Occupancy: 16
; WaveLimiterHint : 1
; COMPUTE_PGM_RSRC2:SCRATCH_EN: 0
; COMPUTE_PGM_RSRC2:USER_SGPR: 15
; COMPUTE_PGM_RSRC2:TRAP_HANDLER: 0
; COMPUTE_PGM_RSRC2:TGID_X_EN: 1
; COMPUTE_PGM_RSRC2:TGID_Y_EN: 0
; COMPUTE_PGM_RSRC2:TGID_Z_EN: 0
; COMPUTE_PGM_RSRC2:TIDIG_COMP_CNT: 0
	.section	.text._ZN7rocprim17ROCPRIM_400000_NS6detail17trampoline_kernelINS0_14default_configENS1_32segmented_reduce_config_selectorIN3c108BFloat16EEEZNS1_21segmented_reduce_implIS3_PKS6_PS6_PKiS6_N6hipcub16HIPCUB_304000_NS6detail27convert_result_type_wrapperISA_SB_N2at6native12_GLOBAL__N_110CustomProdEEEEE10hipError_tPvRmT0_T1_jT2_SS_T4_T3_P12ihipStream_tbEUlT_E_NS1_11comp_targetILNS1_3genE8ELNS1_11target_archE1030ELNS1_3gpuE2ELNS1_3repE0EEENS1_30default_config_static_selectorELNS0_4arch9wavefront6targetE0EEEvSR_,"axG",@progbits,_ZN7rocprim17ROCPRIM_400000_NS6detail17trampoline_kernelINS0_14default_configENS1_32segmented_reduce_config_selectorIN3c108BFloat16EEEZNS1_21segmented_reduce_implIS3_PKS6_PS6_PKiS6_N6hipcub16HIPCUB_304000_NS6detail27convert_result_type_wrapperISA_SB_N2at6native12_GLOBAL__N_110CustomProdEEEEE10hipError_tPvRmT0_T1_jT2_SS_T4_T3_P12ihipStream_tbEUlT_E_NS1_11comp_targetILNS1_3genE8ELNS1_11target_archE1030ELNS1_3gpuE2ELNS1_3repE0EEENS1_30default_config_static_selectorELNS0_4arch9wavefront6targetE0EEEvSR_,comdat
	.globl	_ZN7rocprim17ROCPRIM_400000_NS6detail17trampoline_kernelINS0_14default_configENS1_32segmented_reduce_config_selectorIN3c108BFloat16EEEZNS1_21segmented_reduce_implIS3_PKS6_PS6_PKiS6_N6hipcub16HIPCUB_304000_NS6detail27convert_result_type_wrapperISA_SB_N2at6native12_GLOBAL__N_110CustomProdEEEEE10hipError_tPvRmT0_T1_jT2_SS_T4_T3_P12ihipStream_tbEUlT_E_NS1_11comp_targetILNS1_3genE8ELNS1_11target_archE1030ELNS1_3gpuE2ELNS1_3repE0EEENS1_30default_config_static_selectorELNS0_4arch9wavefront6targetE0EEEvSR_ ; -- Begin function _ZN7rocprim17ROCPRIM_400000_NS6detail17trampoline_kernelINS0_14default_configENS1_32segmented_reduce_config_selectorIN3c108BFloat16EEEZNS1_21segmented_reduce_implIS3_PKS6_PS6_PKiS6_N6hipcub16HIPCUB_304000_NS6detail27convert_result_type_wrapperISA_SB_N2at6native12_GLOBAL__N_110CustomProdEEEEE10hipError_tPvRmT0_T1_jT2_SS_T4_T3_P12ihipStream_tbEUlT_E_NS1_11comp_targetILNS1_3genE8ELNS1_11target_archE1030ELNS1_3gpuE2ELNS1_3repE0EEENS1_30default_config_static_selectorELNS0_4arch9wavefront6targetE0EEEvSR_
	.p2align	8
	.type	_ZN7rocprim17ROCPRIM_400000_NS6detail17trampoline_kernelINS0_14default_configENS1_32segmented_reduce_config_selectorIN3c108BFloat16EEEZNS1_21segmented_reduce_implIS3_PKS6_PS6_PKiS6_N6hipcub16HIPCUB_304000_NS6detail27convert_result_type_wrapperISA_SB_N2at6native12_GLOBAL__N_110CustomProdEEEEE10hipError_tPvRmT0_T1_jT2_SS_T4_T3_P12ihipStream_tbEUlT_E_NS1_11comp_targetILNS1_3genE8ELNS1_11target_archE1030ELNS1_3gpuE2ELNS1_3repE0EEENS1_30default_config_static_selectorELNS0_4arch9wavefront6targetE0EEEvSR_,@function
_ZN7rocprim17ROCPRIM_400000_NS6detail17trampoline_kernelINS0_14default_configENS1_32segmented_reduce_config_selectorIN3c108BFloat16EEEZNS1_21segmented_reduce_implIS3_PKS6_PS6_PKiS6_N6hipcub16HIPCUB_304000_NS6detail27convert_result_type_wrapperISA_SB_N2at6native12_GLOBAL__N_110CustomProdEEEEE10hipError_tPvRmT0_T1_jT2_SS_T4_T3_P12ihipStream_tbEUlT_E_NS1_11comp_targetILNS1_3genE8ELNS1_11target_archE1030ELNS1_3gpuE2ELNS1_3repE0EEENS1_30default_config_static_selectorELNS0_4arch9wavefront6targetE0EEEvSR_: ; @_ZN7rocprim17ROCPRIM_400000_NS6detail17trampoline_kernelINS0_14default_configENS1_32segmented_reduce_config_selectorIN3c108BFloat16EEEZNS1_21segmented_reduce_implIS3_PKS6_PS6_PKiS6_N6hipcub16HIPCUB_304000_NS6detail27convert_result_type_wrapperISA_SB_N2at6native12_GLOBAL__N_110CustomProdEEEEE10hipError_tPvRmT0_T1_jT2_SS_T4_T3_P12ihipStream_tbEUlT_E_NS1_11comp_targetILNS1_3genE8ELNS1_11target_archE1030ELNS1_3gpuE2ELNS1_3repE0EEENS1_30default_config_static_selectorELNS0_4arch9wavefront6targetE0EEEvSR_
; %bb.0:
	.section	.rodata,"a",@progbits
	.p2align	6, 0x0
	.amdhsa_kernel _ZN7rocprim17ROCPRIM_400000_NS6detail17trampoline_kernelINS0_14default_configENS1_32segmented_reduce_config_selectorIN3c108BFloat16EEEZNS1_21segmented_reduce_implIS3_PKS6_PS6_PKiS6_N6hipcub16HIPCUB_304000_NS6detail27convert_result_type_wrapperISA_SB_N2at6native12_GLOBAL__N_110CustomProdEEEEE10hipError_tPvRmT0_T1_jT2_SS_T4_T3_P12ihipStream_tbEUlT_E_NS1_11comp_targetILNS1_3genE8ELNS1_11target_archE1030ELNS1_3gpuE2ELNS1_3repE0EEENS1_30default_config_static_selectorELNS0_4arch9wavefront6targetE0EEEvSR_
		.amdhsa_group_segment_fixed_size 0
		.amdhsa_private_segment_fixed_size 0
		.amdhsa_kernarg_size 48
		.amdhsa_user_sgpr_count 15
		.amdhsa_user_sgpr_dispatch_ptr 0
		.amdhsa_user_sgpr_queue_ptr 0
		.amdhsa_user_sgpr_kernarg_segment_ptr 1
		.amdhsa_user_sgpr_dispatch_id 0
		.amdhsa_user_sgpr_private_segment_size 0
		.amdhsa_wavefront_size32 1
		.amdhsa_uses_dynamic_stack 0
		.amdhsa_enable_private_segment 0
		.amdhsa_system_sgpr_workgroup_id_x 1
		.amdhsa_system_sgpr_workgroup_id_y 0
		.amdhsa_system_sgpr_workgroup_id_z 0
		.amdhsa_system_sgpr_workgroup_info 0
		.amdhsa_system_vgpr_workitem_id 0
		.amdhsa_next_free_vgpr 1
		.amdhsa_next_free_sgpr 1
		.amdhsa_reserve_vcc 0
		.amdhsa_float_round_mode_32 0
		.amdhsa_float_round_mode_16_64 0
		.amdhsa_float_denorm_mode_32 3
		.amdhsa_float_denorm_mode_16_64 3
		.amdhsa_dx10_clamp 1
		.amdhsa_ieee_mode 1
		.amdhsa_fp16_overflow 0
		.amdhsa_workgroup_processor_mode 1
		.amdhsa_memory_ordered 1
		.amdhsa_forward_progress 0
		.amdhsa_shared_vgpr_count 0
		.amdhsa_exception_fp_ieee_invalid_op 0
		.amdhsa_exception_fp_denorm_src 0
		.amdhsa_exception_fp_ieee_div_zero 0
		.amdhsa_exception_fp_ieee_overflow 0
		.amdhsa_exception_fp_ieee_underflow 0
		.amdhsa_exception_fp_ieee_inexact 0
		.amdhsa_exception_int_div_zero 0
	.end_amdhsa_kernel
	.section	.text._ZN7rocprim17ROCPRIM_400000_NS6detail17trampoline_kernelINS0_14default_configENS1_32segmented_reduce_config_selectorIN3c108BFloat16EEEZNS1_21segmented_reduce_implIS3_PKS6_PS6_PKiS6_N6hipcub16HIPCUB_304000_NS6detail27convert_result_type_wrapperISA_SB_N2at6native12_GLOBAL__N_110CustomProdEEEEE10hipError_tPvRmT0_T1_jT2_SS_T4_T3_P12ihipStream_tbEUlT_E_NS1_11comp_targetILNS1_3genE8ELNS1_11target_archE1030ELNS1_3gpuE2ELNS1_3repE0EEENS1_30default_config_static_selectorELNS0_4arch9wavefront6targetE0EEEvSR_,"axG",@progbits,_ZN7rocprim17ROCPRIM_400000_NS6detail17trampoline_kernelINS0_14default_configENS1_32segmented_reduce_config_selectorIN3c108BFloat16EEEZNS1_21segmented_reduce_implIS3_PKS6_PS6_PKiS6_N6hipcub16HIPCUB_304000_NS6detail27convert_result_type_wrapperISA_SB_N2at6native12_GLOBAL__N_110CustomProdEEEEE10hipError_tPvRmT0_T1_jT2_SS_T4_T3_P12ihipStream_tbEUlT_E_NS1_11comp_targetILNS1_3genE8ELNS1_11target_archE1030ELNS1_3gpuE2ELNS1_3repE0EEENS1_30default_config_static_selectorELNS0_4arch9wavefront6targetE0EEEvSR_,comdat
.Lfunc_end143:
	.size	_ZN7rocprim17ROCPRIM_400000_NS6detail17trampoline_kernelINS0_14default_configENS1_32segmented_reduce_config_selectorIN3c108BFloat16EEEZNS1_21segmented_reduce_implIS3_PKS6_PS6_PKiS6_N6hipcub16HIPCUB_304000_NS6detail27convert_result_type_wrapperISA_SB_N2at6native12_GLOBAL__N_110CustomProdEEEEE10hipError_tPvRmT0_T1_jT2_SS_T4_T3_P12ihipStream_tbEUlT_E_NS1_11comp_targetILNS1_3genE8ELNS1_11target_archE1030ELNS1_3gpuE2ELNS1_3repE0EEENS1_30default_config_static_selectorELNS0_4arch9wavefront6targetE0EEEvSR_, .Lfunc_end143-_ZN7rocprim17ROCPRIM_400000_NS6detail17trampoline_kernelINS0_14default_configENS1_32segmented_reduce_config_selectorIN3c108BFloat16EEEZNS1_21segmented_reduce_implIS3_PKS6_PS6_PKiS6_N6hipcub16HIPCUB_304000_NS6detail27convert_result_type_wrapperISA_SB_N2at6native12_GLOBAL__N_110CustomProdEEEEE10hipError_tPvRmT0_T1_jT2_SS_T4_T3_P12ihipStream_tbEUlT_E_NS1_11comp_targetILNS1_3genE8ELNS1_11target_archE1030ELNS1_3gpuE2ELNS1_3repE0EEENS1_30default_config_static_selectorELNS0_4arch9wavefront6targetE0EEEvSR_
                                        ; -- End function
	.section	.AMDGPU.csdata,"",@progbits
; Kernel info:
; codeLenInByte = 0
; NumSgprs: 0
; NumVgprs: 0
; ScratchSize: 0
; MemoryBound: 0
; FloatMode: 240
; IeeeMode: 1
; LDSByteSize: 0 bytes/workgroup (compile time only)
; SGPRBlocks: 0
; VGPRBlocks: 0
; NumSGPRsForWavesPerEU: 1
; NumVGPRsForWavesPerEU: 1
; Occupancy: 16
; WaveLimiterHint : 0
; COMPUTE_PGM_RSRC2:SCRATCH_EN: 0
; COMPUTE_PGM_RSRC2:USER_SGPR: 15
; COMPUTE_PGM_RSRC2:TRAP_HANDLER: 0
; COMPUTE_PGM_RSRC2:TGID_X_EN: 1
; COMPUTE_PGM_RSRC2:TGID_Y_EN: 0
; COMPUTE_PGM_RSRC2:TGID_Z_EN: 0
; COMPUTE_PGM_RSRC2:TIDIG_COMP_CNT: 0
	.section	.text._ZN2at6native12_GLOBAL__N_129segment_reduce_forward_kernelIdlEEvNS0_13ReductionTypeEPT_PKS4_PKT0_SA_llbS4_lllllll,"axG",@progbits,_ZN2at6native12_GLOBAL__N_129segment_reduce_forward_kernelIdlEEvNS0_13ReductionTypeEPT_PKS4_PKT0_SA_llbS4_lllllll,comdat
	.globl	_ZN2at6native12_GLOBAL__N_129segment_reduce_forward_kernelIdlEEvNS0_13ReductionTypeEPT_PKS4_PKT0_SA_llbS4_lllllll ; -- Begin function _ZN2at6native12_GLOBAL__N_129segment_reduce_forward_kernelIdlEEvNS0_13ReductionTypeEPT_PKS4_PKT0_SA_llbS4_lllllll
	.p2align	8
	.type	_ZN2at6native12_GLOBAL__N_129segment_reduce_forward_kernelIdlEEvNS0_13ReductionTypeEPT_PKS4_PKT0_SA_llbS4_lllllll,@function
_ZN2at6native12_GLOBAL__N_129segment_reduce_forward_kernelIdlEEvNS0_13ReductionTypeEPT_PKS4_PKT0_SA_llbS4_lllllll: ; @_ZN2at6native12_GLOBAL__N_129segment_reduce_forward_kernelIdlEEvNS0_13ReductionTypeEPT_PKS4_PKT0_SA_llbS4_lllllll
; %bb.0:
	s_clause 0x2
	s_load_b128 s[36:39], s[0:1], 0x28
	s_load_b32 s2, s[0:1], 0x8c
	s_load_b512 s[16:31], s[0:1], 0x40
	v_mov_b32_e32 v2, 0
	s_delay_alu instid0(VALU_DEP_1)
	v_mov_b32_e32 v1, v2
	s_waitcnt lgkmcnt(0)
	s_and_b32 s2, s2, 0xffff
	s_mul_i32 s3, s18, s37
	s_mul_hi_u32 s4, s18, s36
	s_mul_i32 s5, s19, s36
	s_mul_i32 s6, s18, s36
	v_mad_u64_u32 v[4:5], null, s2, s15, v[0:1]
	s_add_i32 s2, s4, s3
	s_mul_i32 s3, s6, s21
	s_mul_hi_u32 s4, s6, s20
	s_add_i32 s2, s2, s5
	s_add_i32 s3, s4, s3
	s_mul_i32 s2, s2, s20
	s_delay_alu instid0(SALU_CYCLE_1) | instskip(SKIP_1) | instid1(SALU_CYCLE_1)
	s_add_i32 s3, s3, s2
	s_mul_i32 s2, s6, s20
	v_cmp_gt_i64_e32 vcc_lo, s[2:3], v[4:5]
	s_and_saveexec_b32 s2, vcc_lo
	s_cbranch_execz .LBB144_35
; %bb.1:
	v_or_b32_e32 v3, s21, v5
                                        ; implicit-def: $vgpr12_vgpr13
	s_mov_b32 s2, exec_lo
	s_delay_alu instid0(VALU_DEP_1)
	v_cmpx_ne_u64_e32 0, v[2:3]
	s_xor_b32 s3, exec_lo, s2
	s_cbranch_execz .LBB144_3
; %bb.2:
	s_ashr_i32 s4, s21, 31
	s_delay_alu instid0(SALU_CYCLE_1) | instskip(SKIP_2) | instid1(SALU_CYCLE_1)
	s_add_u32 s6, s20, s4
	s_mov_b32 s5, s4
	s_addc_u32 s7, s21, s4
	s_xor_b64 s[6:7], s[6:7], s[4:5]
	s_delay_alu instid0(SALU_CYCLE_1) | instskip(SKIP_3) | instid1(VALU_DEP_1)
	v_cvt_f32_u32_e32 v0, s6
	v_cvt_f32_u32_e32 v1, s7
	s_sub_u32 s2, 0, s6
	s_subb_u32 s5, 0, s7
	v_fmamk_f32 v0, v1, 0x4f800000, v0
	s_delay_alu instid0(VALU_DEP_1) | instskip(SKIP_2) | instid1(VALU_DEP_1)
	v_rcp_f32_e32 v0, v0
	s_waitcnt_depctr 0xfff
	v_mul_f32_e32 v0, 0x5f7ffffc, v0
	v_mul_f32_e32 v1, 0x2f800000, v0
	s_delay_alu instid0(VALU_DEP_1) | instskip(NEXT) | instid1(VALU_DEP_1)
	v_trunc_f32_e32 v1, v1
	v_fmamk_f32 v0, v1, 0xcf800000, v0
	v_cvt_u32_f32_e32 v1, v1
	s_delay_alu instid0(VALU_DEP_2) | instskip(NEXT) | instid1(VALU_DEP_2)
	v_cvt_u32_f32_e32 v0, v0
	v_mul_lo_u32 v2, s2, v1
	s_delay_alu instid0(VALU_DEP_2) | instskip(SKIP_1) | instid1(VALU_DEP_2)
	v_mul_hi_u32 v3, s2, v0
	v_mul_lo_u32 v6, s5, v0
	v_add_nc_u32_e32 v2, v3, v2
	v_mul_lo_u32 v3, s2, v0
	s_delay_alu instid0(VALU_DEP_2) | instskip(NEXT) | instid1(VALU_DEP_2)
	v_add_nc_u32_e32 v2, v2, v6
	v_mul_hi_u32 v6, v0, v3
	s_delay_alu instid0(VALU_DEP_2)
	v_mul_lo_u32 v7, v0, v2
	v_mul_hi_u32 v8, v0, v2
	v_mul_hi_u32 v9, v1, v3
	v_mul_lo_u32 v3, v1, v3
	v_mul_hi_u32 v10, v1, v2
	v_mul_lo_u32 v2, v1, v2
	v_add_co_u32 v6, vcc_lo, v6, v7
	v_add_co_ci_u32_e32 v7, vcc_lo, 0, v8, vcc_lo
	s_delay_alu instid0(VALU_DEP_2) | instskip(NEXT) | instid1(VALU_DEP_2)
	v_add_co_u32 v3, vcc_lo, v6, v3
	v_add_co_ci_u32_e32 v3, vcc_lo, v7, v9, vcc_lo
	v_add_co_ci_u32_e32 v6, vcc_lo, 0, v10, vcc_lo
	v_ashrrev_i32_e32 v9, 31, v5
	s_delay_alu instid0(VALU_DEP_3) | instskip(NEXT) | instid1(VALU_DEP_3)
	v_add_co_u32 v2, vcc_lo, v3, v2
	v_add_co_ci_u32_e32 v3, vcc_lo, 0, v6, vcc_lo
	s_delay_alu instid0(VALU_DEP_2) | instskip(NEXT) | instid1(VALU_DEP_2)
	v_add_co_u32 v0, vcc_lo, v0, v2
	v_add_co_ci_u32_e32 v1, vcc_lo, v1, v3, vcc_lo
	s_delay_alu instid0(VALU_DEP_2) | instskip(SKIP_1) | instid1(VALU_DEP_3)
	v_mul_hi_u32 v2, s2, v0
	v_mul_lo_u32 v6, s5, v0
	v_mul_lo_u32 v3, s2, v1
	s_delay_alu instid0(VALU_DEP_1) | instskip(SKIP_1) | instid1(VALU_DEP_2)
	v_add_nc_u32_e32 v2, v2, v3
	v_mul_lo_u32 v3, s2, v0
	v_add_nc_u32_e32 v2, v2, v6
	s_delay_alu instid0(VALU_DEP_2) | instskip(NEXT) | instid1(VALU_DEP_2)
	v_mul_hi_u32 v6, v0, v3
	v_mul_lo_u32 v7, v0, v2
	v_mul_hi_u32 v8, v0, v2
	v_mul_hi_u32 v10, v1, v3
	v_mul_lo_u32 v3, v1, v3
	v_mul_hi_u32 v11, v1, v2
	v_mul_lo_u32 v2, v1, v2
	v_add_co_u32 v6, vcc_lo, v6, v7
	v_add_co_ci_u32_e32 v7, vcc_lo, 0, v8, vcc_lo
	s_delay_alu instid0(VALU_DEP_2) | instskip(NEXT) | instid1(VALU_DEP_2)
	v_add_co_u32 v3, vcc_lo, v6, v3
	v_add_co_ci_u32_e32 v3, vcc_lo, v7, v10, vcc_lo
	v_add_co_ci_u32_e32 v6, vcc_lo, 0, v11, vcc_lo
	v_add_co_u32 v7, vcc_lo, v4, v9
	v_add_co_ci_u32_e32 v8, vcc_lo, v5, v9, vcc_lo
	s_delay_alu instid0(VALU_DEP_4) | instskip(NEXT) | instid1(VALU_DEP_4)
	v_add_co_u32 v2, vcc_lo, v3, v2
	v_add_co_ci_u32_e32 v3, vcc_lo, 0, v6, vcc_lo
	s_delay_alu instid0(VALU_DEP_4) | instskip(NEXT) | instid1(VALU_DEP_3)
	v_xor_b32_e32 v10, v7, v9
	v_add_co_u32 v6, vcc_lo, v0, v2
	s_delay_alu instid0(VALU_DEP_3) | instskip(SKIP_1) | instid1(VALU_DEP_3)
	v_add_co_ci_u32_e32 v11, vcc_lo, v1, v3, vcc_lo
	v_xor_b32_e32 v8, v8, v9
	v_mul_hi_u32 v12, v10, v6
	s_delay_alu instid0(VALU_DEP_3) | instskip(NEXT) | instid1(VALU_DEP_3)
	v_mad_u64_u32 v[0:1], null, v10, v11, 0
	v_mad_u64_u32 v[2:3], null, v8, v6, 0
	;; [unrolled: 1-line block ×3, first 2 shown]
	s_delay_alu instid0(VALU_DEP_3) | instskip(NEXT) | instid1(VALU_DEP_4)
	v_add_co_u32 v0, vcc_lo, v12, v0
	v_add_co_ci_u32_e32 v1, vcc_lo, 0, v1, vcc_lo
	s_delay_alu instid0(VALU_DEP_2) | instskip(NEXT) | instid1(VALU_DEP_2)
	v_add_co_u32 v0, vcc_lo, v0, v2
	v_add_co_ci_u32_e32 v0, vcc_lo, v1, v3, vcc_lo
	v_add_co_ci_u32_e32 v1, vcc_lo, 0, v7, vcc_lo
	s_delay_alu instid0(VALU_DEP_2) | instskip(NEXT) | instid1(VALU_DEP_2)
	v_add_co_u32 v2, vcc_lo, v0, v6
	v_add_co_ci_u32_e32 v3, vcc_lo, 0, v1, vcc_lo
	s_delay_alu instid0(VALU_DEP_2) | instskip(SKIP_1) | instid1(VALU_DEP_3)
	v_mul_lo_u32 v6, s7, v2
	v_mad_u64_u32 v[0:1], null, s6, v2, 0
	v_mul_lo_u32 v7, s6, v3
	s_delay_alu instid0(VALU_DEP_2) | instskip(NEXT) | instid1(VALU_DEP_2)
	v_sub_co_u32 v0, vcc_lo, v10, v0
	v_add3_u32 v1, v1, v7, v6
	s_delay_alu instid0(VALU_DEP_1) | instskip(NEXT) | instid1(VALU_DEP_1)
	v_sub_nc_u32_e32 v6, v8, v1
	v_subrev_co_ci_u32_e64 v6, s2, s7, v6, vcc_lo
	v_add_co_u32 v7, s2, v2, 2
	s_delay_alu instid0(VALU_DEP_1) | instskip(SKIP_3) | instid1(VALU_DEP_3)
	v_add_co_ci_u32_e64 v10, s2, 0, v3, s2
	v_sub_co_u32 v11, s2, v0, s6
	v_sub_co_ci_u32_e32 v1, vcc_lo, v8, v1, vcc_lo
	v_subrev_co_ci_u32_e64 v6, s2, 0, v6, s2
	v_cmp_le_u32_e32 vcc_lo, s6, v11
	s_delay_alu instid0(VALU_DEP_3) | instskip(SKIP_1) | instid1(VALU_DEP_4)
	v_cmp_eq_u32_e64 s2, s7, v1
	v_cndmask_b32_e64 v8, 0, -1, vcc_lo
	v_cmp_le_u32_e32 vcc_lo, s7, v6
	v_cndmask_b32_e64 v11, 0, -1, vcc_lo
	v_cmp_le_u32_e32 vcc_lo, s6, v0
	;; [unrolled: 2-line block ×3, first 2 shown]
	v_cndmask_b32_e64 v12, 0, -1, vcc_lo
	v_cmp_eq_u32_e32 vcc_lo, s7, v6
	s_delay_alu instid0(VALU_DEP_2) | instskip(SKIP_3) | instid1(VALU_DEP_3)
	v_cndmask_b32_e64 v0, v12, v0, s2
	v_cndmask_b32_e32 v6, v11, v8, vcc_lo
	v_add_co_u32 v8, vcc_lo, v2, 1
	v_add_co_ci_u32_e32 v11, vcc_lo, 0, v3, vcc_lo
	v_cmp_ne_u32_e32 vcc_lo, 0, v6
	s_delay_alu instid0(VALU_DEP_2) | instskip(SKIP_2) | instid1(VALU_DEP_3)
	v_dual_cndmask_b32 v1, v11, v10 :: v_dual_cndmask_b32 v6, v8, v7
	v_cmp_ne_u32_e32 vcc_lo, 0, v0
	v_xor_b32_e32 v0, s4, v9
	v_dual_cndmask_b32 v2, v2, v6 :: v_dual_cndmask_b32 v1, v3, v1
	s_delay_alu instid0(VALU_DEP_1) | instskip(NEXT) | instid1(VALU_DEP_2)
	v_xor_b32_e32 v2, v2, v0
	v_xor_b32_e32 v1, v1, v0
	s_delay_alu instid0(VALU_DEP_2) | instskip(NEXT) | instid1(VALU_DEP_2)
	v_sub_co_u32 v12, vcc_lo, v2, v0
	v_sub_co_ci_u32_e32 v13, vcc_lo, v1, v0, vcc_lo
.LBB144_3:
	s_or_saveexec_b32 s2, s3
	s_load_b256 s[4:11], s[0:1], 0x8
	s_xor_b32 exec_lo, exec_lo, s2
	s_cbranch_execz .LBB144_5
; %bb.4:
	v_cvt_f32_u32_e32 v0, s20
	s_sub_i32 s3, 0, s20
	v_mov_b32_e32 v13, 0
	s_delay_alu instid0(VALU_DEP_2) | instskip(SKIP_2) | instid1(VALU_DEP_1)
	v_rcp_iflag_f32_e32 v0, v0
	s_waitcnt_depctr 0xfff
	v_mul_f32_e32 v0, 0x4f7ffffe, v0
	v_cvt_u32_f32_e32 v0, v0
	s_delay_alu instid0(VALU_DEP_1) | instskip(NEXT) | instid1(VALU_DEP_1)
	v_mul_lo_u32 v1, s3, v0
	v_mul_hi_u32 v1, v0, v1
	s_delay_alu instid0(VALU_DEP_1) | instskip(NEXT) | instid1(VALU_DEP_1)
	v_add_nc_u32_e32 v0, v0, v1
	v_mul_hi_u32 v0, v4, v0
	s_delay_alu instid0(VALU_DEP_1) | instskip(SKIP_1) | instid1(VALU_DEP_2)
	v_mul_lo_u32 v1, v0, s20
	v_add_nc_u32_e32 v2, 1, v0
	v_sub_nc_u32_e32 v1, v4, v1
	s_delay_alu instid0(VALU_DEP_1) | instskip(SKIP_1) | instid1(VALU_DEP_2)
	v_subrev_nc_u32_e32 v3, s20, v1
	v_cmp_le_u32_e32 vcc_lo, s20, v1
	v_dual_cndmask_b32 v1, v1, v3 :: v_dual_cndmask_b32 v0, v0, v2
	s_delay_alu instid0(VALU_DEP_1) | instskip(NEXT) | instid1(VALU_DEP_2)
	v_cmp_le_u32_e32 vcc_lo, s20, v1
	v_add_nc_u32_e32 v2, 1, v0
	s_delay_alu instid0(VALU_DEP_1)
	v_cndmask_b32_e32 v12, v0, v2, vcc_lo
.LBB144_5:
	s_or_b32 exec_lo, exec_lo, s2
	v_or_b32_e32 v1, s37, v13
	v_mov_b32_e32 v0, 0
                                        ; implicit-def: $vgpr6_vgpr7
	s_mov_b32 s2, exec_lo
	s_delay_alu instid0(VALU_DEP_1)
	v_cmpx_ne_u64_e32 0, v[0:1]
	s_xor_b32 s3, exec_lo, s2
	s_cbranch_execz .LBB144_7
; %bb.6:
	s_ashr_i32 s12, s37, 31
	s_delay_alu instid0(SALU_CYCLE_1) | instskip(SKIP_2) | instid1(SALU_CYCLE_1)
	s_add_u32 s14, s36, s12
	s_mov_b32 s13, s12
	s_addc_u32 s15, s37, s12
	s_xor_b64 s[14:15], s[14:15], s[12:13]
	s_delay_alu instid0(SALU_CYCLE_1) | instskip(SKIP_3) | instid1(VALU_DEP_1)
	v_cvt_f32_u32_e32 v0, s14
	v_cvt_f32_u32_e32 v1, s15
	s_sub_u32 s2, 0, s14
	s_subb_u32 s13, 0, s15
	v_fmamk_f32 v0, v1, 0x4f800000, v0
	s_delay_alu instid0(VALU_DEP_1) | instskip(SKIP_2) | instid1(VALU_DEP_1)
	v_rcp_f32_e32 v0, v0
	s_waitcnt_depctr 0xfff
	v_mul_f32_e32 v0, 0x5f7ffffc, v0
	v_mul_f32_e32 v1, 0x2f800000, v0
	s_delay_alu instid0(VALU_DEP_1) | instskip(NEXT) | instid1(VALU_DEP_1)
	v_trunc_f32_e32 v1, v1
	v_fmamk_f32 v0, v1, 0xcf800000, v0
	v_cvt_u32_f32_e32 v1, v1
	s_delay_alu instid0(VALU_DEP_2) | instskip(NEXT) | instid1(VALU_DEP_2)
	v_cvt_u32_f32_e32 v0, v0
	v_mul_lo_u32 v2, s2, v1
	s_delay_alu instid0(VALU_DEP_2) | instskip(SKIP_1) | instid1(VALU_DEP_2)
	v_mul_hi_u32 v3, s2, v0
	v_mul_lo_u32 v6, s13, v0
	v_add_nc_u32_e32 v2, v3, v2
	v_mul_lo_u32 v3, s2, v0
	s_delay_alu instid0(VALU_DEP_2) | instskip(NEXT) | instid1(VALU_DEP_2)
	v_add_nc_u32_e32 v2, v2, v6
	v_mul_hi_u32 v6, v0, v3
	s_delay_alu instid0(VALU_DEP_2)
	v_mul_lo_u32 v7, v0, v2
	v_mul_hi_u32 v8, v0, v2
	v_mul_hi_u32 v9, v1, v3
	v_mul_lo_u32 v3, v1, v3
	v_mul_hi_u32 v10, v1, v2
	v_mul_lo_u32 v2, v1, v2
	v_add_co_u32 v6, vcc_lo, v6, v7
	v_add_co_ci_u32_e32 v7, vcc_lo, 0, v8, vcc_lo
	s_delay_alu instid0(VALU_DEP_2) | instskip(NEXT) | instid1(VALU_DEP_2)
	v_add_co_u32 v3, vcc_lo, v6, v3
	v_add_co_ci_u32_e32 v3, vcc_lo, v7, v9, vcc_lo
	v_add_co_ci_u32_e32 v6, vcc_lo, 0, v10, vcc_lo
	v_ashrrev_i32_e32 v9, 31, v13
	s_delay_alu instid0(VALU_DEP_3) | instskip(NEXT) | instid1(VALU_DEP_3)
	v_add_co_u32 v2, vcc_lo, v3, v2
	v_add_co_ci_u32_e32 v3, vcc_lo, 0, v6, vcc_lo
	s_delay_alu instid0(VALU_DEP_2) | instskip(NEXT) | instid1(VALU_DEP_2)
	v_add_co_u32 v0, vcc_lo, v0, v2
	v_add_co_ci_u32_e32 v1, vcc_lo, v1, v3, vcc_lo
	s_delay_alu instid0(VALU_DEP_2) | instskip(SKIP_1) | instid1(VALU_DEP_3)
	v_mul_hi_u32 v2, s2, v0
	v_mul_lo_u32 v6, s13, v0
	v_mul_lo_u32 v3, s2, v1
	s_delay_alu instid0(VALU_DEP_1) | instskip(SKIP_1) | instid1(VALU_DEP_2)
	v_add_nc_u32_e32 v2, v2, v3
	v_mul_lo_u32 v3, s2, v0
	v_add_nc_u32_e32 v2, v2, v6
	s_delay_alu instid0(VALU_DEP_2) | instskip(NEXT) | instid1(VALU_DEP_2)
	v_mul_hi_u32 v6, v0, v3
	v_mul_lo_u32 v7, v0, v2
	v_mul_hi_u32 v8, v0, v2
	v_mul_hi_u32 v10, v1, v3
	v_mul_lo_u32 v3, v1, v3
	v_mul_hi_u32 v11, v1, v2
	v_mul_lo_u32 v2, v1, v2
	v_add_co_u32 v6, vcc_lo, v6, v7
	v_add_co_ci_u32_e32 v7, vcc_lo, 0, v8, vcc_lo
	s_delay_alu instid0(VALU_DEP_2) | instskip(NEXT) | instid1(VALU_DEP_2)
	v_add_co_u32 v3, vcc_lo, v6, v3
	v_add_co_ci_u32_e32 v3, vcc_lo, v7, v10, vcc_lo
	v_add_co_ci_u32_e32 v6, vcc_lo, 0, v11, vcc_lo
	v_add_co_u32 v7, vcc_lo, v12, v9
	v_add_co_ci_u32_e32 v8, vcc_lo, v13, v9, vcc_lo
	s_delay_alu instid0(VALU_DEP_4) | instskip(NEXT) | instid1(VALU_DEP_4)
	v_add_co_u32 v2, vcc_lo, v3, v2
	v_add_co_ci_u32_e32 v3, vcc_lo, 0, v6, vcc_lo
	s_delay_alu instid0(VALU_DEP_4) | instskip(NEXT) | instid1(VALU_DEP_3)
	v_xor_b32_e32 v10, v7, v9
	v_add_co_u32 v6, vcc_lo, v0, v2
	s_delay_alu instid0(VALU_DEP_3) | instskip(SKIP_1) | instid1(VALU_DEP_3)
	v_add_co_ci_u32_e32 v11, vcc_lo, v1, v3, vcc_lo
	v_xor_b32_e32 v8, v8, v9
	v_mul_hi_u32 v14, v10, v6
	s_delay_alu instid0(VALU_DEP_3) | instskip(NEXT) | instid1(VALU_DEP_3)
	v_mad_u64_u32 v[0:1], null, v10, v11, 0
	v_mad_u64_u32 v[2:3], null, v8, v6, 0
	;; [unrolled: 1-line block ×3, first 2 shown]
	s_delay_alu instid0(VALU_DEP_3) | instskip(NEXT) | instid1(VALU_DEP_4)
	v_add_co_u32 v0, vcc_lo, v14, v0
	v_add_co_ci_u32_e32 v1, vcc_lo, 0, v1, vcc_lo
	s_delay_alu instid0(VALU_DEP_2) | instskip(NEXT) | instid1(VALU_DEP_2)
	v_add_co_u32 v0, vcc_lo, v0, v2
	v_add_co_ci_u32_e32 v0, vcc_lo, v1, v3, vcc_lo
	v_add_co_ci_u32_e32 v1, vcc_lo, 0, v7, vcc_lo
	s_delay_alu instid0(VALU_DEP_2) | instskip(NEXT) | instid1(VALU_DEP_2)
	v_add_co_u32 v2, vcc_lo, v0, v6
	v_add_co_ci_u32_e32 v3, vcc_lo, 0, v1, vcc_lo
	s_delay_alu instid0(VALU_DEP_2) | instskip(SKIP_1) | instid1(VALU_DEP_3)
	v_mul_lo_u32 v6, s15, v2
	v_mad_u64_u32 v[0:1], null, s14, v2, 0
	v_mul_lo_u32 v7, s14, v3
	s_delay_alu instid0(VALU_DEP_2) | instskip(NEXT) | instid1(VALU_DEP_2)
	v_sub_co_u32 v0, vcc_lo, v10, v0
	v_add3_u32 v1, v1, v7, v6
	s_delay_alu instid0(VALU_DEP_1) | instskip(NEXT) | instid1(VALU_DEP_1)
	v_sub_nc_u32_e32 v6, v8, v1
	v_subrev_co_ci_u32_e64 v6, s2, s15, v6, vcc_lo
	v_add_co_u32 v7, s2, v2, 2
	s_delay_alu instid0(VALU_DEP_1) | instskip(SKIP_3) | instid1(VALU_DEP_3)
	v_add_co_ci_u32_e64 v10, s2, 0, v3, s2
	v_sub_co_u32 v11, s2, v0, s14
	v_sub_co_ci_u32_e32 v1, vcc_lo, v8, v1, vcc_lo
	v_subrev_co_ci_u32_e64 v6, s2, 0, v6, s2
	v_cmp_le_u32_e32 vcc_lo, s14, v11
	s_delay_alu instid0(VALU_DEP_3) | instskip(SKIP_1) | instid1(VALU_DEP_4)
	v_cmp_eq_u32_e64 s2, s15, v1
	v_cndmask_b32_e64 v8, 0, -1, vcc_lo
	v_cmp_le_u32_e32 vcc_lo, s15, v6
	v_cndmask_b32_e64 v11, 0, -1, vcc_lo
	v_cmp_le_u32_e32 vcc_lo, s14, v0
	;; [unrolled: 2-line block ×3, first 2 shown]
	v_cndmask_b32_e64 v14, 0, -1, vcc_lo
	v_cmp_eq_u32_e32 vcc_lo, s15, v6
	s_delay_alu instid0(VALU_DEP_2) | instskip(SKIP_3) | instid1(VALU_DEP_3)
	v_cndmask_b32_e64 v0, v14, v0, s2
	v_cndmask_b32_e32 v6, v11, v8, vcc_lo
	v_add_co_u32 v8, vcc_lo, v2, 1
	v_add_co_ci_u32_e32 v11, vcc_lo, 0, v3, vcc_lo
	v_cmp_ne_u32_e32 vcc_lo, 0, v6
	s_delay_alu instid0(VALU_DEP_2) | instskip(SKIP_2) | instid1(VALU_DEP_3)
	v_dual_cndmask_b32 v1, v11, v10 :: v_dual_cndmask_b32 v6, v8, v7
	v_cmp_ne_u32_e32 vcc_lo, 0, v0
	v_xor_b32_e32 v0, s12, v9
	v_dual_cndmask_b32 v2, v2, v6 :: v_dual_cndmask_b32 v1, v3, v1
	s_delay_alu instid0(VALU_DEP_1) | instskip(NEXT) | instid1(VALU_DEP_2)
	v_xor_b32_e32 v2, v2, v0
	v_xor_b32_e32 v1, v1, v0
	s_delay_alu instid0(VALU_DEP_2) | instskip(NEXT) | instid1(VALU_DEP_2)
	v_sub_co_u32 v6, vcc_lo, v2, v0
	v_sub_co_ci_u32_e32 v7, vcc_lo, v1, v0, vcc_lo
.LBB144_7:
	s_and_not1_saveexec_b32 s2, s3
	s_cbranch_execz .LBB144_9
; %bb.8:
	v_cvt_f32_u32_e32 v0, s36
	s_sub_i32 s3, 0, s36
	v_mov_b32_e32 v7, 0
	s_delay_alu instid0(VALU_DEP_2) | instskip(SKIP_2) | instid1(VALU_DEP_1)
	v_rcp_iflag_f32_e32 v0, v0
	s_waitcnt_depctr 0xfff
	v_mul_f32_e32 v0, 0x4f7ffffe, v0
	v_cvt_u32_f32_e32 v0, v0
	s_delay_alu instid0(VALU_DEP_1) | instskip(NEXT) | instid1(VALU_DEP_1)
	v_mul_lo_u32 v1, s3, v0
	v_mul_hi_u32 v1, v0, v1
	s_delay_alu instid0(VALU_DEP_1) | instskip(NEXT) | instid1(VALU_DEP_1)
	v_add_nc_u32_e32 v0, v0, v1
	v_mul_hi_u32 v0, v12, v0
	s_delay_alu instid0(VALU_DEP_1) | instskip(SKIP_1) | instid1(VALU_DEP_2)
	v_mul_lo_u32 v1, v0, s36
	v_add_nc_u32_e32 v2, 1, v0
	v_sub_nc_u32_e32 v1, v12, v1
	s_delay_alu instid0(VALU_DEP_1) | instskip(SKIP_1) | instid1(VALU_DEP_2)
	v_subrev_nc_u32_e32 v3, s36, v1
	v_cmp_le_u32_e32 vcc_lo, s36, v1
	v_dual_cndmask_b32 v1, v1, v3 :: v_dual_cndmask_b32 v0, v0, v2
	s_delay_alu instid0(VALU_DEP_1) | instskip(NEXT) | instid1(VALU_DEP_2)
	v_cmp_le_u32_e32 vcc_lo, s36, v1
	v_add_nc_u32_e32 v2, 1, v0
	s_delay_alu instid0(VALU_DEP_1)
	v_cndmask_b32_e32 v6, v0, v2, vcc_lo
.LBB144_9:
	s_or_b32 exec_lo, exec_lo, s2
	s_add_u32 s2, s36, 1
	s_addc_u32 s13, s37, 0
	s_mul_i32 s3, s2, s31
	s_mul_hi_u32 s12, s2, s30
	s_mul_i32 s13, s13, s30
	s_add_i32 s3, s12, s3
	s_mul_i32 s2, s2, s30
	s_add_i32 s3, s3, s13
	v_mul_lo_u32 v2, v7, s36
	v_mul_lo_u32 v3, v6, s37
	v_mad_u64_u32 v[14:15], null, v6, s36, 0
	v_mul_lo_u32 v8, s3, v6
	v_mul_lo_u32 v9, s2, v7
	v_mad_u64_u32 v[0:1], null, s2, v6, 0
	s_load_b32 s3, s[0:1], 0x0
	v_mul_lo_u32 v18, v12, s21
	v_add3_u32 v15, v15, v3, v2
	v_mad_u64_u32 v[10:11], null, v12, s20, 0
	s_delay_alu instid0(VALU_DEP_4) | instskip(SKIP_1) | instid1(VALU_DEP_4)
	v_add3_u32 v1, v1, v9, v8
	v_sub_co_u32 v8, vcc_lo, v12, v14
	v_sub_co_ci_u32_e32 v9, vcc_lo, v13, v15, vcc_lo
	s_delay_alu instid0(VALU_DEP_3) | instskip(SKIP_1) | instid1(VALU_DEP_3)
	v_lshlrev_b64 v[0:1], 3, v[0:1]
	v_mul_lo_u32 v13, v13, s20
	v_lshlrev_b64 v[16:17], 3, v[8:9]
	s_waitcnt lgkmcnt(0)
	s_delay_alu instid0(VALU_DEP_3) | instskip(NEXT) | instid1(VALU_DEP_4)
	v_add_co_u32 v0, vcc_lo, s10, v0
	v_add_co_ci_u32_e32 v1, vcc_lo, s11, v1, vcc_lo
	s_delay_alu instid0(VALU_DEP_4) | instskip(NEXT) | instid1(VALU_DEP_3)
	v_add3_u32 v11, v11, v18, v13
	v_add_co_u32 v0, vcc_lo, v0, v16
	s_delay_alu instid0(VALU_DEP_3)
	v_add_co_ci_u32_e32 v1, vcc_lo, v1, v17, vcc_lo
	v_dual_mov_b32 v12, s16 :: v_dual_mov_b32 v13, s17
	s_mov_b32 s10, exec_lo
	global_load_b128 v[0:3], v[0:1], off
	s_waitcnt vmcnt(0)
	v_cmpx_lt_i64_e64 v[0:1], v[2:3]
	s_cbranch_execz .LBB144_28
; %bb.10:
	v_mul_lo_u32 v18, v7, s24
	v_mul_lo_u32 v19, v6, s25
	v_mad_u64_u32 v[12:13], null, v6, s24, 0
	s_cmp_lg_u32 s3, 0
	s_mov_b32 s12, 0
	s_cselect_b32 s11, -1, 0
	s_and_b32 s2, s3, -3
	s_delay_alu instid0(SALU_CYCLE_1) | instskip(NEXT) | instid1(VALU_DEP_1)
	s_cmp_lg_u32 s2, 1
	v_add3_u32 v13, v13, v19, v18
	v_lshlrev_b64 v[18:19], 3, v[0:1]
	s_cselect_b32 s13, -1, 0
	s_delay_alu instid0(VALU_DEP_2) | instskip(NEXT) | instid1(VALU_DEP_1)
	v_lshlrev_b64 v[12:13], 3, v[12:13]
	v_add_co_u32 v20, vcc_lo, v12, v18
	s_delay_alu instid0(VALU_DEP_2) | instskip(SKIP_1) | instid1(VALU_DEP_3)
	v_add_co_ci_u32_e32 v18, vcc_lo, v13, v19, vcc_lo
	v_lshlrev_b64 v[12:13], 3, v[4:5]
	v_mul_lo_u32 v22, s23, v20
	s_delay_alu instid0(VALU_DEP_3) | instskip(NEXT) | instid1(VALU_DEP_3)
	v_mul_lo_u32 v21, s22, v18
	v_mad_u64_u32 v[18:19], null, s22, v20, v[12:13]
	v_lshlrev_b64 v[12:13], 3, v[10:11]
	s_delay_alu instid0(VALU_DEP_2) | instskip(NEXT) | instid1(VALU_DEP_2)
	v_add3_u32 v19, v22, v19, v21
	v_sub_co_u32 v12, vcc_lo, v18, v12
	v_dual_mov_b32 v21, s17 :: v_dual_mov_b32 v20, s16
	s_delay_alu instid0(VALU_DEP_3) | instskip(NEXT) | instid1(VALU_DEP_3)
	v_sub_co_ci_u32_e32 v13, vcc_lo, v19, v13, vcc_lo
	v_add_co_u32 v18, vcc_lo, s6, v12
	s_delay_alu instid0(VALU_DEP_2)
	v_add_co_ci_u32_e32 v19, vcc_lo, s7, v13, vcc_lo
	s_lshl_b64 s[6:7], s[22:23], 3
	s_branch .LBB144_12
.LBB144_11:                             ;   in Loop: Header=BB144_12 Depth=1
	v_add_co_u32 v0, vcc_lo, v0, 1
	v_add_co_ci_u32_e32 v1, vcc_lo, 0, v1, vcc_lo
	v_add_co_u32 v18, s2, v18, s6
	s_delay_alu instid0(VALU_DEP_1) | instskip(NEXT) | instid1(VALU_DEP_3)
	v_add_co_ci_u32_e64 v19, s2, s7, v19, s2
	v_cmp_ge_i64_e32 vcc_lo, v[0:1], v[2:3]
	v_dual_mov_b32 v21, v13 :: v_dual_mov_b32 v20, v12
	s_or_b32 s12, vcc_lo, s12
	s_delay_alu instid0(SALU_CYCLE_1)
	s_and_not1_b32 exec_lo, exec_lo, s12
	s_cbranch_execz .LBB144_27
.LBB144_12:                             ; =>This Inner Loop Header: Depth=1
	global_load_b64 v[22:23], v[18:19], off
	s_and_b32 vcc_lo, exec_lo, s11
	s_cbranch_vccz .LBB144_18
; %bb.13:                               ;   in Loop: Header=BB144_12 Depth=1
	s_and_b32 vcc_lo, exec_lo, s13
	s_cbranch_vccz .LBB144_19
; %bb.14:                               ;   in Loop: Header=BB144_12 Depth=1
	s_cmp_lt_i32 s3, 4
	s_cbranch_scc1 .LBB144_20
; %bb.15:                               ;   in Loop: Header=BB144_12 Depth=1
	v_dual_mov_b32 v12, v20 :: v_dual_mov_b32 v13, v21
	s_cmp_eq_u32 s3, 4
	s_cbranch_scc0 .LBB144_17
; %bb.16:                               ;   in Loop: Header=BB144_12 Depth=1
	s_waitcnt vmcnt(0)
	v_mul_f64 v[12:13], v[22:23], v[20:21]
.LBB144_17:                             ;   in Loop: Header=BB144_12 Depth=1
	s_cbranch_execz .LBB144_21
	s_branch .LBB144_23
.LBB144_18:                             ;   in Loop: Header=BB144_12 Depth=1
                                        ; implicit-def: $vgpr12_vgpr13
	s_branch .LBB144_26
.LBB144_19:                             ;   in Loop: Header=BB144_12 Depth=1
                                        ; implicit-def: $vgpr12_vgpr13
	s_cbranch_execnz .LBB144_24
	s_branch .LBB144_25
.LBB144_20:                             ;   in Loop: Header=BB144_12 Depth=1
                                        ; implicit-def: $vgpr12_vgpr13
.LBB144_21:                             ;   in Loop: Header=BB144_12 Depth=1
	v_dual_mov_b32 v12, v20 :: v_dual_mov_b32 v13, v21
	s_cmp_lg_u32 s3, 2
	s_cbranch_scc1 .LBB144_23
; %bb.22:                               ;   in Loop: Header=BB144_12 Depth=1
	s_waitcnt vmcnt(0)
	v_cmp_u_f64_e32 vcc_lo, v[22:23], v[22:23]
	v_cmp_lt_f64_e64 s2, v[22:23], v[20:21]
	s_delay_alu instid0(VALU_DEP_1)
	s_or_b32 vcc_lo, vcc_lo, s2
	v_dual_cndmask_b32 v13, v21, v23 :: v_dual_cndmask_b32 v12, v20, v22
.LBB144_23:                             ;   in Loop: Header=BB144_12 Depth=1
	s_branch .LBB144_25
.LBB144_24:                             ;   in Loop: Header=BB144_12 Depth=1
	s_waitcnt vmcnt(0)
	v_add_f64 v[12:13], v[22:23], v[20:21]
.LBB144_25:                             ;   in Loop: Header=BB144_12 Depth=1
	s_cbranch_execnz .LBB144_11
.LBB144_26:                             ;   in Loop: Header=BB144_12 Depth=1
	s_waitcnt vmcnt(0)
	v_cmp_u_f64_e32 vcc_lo, v[22:23], v[22:23]
	v_cmp_lt_f64_e64 s2, v[20:21], v[22:23]
	s_delay_alu instid0(VALU_DEP_1)
	s_or_b32 vcc_lo, vcc_lo, s2
	v_dual_cndmask_b32 v13, v21, v23 :: v_dual_cndmask_b32 v12, v20, v22
	s_branch .LBB144_11
.LBB144_27:
	s_or_b32 exec_lo, exec_lo, s12
.LBB144_28:
	s_delay_alu instid0(SALU_CYCLE_1) | instskip(SKIP_4) | instid1(VALU_DEP_1)
	s_or_b32 exec_lo, exec_lo, s10
	v_mul_lo_u32 v2, v15, s38
	v_mul_lo_u32 v3, v14, s39
	v_mad_u64_u32 v[0:1], null, v14, s38, 0
	s_mov_b32 s2, exec_lo
	v_add3_u32 v1, v1, v3, v2
	s_delay_alu instid0(VALU_DEP_1) | instskip(NEXT) | instid1(VALU_DEP_1)
	v_lshlrev_b64 v[0:1], 3, v[0:1]
	v_add_co_u32 v0, vcc_lo, s8, v0
	s_delay_alu instid0(VALU_DEP_2) | instskip(NEXT) | instid1(VALU_DEP_2)
	v_add_co_ci_u32_e32 v1, vcc_lo, s9, v1, vcc_lo
	v_add_co_u32 v0, vcc_lo, v0, v16
	s_delay_alu instid0(VALU_DEP_2)
	v_add_co_ci_u32_e32 v1, vcc_lo, v1, v17, vcc_lo
	global_load_b64 v[2:3], v[0:1], off
	s_waitcnt vmcnt(0)
	v_cmpx_lt_i64_e32 -1, v[2:3]
	s_xor_b32 s2, exec_lo, s2
	s_cbranch_execz .LBB144_34
; %bb.29:
	s_load_b32 s0, s[0:1], 0x38
	v_cmp_ne_u64_e32 vcc_lo, 0, v[2:3]
	v_mov_b32_e32 v0, 0
	v_mov_b32_e32 v1, 0x7ff80000
	s_waitcnt lgkmcnt(0)
	s_bitcmp1_b32 s0, 0
	s_cselect_b32 s0, -1, 0
	s_cmp_lg_u32 s3, 1
	s_cselect_b32 s1, -1, 0
	s_delay_alu instid0(SALU_CYCLE_1) | instskip(NEXT) | instid1(SALU_CYCLE_1)
	s_or_b32 s0, s1, s0
	s_or_b32 s0, s0, vcc_lo
	s_delay_alu instid0(SALU_CYCLE_1)
	s_and_saveexec_b32 s1, s0
	s_cbranch_execz .LBB144_33
; %bb.30:
	v_cmp_o_f64_e64 s0, v[12:13], v[12:13]
	s_cmp_eq_u32 s3, 1
	s_cselect_b32 s3, -1, 0
	s_delay_alu instid0(SALU_CYCLE_1)
	s_and_b32 s3, s3, vcc_lo
	s_delay_alu instid0(VALU_DEP_1) | instid1(SALU_CYCLE_1)
	s_and_b32 s3, s3, s0
	s_delay_alu instid0(SALU_CYCLE_1)
	s_and_saveexec_b32 s0, s3
	s_cbranch_execz .LBB144_32
; %bb.31:
	v_cvt_f64_u32_e32 v[0:1], v3
	v_cvt_f64_u32_e32 v[2:3], v2
	s_delay_alu instid0(VALU_DEP_2) | instskip(NEXT) | instid1(VALU_DEP_1)
	v_ldexp_f64 v[0:1], v[0:1], 32
	v_add_f64 v[0:1], v[0:1], v[2:3]
	s_delay_alu instid0(VALU_DEP_1) | instskip(NEXT) | instid1(VALU_DEP_1)
	v_div_scale_f64 v[2:3], null, v[0:1], v[0:1], v[12:13]
	v_rcp_f64_e32 v[14:15], v[2:3]
	s_waitcnt_depctr 0xfff
	v_fma_f64 v[16:17], -v[2:3], v[14:15], 1.0
	s_delay_alu instid0(VALU_DEP_1) | instskip(NEXT) | instid1(VALU_DEP_1)
	v_fma_f64 v[14:15], v[14:15], v[16:17], v[14:15]
	v_fma_f64 v[16:17], -v[2:3], v[14:15], 1.0
	s_delay_alu instid0(VALU_DEP_1) | instskip(SKIP_1) | instid1(VALU_DEP_1)
	v_fma_f64 v[14:15], v[14:15], v[16:17], v[14:15]
	v_div_scale_f64 v[16:17], vcc_lo, v[12:13], v[0:1], v[12:13]
	v_mul_f64 v[18:19], v[16:17], v[14:15]
	s_delay_alu instid0(VALU_DEP_1) | instskip(NEXT) | instid1(VALU_DEP_1)
	v_fma_f64 v[2:3], -v[2:3], v[18:19], v[16:17]
	v_div_fmas_f64 v[2:3], v[2:3], v[14:15], v[18:19]
	s_delay_alu instid0(VALU_DEP_1)
	v_div_fixup_f64 v[12:13], v[2:3], v[0:1], v[12:13]
.LBB144_32:
	s_or_b32 exec_lo, exec_lo, s0
	s_delay_alu instid0(VALU_DEP_1)
	v_dual_mov_b32 v0, v12 :: v_dual_mov_b32 v1, v13
.LBB144_33:
	s_or_b32 exec_lo, exec_lo, s1
	s_mul_i32 s0, s28, s27
	s_mul_hi_u32 s1, s28, s26
	s_mul_i32 s3, s29, s26
	s_add_i32 s0, s1, s0
	s_mul_i32 s1, s28, s26
	s_add_i32 s0, s0, s3
	v_mul_lo_u32 v13, s1, v7
	v_mul_lo_u32 v12, s0, v6
	v_mad_u64_u32 v[2:3], null, s1, v6, 0
	v_mul_lo_u32 v9, v9, s26
	v_mul_lo_u32 v14, v8, s27
	v_mad_u64_u32 v[6:7], null, v8, s26, 0
	v_sub_co_u32 v4, vcc_lo, v4, v10
	v_add3_u32 v3, v3, v13, v12
	v_sub_co_ci_u32_e32 v5, vcc_lo, v5, v11, vcc_lo
	s_delay_alu instid0(VALU_DEP_4) | instskip(NEXT) | instid1(VALU_DEP_3)
	v_add3_u32 v7, v7, v14, v9
	v_lshlrev_b64 v[2:3], 3, v[2:3]
	s_delay_alu instid0(VALU_DEP_2) | instskip(NEXT) | instid1(VALU_DEP_2)
	v_lshlrev_b64 v[6:7], 3, v[6:7]
	v_add_co_u32 v8, vcc_lo, s4, v2
	s_delay_alu instid0(VALU_DEP_3) | instskip(SKIP_1) | instid1(VALU_DEP_3)
	v_add_co_ci_u32_e32 v9, vcc_lo, s5, v3, vcc_lo
	v_lshlrev_b64 v[2:3], 3, v[4:5]
	v_add_co_u32 v4, vcc_lo, v8, v6
	s_delay_alu instid0(VALU_DEP_3) | instskip(NEXT) | instid1(VALU_DEP_2)
	v_add_co_ci_u32_e32 v5, vcc_lo, v9, v7, vcc_lo
	v_add_co_u32 v2, vcc_lo, v4, v2
	s_delay_alu instid0(VALU_DEP_2)
	v_add_co_ci_u32_e32 v3, vcc_lo, v5, v3, vcc_lo
	global_store_b64 v[2:3], v[0:1], off
.LBB144_34:
	s_and_not1_saveexec_b32 s0, s2
	s_cbranch_execnz .LBB144_36
.LBB144_35:
	s_nop 0
	s_sendmsg sendmsg(MSG_DEALLOC_VGPRS)
	s_endpgm
.LBB144_36:
	s_cbranch_execnz .LBB144_38
; %bb.37:
	; divergent unreachable
	s_nop 0
	s_sendmsg sendmsg(MSG_DEALLOC_VGPRS)
	s_endpgm
.LBB144_38:
	s_trap 2
	s_sendmsg_rtn_b32 s0, sendmsg(MSG_RTN_GET_DOORBELL)
	s_mov_b32 ttmp2, m0
	s_waitcnt lgkmcnt(0)
	s_and_b32 s0, s0, 0x3ff
	s_delay_alu instid0(SALU_CYCLE_1) | instskip(NEXT) | instid1(SALU_CYCLE_1)
	s_bitset1_b32 s0, 10
	s_mov_b32 m0, s0
	s_sendmsg sendmsg(MSG_INTERRUPT)
	s_mov_b32 m0, ttmp2
.LBB144_39:                             ; =>This Inner Loop Header: Depth=1
	s_sethalt 5
	s_branch .LBB144_39
	.section	.rodata,"a",@progbits
	.p2align	6, 0x0
	.amdhsa_kernel _ZN2at6native12_GLOBAL__N_129segment_reduce_forward_kernelIdlEEvNS0_13ReductionTypeEPT_PKS4_PKT0_SA_llbS4_lllllll
		.amdhsa_group_segment_fixed_size 0
		.amdhsa_private_segment_fixed_size 0
		.amdhsa_kernarg_size 384
		.amdhsa_user_sgpr_count 15
		.amdhsa_user_sgpr_dispatch_ptr 0
		.amdhsa_user_sgpr_queue_ptr 0
		.amdhsa_user_sgpr_kernarg_segment_ptr 1
		.amdhsa_user_sgpr_dispatch_id 0
		.amdhsa_user_sgpr_private_segment_size 0
		.amdhsa_wavefront_size32 1
		.amdhsa_uses_dynamic_stack 0
		.amdhsa_enable_private_segment 0
		.amdhsa_system_sgpr_workgroup_id_x 1
		.amdhsa_system_sgpr_workgroup_id_y 0
		.amdhsa_system_sgpr_workgroup_id_z 0
		.amdhsa_system_sgpr_workgroup_info 0
		.amdhsa_system_vgpr_workitem_id 0
		.amdhsa_next_free_vgpr 24
		.amdhsa_next_free_sgpr 40
		.amdhsa_reserve_vcc 1
		.amdhsa_float_round_mode_32 0
		.amdhsa_float_round_mode_16_64 0
		.amdhsa_float_denorm_mode_32 3
		.amdhsa_float_denorm_mode_16_64 3
		.amdhsa_dx10_clamp 1
		.amdhsa_ieee_mode 1
		.amdhsa_fp16_overflow 0
		.amdhsa_workgroup_processor_mode 1
		.amdhsa_memory_ordered 1
		.amdhsa_forward_progress 0
		.amdhsa_shared_vgpr_count 0
		.amdhsa_exception_fp_ieee_invalid_op 0
		.amdhsa_exception_fp_denorm_src 0
		.amdhsa_exception_fp_ieee_div_zero 0
		.amdhsa_exception_fp_ieee_overflow 0
		.amdhsa_exception_fp_ieee_underflow 0
		.amdhsa_exception_fp_ieee_inexact 0
		.amdhsa_exception_int_div_zero 0
	.end_amdhsa_kernel
	.section	.text._ZN2at6native12_GLOBAL__N_129segment_reduce_forward_kernelIdlEEvNS0_13ReductionTypeEPT_PKS4_PKT0_SA_llbS4_lllllll,"axG",@progbits,_ZN2at6native12_GLOBAL__N_129segment_reduce_forward_kernelIdlEEvNS0_13ReductionTypeEPT_PKS4_PKT0_SA_llbS4_lllllll,comdat
.Lfunc_end144:
	.size	_ZN2at6native12_GLOBAL__N_129segment_reduce_forward_kernelIdlEEvNS0_13ReductionTypeEPT_PKS4_PKT0_SA_llbS4_lllllll, .Lfunc_end144-_ZN2at6native12_GLOBAL__N_129segment_reduce_forward_kernelIdlEEvNS0_13ReductionTypeEPT_PKS4_PKT0_SA_llbS4_lllllll
                                        ; -- End function
	.section	.AMDGPU.csdata,"",@progbits
; Kernel info:
; codeLenInByte = 3476
; NumSgprs: 42
; NumVgprs: 24
; ScratchSize: 0
; MemoryBound: 0
; FloatMode: 240
; IeeeMode: 1
; LDSByteSize: 0 bytes/workgroup (compile time only)
; SGPRBlocks: 5
; VGPRBlocks: 2
; NumSGPRsForWavesPerEU: 42
; NumVGPRsForWavesPerEU: 24
; Occupancy: 16
; WaveLimiterHint : 0
; COMPUTE_PGM_RSRC2:SCRATCH_EN: 0
; COMPUTE_PGM_RSRC2:USER_SGPR: 15
; COMPUTE_PGM_RSRC2:TRAP_HANDLER: 0
; COMPUTE_PGM_RSRC2:TGID_X_EN: 1
; COMPUTE_PGM_RSRC2:TGID_Y_EN: 0
; COMPUTE_PGM_RSRC2:TGID_Z_EN: 0
; COMPUTE_PGM_RSRC2:TIDIG_COMP_CNT: 0
	.section	.text._ZN7rocprim17ROCPRIM_400000_NS6detail17trampoline_kernelINS0_14default_configENS1_32segmented_reduce_config_selectorIdEEZNS1_21segmented_reduce_implIS3_PKdPdPKldN6hipcub16HIPCUB_304000_NS6detail27convert_result_type_wrapperIS8_S9_N2at6native12_GLOBAL__N_19CustomMaxEEEEE10hipError_tPvRmT0_T1_jT2_SQ_T4_T3_P12ihipStream_tbEUlT_E_NS1_11comp_targetILNS1_3genE0ELNS1_11target_archE4294967295ELNS1_3gpuE0ELNS1_3repE0EEENS1_30default_config_static_selectorELNS0_4arch9wavefront6targetE0EEEvSP_,"axG",@progbits,_ZN7rocprim17ROCPRIM_400000_NS6detail17trampoline_kernelINS0_14default_configENS1_32segmented_reduce_config_selectorIdEEZNS1_21segmented_reduce_implIS3_PKdPdPKldN6hipcub16HIPCUB_304000_NS6detail27convert_result_type_wrapperIS8_S9_N2at6native12_GLOBAL__N_19CustomMaxEEEEE10hipError_tPvRmT0_T1_jT2_SQ_T4_T3_P12ihipStream_tbEUlT_E_NS1_11comp_targetILNS1_3genE0ELNS1_11target_archE4294967295ELNS1_3gpuE0ELNS1_3repE0EEENS1_30default_config_static_selectorELNS0_4arch9wavefront6targetE0EEEvSP_,comdat
	.globl	_ZN7rocprim17ROCPRIM_400000_NS6detail17trampoline_kernelINS0_14default_configENS1_32segmented_reduce_config_selectorIdEEZNS1_21segmented_reduce_implIS3_PKdPdPKldN6hipcub16HIPCUB_304000_NS6detail27convert_result_type_wrapperIS8_S9_N2at6native12_GLOBAL__N_19CustomMaxEEEEE10hipError_tPvRmT0_T1_jT2_SQ_T4_T3_P12ihipStream_tbEUlT_E_NS1_11comp_targetILNS1_3genE0ELNS1_11target_archE4294967295ELNS1_3gpuE0ELNS1_3repE0EEENS1_30default_config_static_selectorELNS0_4arch9wavefront6targetE0EEEvSP_ ; -- Begin function _ZN7rocprim17ROCPRIM_400000_NS6detail17trampoline_kernelINS0_14default_configENS1_32segmented_reduce_config_selectorIdEEZNS1_21segmented_reduce_implIS3_PKdPdPKldN6hipcub16HIPCUB_304000_NS6detail27convert_result_type_wrapperIS8_S9_N2at6native12_GLOBAL__N_19CustomMaxEEEEE10hipError_tPvRmT0_T1_jT2_SQ_T4_T3_P12ihipStream_tbEUlT_E_NS1_11comp_targetILNS1_3genE0ELNS1_11target_archE4294967295ELNS1_3gpuE0ELNS1_3repE0EEENS1_30default_config_static_selectorELNS0_4arch9wavefront6targetE0EEEvSP_
	.p2align	8
	.type	_ZN7rocprim17ROCPRIM_400000_NS6detail17trampoline_kernelINS0_14default_configENS1_32segmented_reduce_config_selectorIdEEZNS1_21segmented_reduce_implIS3_PKdPdPKldN6hipcub16HIPCUB_304000_NS6detail27convert_result_type_wrapperIS8_S9_N2at6native12_GLOBAL__N_19CustomMaxEEEEE10hipError_tPvRmT0_T1_jT2_SQ_T4_T3_P12ihipStream_tbEUlT_E_NS1_11comp_targetILNS1_3genE0ELNS1_11target_archE4294967295ELNS1_3gpuE0ELNS1_3repE0EEENS1_30default_config_static_selectorELNS0_4arch9wavefront6targetE0EEEvSP_,@function
_ZN7rocprim17ROCPRIM_400000_NS6detail17trampoline_kernelINS0_14default_configENS1_32segmented_reduce_config_selectorIdEEZNS1_21segmented_reduce_implIS3_PKdPdPKldN6hipcub16HIPCUB_304000_NS6detail27convert_result_type_wrapperIS8_S9_N2at6native12_GLOBAL__N_19CustomMaxEEEEE10hipError_tPvRmT0_T1_jT2_SQ_T4_T3_P12ihipStream_tbEUlT_E_NS1_11comp_targetILNS1_3genE0ELNS1_11target_archE4294967295ELNS1_3gpuE0ELNS1_3repE0EEENS1_30default_config_static_selectorELNS0_4arch9wavefront6targetE0EEEvSP_: ; @_ZN7rocprim17ROCPRIM_400000_NS6detail17trampoline_kernelINS0_14default_configENS1_32segmented_reduce_config_selectorIdEEZNS1_21segmented_reduce_implIS3_PKdPdPKldN6hipcub16HIPCUB_304000_NS6detail27convert_result_type_wrapperIS8_S9_N2at6native12_GLOBAL__N_19CustomMaxEEEEE10hipError_tPvRmT0_T1_jT2_SQ_T4_T3_P12ihipStream_tbEUlT_E_NS1_11comp_targetILNS1_3genE0ELNS1_11target_archE4294967295ELNS1_3gpuE0ELNS1_3repE0EEENS1_30default_config_static_selectorELNS0_4arch9wavefront6targetE0EEEvSP_
; %bb.0:
	.section	.rodata,"a",@progbits
	.p2align	6, 0x0
	.amdhsa_kernel _ZN7rocprim17ROCPRIM_400000_NS6detail17trampoline_kernelINS0_14default_configENS1_32segmented_reduce_config_selectorIdEEZNS1_21segmented_reduce_implIS3_PKdPdPKldN6hipcub16HIPCUB_304000_NS6detail27convert_result_type_wrapperIS8_S9_N2at6native12_GLOBAL__N_19CustomMaxEEEEE10hipError_tPvRmT0_T1_jT2_SQ_T4_T3_P12ihipStream_tbEUlT_E_NS1_11comp_targetILNS1_3genE0ELNS1_11target_archE4294967295ELNS1_3gpuE0ELNS1_3repE0EEENS1_30default_config_static_selectorELNS0_4arch9wavefront6targetE0EEEvSP_
		.amdhsa_group_segment_fixed_size 0
		.amdhsa_private_segment_fixed_size 0
		.amdhsa_kernarg_size 56
		.amdhsa_user_sgpr_count 15
		.amdhsa_user_sgpr_dispatch_ptr 0
		.amdhsa_user_sgpr_queue_ptr 0
		.amdhsa_user_sgpr_kernarg_segment_ptr 1
		.amdhsa_user_sgpr_dispatch_id 0
		.amdhsa_user_sgpr_private_segment_size 0
		.amdhsa_wavefront_size32 1
		.amdhsa_uses_dynamic_stack 0
		.amdhsa_enable_private_segment 0
		.amdhsa_system_sgpr_workgroup_id_x 1
		.amdhsa_system_sgpr_workgroup_id_y 0
		.amdhsa_system_sgpr_workgroup_id_z 0
		.amdhsa_system_sgpr_workgroup_info 0
		.amdhsa_system_vgpr_workitem_id 0
		.amdhsa_next_free_vgpr 1
		.amdhsa_next_free_sgpr 1
		.amdhsa_reserve_vcc 0
		.amdhsa_float_round_mode_32 0
		.amdhsa_float_round_mode_16_64 0
		.amdhsa_float_denorm_mode_32 3
		.amdhsa_float_denorm_mode_16_64 3
		.amdhsa_dx10_clamp 1
		.amdhsa_ieee_mode 1
		.amdhsa_fp16_overflow 0
		.amdhsa_workgroup_processor_mode 1
		.amdhsa_memory_ordered 1
		.amdhsa_forward_progress 0
		.amdhsa_shared_vgpr_count 0
		.amdhsa_exception_fp_ieee_invalid_op 0
		.amdhsa_exception_fp_denorm_src 0
		.amdhsa_exception_fp_ieee_div_zero 0
		.amdhsa_exception_fp_ieee_overflow 0
		.amdhsa_exception_fp_ieee_underflow 0
		.amdhsa_exception_fp_ieee_inexact 0
		.amdhsa_exception_int_div_zero 0
	.end_amdhsa_kernel
	.section	.text._ZN7rocprim17ROCPRIM_400000_NS6detail17trampoline_kernelINS0_14default_configENS1_32segmented_reduce_config_selectorIdEEZNS1_21segmented_reduce_implIS3_PKdPdPKldN6hipcub16HIPCUB_304000_NS6detail27convert_result_type_wrapperIS8_S9_N2at6native12_GLOBAL__N_19CustomMaxEEEEE10hipError_tPvRmT0_T1_jT2_SQ_T4_T3_P12ihipStream_tbEUlT_E_NS1_11comp_targetILNS1_3genE0ELNS1_11target_archE4294967295ELNS1_3gpuE0ELNS1_3repE0EEENS1_30default_config_static_selectorELNS0_4arch9wavefront6targetE0EEEvSP_,"axG",@progbits,_ZN7rocprim17ROCPRIM_400000_NS6detail17trampoline_kernelINS0_14default_configENS1_32segmented_reduce_config_selectorIdEEZNS1_21segmented_reduce_implIS3_PKdPdPKldN6hipcub16HIPCUB_304000_NS6detail27convert_result_type_wrapperIS8_S9_N2at6native12_GLOBAL__N_19CustomMaxEEEEE10hipError_tPvRmT0_T1_jT2_SQ_T4_T3_P12ihipStream_tbEUlT_E_NS1_11comp_targetILNS1_3genE0ELNS1_11target_archE4294967295ELNS1_3gpuE0ELNS1_3repE0EEENS1_30default_config_static_selectorELNS0_4arch9wavefront6targetE0EEEvSP_,comdat
.Lfunc_end145:
	.size	_ZN7rocprim17ROCPRIM_400000_NS6detail17trampoline_kernelINS0_14default_configENS1_32segmented_reduce_config_selectorIdEEZNS1_21segmented_reduce_implIS3_PKdPdPKldN6hipcub16HIPCUB_304000_NS6detail27convert_result_type_wrapperIS8_S9_N2at6native12_GLOBAL__N_19CustomMaxEEEEE10hipError_tPvRmT0_T1_jT2_SQ_T4_T3_P12ihipStream_tbEUlT_E_NS1_11comp_targetILNS1_3genE0ELNS1_11target_archE4294967295ELNS1_3gpuE0ELNS1_3repE0EEENS1_30default_config_static_selectorELNS0_4arch9wavefront6targetE0EEEvSP_, .Lfunc_end145-_ZN7rocprim17ROCPRIM_400000_NS6detail17trampoline_kernelINS0_14default_configENS1_32segmented_reduce_config_selectorIdEEZNS1_21segmented_reduce_implIS3_PKdPdPKldN6hipcub16HIPCUB_304000_NS6detail27convert_result_type_wrapperIS8_S9_N2at6native12_GLOBAL__N_19CustomMaxEEEEE10hipError_tPvRmT0_T1_jT2_SQ_T4_T3_P12ihipStream_tbEUlT_E_NS1_11comp_targetILNS1_3genE0ELNS1_11target_archE4294967295ELNS1_3gpuE0ELNS1_3repE0EEENS1_30default_config_static_selectorELNS0_4arch9wavefront6targetE0EEEvSP_
                                        ; -- End function
	.section	.AMDGPU.csdata,"",@progbits
; Kernel info:
; codeLenInByte = 0
; NumSgprs: 0
; NumVgprs: 0
; ScratchSize: 0
; MemoryBound: 0
; FloatMode: 240
; IeeeMode: 1
; LDSByteSize: 0 bytes/workgroup (compile time only)
; SGPRBlocks: 0
; VGPRBlocks: 0
; NumSGPRsForWavesPerEU: 1
; NumVGPRsForWavesPerEU: 1
; Occupancy: 16
; WaveLimiterHint : 0
; COMPUTE_PGM_RSRC2:SCRATCH_EN: 0
; COMPUTE_PGM_RSRC2:USER_SGPR: 15
; COMPUTE_PGM_RSRC2:TRAP_HANDLER: 0
; COMPUTE_PGM_RSRC2:TGID_X_EN: 1
; COMPUTE_PGM_RSRC2:TGID_Y_EN: 0
; COMPUTE_PGM_RSRC2:TGID_Z_EN: 0
; COMPUTE_PGM_RSRC2:TIDIG_COMP_CNT: 0
	.section	.text._ZN7rocprim17ROCPRIM_400000_NS6detail17trampoline_kernelINS0_14default_configENS1_32segmented_reduce_config_selectorIdEEZNS1_21segmented_reduce_implIS3_PKdPdPKldN6hipcub16HIPCUB_304000_NS6detail27convert_result_type_wrapperIS8_S9_N2at6native12_GLOBAL__N_19CustomMaxEEEEE10hipError_tPvRmT0_T1_jT2_SQ_T4_T3_P12ihipStream_tbEUlT_E_NS1_11comp_targetILNS1_3genE5ELNS1_11target_archE942ELNS1_3gpuE9ELNS1_3repE0EEENS1_30default_config_static_selectorELNS0_4arch9wavefront6targetE0EEEvSP_,"axG",@progbits,_ZN7rocprim17ROCPRIM_400000_NS6detail17trampoline_kernelINS0_14default_configENS1_32segmented_reduce_config_selectorIdEEZNS1_21segmented_reduce_implIS3_PKdPdPKldN6hipcub16HIPCUB_304000_NS6detail27convert_result_type_wrapperIS8_S9_N2at6native12_GLOBAL__N_19CustomMaxEEEEE10hipError_tPvRmT0_T1_jT2_SQ_T4_T3_P12ihipStream_tbEUlT_E_NS1_11comp_targetILNS1_3genE5ELNS1_11target_archE942ELNS1_3gpuE9ELNS1_3repE0EEENS1_30default_config_static_selectorELNS0_4arch9wavefront6targetE0EEEvSP_,comdat
	.globl	_ZN7rocprim17ROCPRIM_400000_NS6detail17trampoline_kernelINS0_14default_configENS1_32segmented_reduce_config_selectorIdEEZNS1_21segmented_reduce_implIS3_PKdPdPKldN6hipcub16HIPCUB_304000_NS6detail27convert_result_type_wrapperIS8_S9_N2at6native12_GLOBAL__N_19CustomMaxEEEEE10hipError_tPvRmT0_T1_jT2_SQ_T4_T3_P12ihipStream_tbEUlT_E_NS1_11comp_targetILNS1_3genE5ELNS1_11target_archE942ELNS1_3gpuE9ELNS1_3repE0EEENS1_30default_config_static_selectorELNS0_4arch9wavefront6targetE0EEEvSP_ ; -- Begin function _ZN7rocprim17ROCPRIM_400000_NS6detail17trampoline_kernelINS0_14default_configENS1_32segmented_reduce_config_selectorIdEEZNS1_21segmented_reduce_implIS3_PKdPdPKldN6hipcub16HIPCUB_304000_NS6detail27convert_result_type_wrapperIS8_S9_N2at6native12_GLOBAL__N_19CustomMaxEEEEE10hipError_tPvRmT0_T1_jT2_SQ_T4_T3_P12ihipStream_tbEUlT_E_NS1_11comp_targetILNS1_3genE5ELNS1_11target_archE942ELNS1_3gpuE9ELNS1_3repE0EEENS1_30default_config_static_selectorELNS0_4arch9wavefront6targetE0EEEvSP_
	.p2align	8
	.type	_ZN7rocprim17ROCPRIM_400000_NS6detail17trampoline_kernelINS0_14default_configENS1_32segmented_reduce_config_selectorIdEEZNS1_21segmented_reduce_implIS3_PKdPdPKldN6hipcub16HIPCUB_304000_NS6detail27convert_result_type_wrapperIS8_S9_N2at6native12_GLOBAL__N_19CustomMaxEEEEE10hipError_tPvRmT0_T1_jT2_SQ_T4_T3_P12ihipStream_tbEUlT_E_NS1_11comp_targetILNS1_3genE5ELNS1_11target_archE942ELNS1_3gpuE9ELNS1_3repE0EEENS1_30default_config_static_selectorELNS0_4arch9wavefront6targetE0EEEvSP_,@function
_ZN7rocprim17ROCPRIM_400000_NS6detail17trampoline_kernelINS0_14default_configENS1_32segmented_reduce_config_selectorIdEEZNS1_21segmented_reduce_implIS3_PKdPdPKldN6hipcub16HIPCUB_304000_NS6detail27convert_result_type_wrapperIS8_S9_N2at6native12_GLOBAL__N_19CustomMaxEEEEE10hipError_tPvRmT0_T1_jT2_SQ_T4_T3_P12ihipStream_tbEUlT_E_NS1_11comp_targetILNS1_3genE5ELNS1_11target_archE942ELNS1_3gpuE9ELNS1_3repE0EEENS1_30default_config_static_selectorELNS0_4arch9wavefront6targetE0EEEvSP_: ; @_ZN7rocprim17ROCPRIM_400000_NS6detail17trampoline_kernelINS0_14default_configENS1_32segmented_reduce_config_selectorIdEEZNS1_21segmented_reduce_implIS3_PKdPdPKldN6hipcub16HIPCUB_304000_NS6detail27convert_result_type_wrapperIS8_S9_N2at6native12_GLOBAL__N_19CustomMaxEEEEE10hipError_tPvRmT0_T1_jT2_SQ_T4_T3_P12ihipStream_tbEUlT_E_NS1_11comp_targetILNS1_3genE5ELNS1_11target_archE942ELNS1_3gpuE9ELNS1_3repE0EEENS1_30default_config_static_selectorELNS0_4arch9wavefront6targetE0EEEvSP_
; %bb.0:
	.section	.rodata,"a",@progbits
	.p2align	6, 0x0
	.amdhsa_kernel _ZN7rocprim17ROCPRIM_400000_NS6detail17trampoline_kernelINS0_14default_configENS1_32segmented_reduce_config_selectorIdEEZNS1_21segmented_reduce_implIS3_PKdPdPKldN6hipcub16HIPCUB_304000_NS6detail27convert_result_type_wrapperIS8_S9_N2at6native12_GLOBAL__N_19CustomMaxEEEEE10hipError_tPvRmT0_T1_jT2_SQ_T4_T3_P12ihipStream_tbEUlT_E_NS1_11comp_targetILNS1_3genE5ELNS1_11target_archE942ELNS1_3gpuE9ELNS1_3repE0EEENS1_30default_config_static_selectorELNS0_4arch9wavefront6targetE0EEEvSP_
		.amdhsa_group_segment_fixed_size 0
		.amdhsa_private_segment_fixed_size 0
		.amdhsa_kernarg_size 56
		.amdhsa_user_sgpr_count 15
		.amdhsa_user_sgpr_dispatch_ptr 0
		.amdhsa_user_sgpr_queue_ptr 0
		.amdhsa_user_sgpr_kernarg_segment_ptr 1
		.amdhsa_user_sgpr_dispatch_id 0
		.amdhsa_user_sgpr_private_segment_size 0
		.amdhsa_wavefront_size32 1
		.amdhsa_uses_dynamic_stack 0
		.amdhsa_enable_private_segment 0
		.amdhsa_system_sgpr_workgroup_id_x 1
		.amdhsa_system_sgpr_workgroup_id_y 0
		.amdhsa_system_sgpr_workgroup_id_z 0
		.amdhsa_system_sgpr_workgroup_info 0
		.amdhsa_system_vgpr_workitem_id 0
		.amdhsa_next_free_vgpr 1
		.amdhsa_next_free_sgpr 1
		.amdhsa_reserve_vcc 0
		.amdhsa_float_round_mode_32 0
		.amdhsa_float_round_mode_16_64 0
		.amdhsa_float_denorm_mode_32 3
		.amdhsa_float_denorm_mode_16_64 3
		.amdhsa_dx10_clamp 1
		.amdhsa_ieee_mode 1
		.amdhsa_fp16_overflow 0
		.amdhsa_workgroup_processor_mode 1
		.amdhsa_memory_ordered 1
		.amdhsa_forward_progress 0
		.amdhsa_shared_vgpr_count 0
		.amdhsa_exception_fp_ieee_invalid_op 0
		.amdhsa_exception_fp_denorm_src 0
		.amdhsa_exception_fp_ieee_div_zero 0
		.amdhsa_exception_fp_ieee_overflow 0
		.amdhsa_exception_fp_ieee_underflow 0
		.amdhsa_exception_fp_ieee_inexact 0
		.amdhsa_exception_int_div_zero 0
	.end_amdhsa_kernel
	.section	.text._ZN7rocprim17ROCPRIM_400000_NS6detail17trampoline_kernelINS0_14default_configENS1_32segmented_reduce_config_selectorIdEEZNS1_21segmented_reduce_implIS3_PKdPdPKldN6hipcub16HIPCUB_304000_NS6detail27convert_result_type_wrapperIS8_S9_N2at6native12_GLOBAL__N_19CustomMaxEEEEE10hipError_tPvRmT0_T1_jT2_SQ_T4_T3_P12ihipStream_tbEUlT_E_NS1_11comp_targetILNS1_3genE5ELNS1_11target_archE942ELNS1_3gpuE9ELNS1_3repE0EEENS1_30default_config_static_selectorELNS0_4arch9wavefront6targetE0EEEvSP_,"axG",@progbits,_ZN7rocprim17ROCPRIM_400000_NS6detail17trampoline_kernelINS0_14default_configENS1_32segmented_reduce_config_selectorIdEEZNS1_21segmented_reduce_implIS3_PKdPdPKldN6hipcub16HIPCUB_304000_NS6detail27convert_result_type_wrapperIS8_S9_N2at6native12_GLOBAL__N_19CustomMaxEEEEE10hipError_tPvRmT0_T1_jT2_SQ_T4_T3_P12ihipStream_tbEUlT_E_NS1_11comp_targetILNS1_3genE5ELNS1_11target_archE942ELNS1_3gpuE9ELNS1_3repE0EEENS1_30default_config_static_selectorELNS0_4arch9wavefront6targetE0EEEvSP_,comdat
.Lfunc_end146:
	.size	_ZN7rocprim17ROCPRIM_400000_NS6detail17trampoline_kernelINS0_14default_configENS1_32segmented_reduce_config_selectorIdEEZNS1_21segmented_reduce_implIS3_PKdPdPKldN6hipcub16HIPCUB_304000_NS6detail27convert_result_type_wrapperIS8_S9_N2at6native12_GLOBAL__N_19CustomMaxEEEEE10hipError_tPvRmT0_T1_jT2_SQ_T4_T3_P12ihipStream_tbEUlT_E_NS1_11comp_targetILNS1_3genE5ELNS1_11target_archE942ELNS1_3gpuE9ELNS1_3repE0EEENS1_30default_config_static_selectorELNS0_4arch9wavefront6targetE0EEEvSP_, .Lfunc_end146-_ZN7rocprim17ROCPRIM_400000_NS6detail17trampoline_kernelINS0_14default_configENS1_32segmented_reduce_config_selectorIdEEZNS1_21segmented_reduce_implIS3_PKdPdPKldN6hipcub16HIPCUB_304000_NS6detail27convert_result_type_wrapperIS8_S9_N2at6native12_GLOBAL__N_19CustomMaxEEEEE10hipError_tPvRmT0_T1_jT2_SQ_T4_T3_P12ihipStream_tbEUlT_E_NS1_11comp_targetILNS1_3genE5ELNS1_11target_archE942ELNS1_3gpuE9ELNS1_3repE0EEENS1_30default_config_static_selectorELNS0_4arch9wavefront6targetE0EEEvSP_
                                        ; -- End function
	.section	.AMDGPU.csdata,"",@progbits
; Kernel info:
; codeLenInByte = 0
; NumSgprs: 0
; NumVgprs: 0
; ScratchSize: 0
; MemoryBound: 0
; FloatMode: 240
; IeeeMode: 1
; LDSByteSize: 0 bytes/workgroup (compile time only)
; SGPRBlocks: 0
; VGPRBlocks: 0
; NumSGPRsForWavesPerEU: 1
; NumVGPRsForWavesPerEU: 1
; Occupancy: 16
; WaveLimiterHint : 0
; COMPUTE_PGM_RSRC2:SCRATCH_EN: 0
; COMPUTE_PGM_RSRC2:USER_SGPR: 15
; COMPUTE_PGM_RSRC2:TRAP_HANDLER: 0
; COMPUTE_PGM_RSRC2:TGID_X_EN: 1
; COMPUTE_PGM_RSRC2:TGID_Y_EN: 0
; COMPUTE_PGM_RSRC2:TGID_Z_EN: 0
; COMPUTE_PGM_RSRC2:TIDIG_COMP_CNT: 0
	.section	.text._ZN7rocprim17ROCPRIM_400000_NS6detail17trampoline_kernelINS0_14default_configENS1_32segmented_reduce_config_selectorIdEEZNS1_21segmented_reduce_implIS3_PKdPdPKldN6hipcub16HIPCUB_304000_NS6detail27convert_result_type_wrapperIS8_S9_N2at6native12_GLOBAL__N_19CustomMaxEEEEE10hipError_tPvRmT0_T1_jT2_SQ_T4_T3_P12ihipStream_tbEUlT_E_NS1_11comp_targetILNS1_3genE10ELNS1_11target_archE1201ELNS1_3gpuE5ELNS1_3repE0EEENS1_30default_config_static_selectorELNS0_4arch9wavefront6targetE0EEEvSP_,"axG",@progbits,_ZN7rocprim17ROCPRIM_400000_NS6detail17trampoline_kernelINS0_14default_configENS1_32segmented_reduce_config_selectorIdEEZNS1_21segmented_reduce_implIS3_PKdPdPKldN6hipcub16HIPCUB_304000_NS6detail27convert_result_type_wrapperIS8_S9_N2at6native12_GLOBAL__N_19CustomMaxEEEEE10hipError_tPvRmT0_T1_jT2_SQ_T4_T3_P12ihipStream_tbEUlT_E_NS1_11comp_targetILNS1_3genE10ELNS1_11target_archE1201ELNS1_3gpuE5ELNS1_3repE0EEENS1_30default_config_static_selectorELNS0_4arch9wavefront6targetE0EEEvSP_,comdat
	.globl	_ZN7rocprim17ROCPRIM_400000_NS6detail17trampoline_kernelINS0_14default_configENS1_32segmented_reduce_config_selectorIdEEZNS1_21segmented_reduce_implIS3_PKdPdPKldN6hipcub16HIPCUB_304000_NS6detail27convert_result_type_wrapperIS8_S9_N2at6native12_GLOBAL__N_19CustomMaxEEEEE10hipError_tPvRmT0_T1_jT2_SQ_T4_T3_P12ihipStream_tbEUlT_E_NS1_11comp_targetILNS1_3genE10ELNS1_11target_archE1201ELNS1_3gpuE5ELNS1_3repE0EEENS1_30default_config_static_selectorELNS0_4arch9wavefront6targetE0EEEvSP_ ; -- Begin function _ZN7rocprim17ROCPRIM_400000_NS6detail17trampoline_kernelINS0_14default_configENS1_32segmented_reduce_config_selectorIdEEZNS1_21segmented_reduce_implIS3_PKdPdPKldN6hipcub16HIPCUB_304000_NS6detail27convert_result_type_wrapperIS8_S9_N2at6native12_GLOBAL__N_19CustomMaxEEEEE10hipError_tPvRmT0_T1_jT2_SQ_T4_T3_P12ihipStream_tbEUlT_E_NS1_11comp_targetILNS1_3genE10ELNS1_11target_archE1201ELNS1_3gpuE5ELNS1_3repE0EEENS1_30default_config_static_selectorELNS0_4arch9wavefront6targetE0EEEvSP_
	.p2align	8
	.type	_ZN7rocprim17ROCPRIM_400000_NS6detail17trampoline_kernelINS0_14default_configENS1_32segmented_reduce_config_selectorIdEEZNS1_21segmented_reduce_implIS3_PKdPdPKldN6hipcub16HIPCUB_304000_NS6detail27convert_result_type_wrapperIS8_S9_N2at6native12_GLOBAL__N_19CustomMaxEEEEE10hipError_tPvRmT0_T1_jT2_SQ_T4_T3_P12ihipStream_tbEUlT_E_NS1_11comp_targetILNS1_3genE10ELNS1_11target_archE1201ELNS1_3gpuE5ELNS1_3repE0EEENS1_30default_config_static_selectorELNS0_4arch9wavefront6targetE0EEEvSP_,@function
_ZN7rocprim17ROCPRIM_400000_NS6detail17trampoline_kernelINS0_14default_configENS1_32segmented_reduce_config_selectorIdEEZNS1_21segmented_reduce_implIS3_PKdPdPKldN6hipcub16HIPCUB_304000_NS6detail27convert_result_type_wrapperIS8_S9_N2at6native12_GLOBAL__N_19CustomMaxEEEEE10hipError_tPvRmT0_T1_jT2_SQ_T4_T3_P12ihipStream_tbEUlT_E_NS1_11comp_targetILNS1_3genE10ELNS1_11target_archE1201ELNS1_3gpuE5ELNS1_3repE0EEENS1_30default_config_static_selectorELNS0_4arch9wavefront6targetE0EEEvSP_: ; @_ZN7rocprim17ROCPRIM_400000_NS6detail17trampoline_kernelINS0_14default_configENS1_32segmented_reduce_config_selectorIdEEZNS1_21segmented_reduce_implIS3_PKdPdPKldN6hipcub16HIPCUB_304000_NS6detail27convert_result_type_wrapperIS8_S9_N2at6native12_GLOBAL__N_19CustomMaxEEEEE10hipError_tPvRmT0_T1_jT2_SQ_T4_T3_P12ihipStream_tbEUlT_E_NS1_11comp_targetILNS1_3genE10ELNS1_11target_archE1201ELNS1_3gpuE5ELNS1_3repE0EEENS1_30default_config_static_selectorELNS0_4arch9wavefront6targetE0EEEvSP_
; %bb.0:
	.section	.rodata,"a",@progbits
	.p2align	6, 0x0
	.amdhsa_kernel _ZN7rocprim17ROCPRIM_400000_NS6detail17trampoline_kernelINS0_14default_configENS1_32segmented_reduce_config_selectorIdEEZNS1_21segmented_reduce_implIS3_PKdPdPKldN6hipcub16HIPCUB_304000_NS6detail27convert_result_type_wrapperIS8_S9_N2at6native12_GLOBAL__N_19CustomMaxEEEEE10hipError_tPvRmT0_T1_jT2_SQ_T4_T3_P12ihipStream_tbEUlT_E_NS1_11comp_targetILNS1_3genE10ELNS1_11target_archE1201ELNS1_3gpuE5ELNS1_3repE0EEENS1_30default_config_static_selectorELNS0_4arch9wavefront6targetE0EEEvSP_
		.amdhsa_group_segment_fixed_size 0
		.amdhsa_private_segment_fixed_size 0
		.amdhsa_kernarg_size 56
		.amdhsa_user_sgpr_count 15
		.amdhsa_user_sgpr_dispatch_ptr 0
		.amdhsa_user_sgpr_queue_ptr 0
		.amdhsa_user_sgpr_kernarg_segment_ptr 1
		.amdhsa_user_sgpr_dispatch_id 0
		.amdhsa_user_sgpr_private_segment_size 0
		.amdhsa_wavefront_size32 1
		.amdhsa_uses_dynamic_stack 0
		.amdhsa_enable_private_segment 0
		.amdhsa_system_sgpr_workgroup_id_x 1
		.amdhsa_system_sgpr_workgroup_id_y 0
		.amdhsa_system_sgpr_workgroup_id_z 0
		.amdhsa_system_sgpr_workgroup_info 0
		.amdhsa_system_vgpr_workitem_id 0
		.amdhsa_next_free_vgpr 1
		.amdhsa_next_free_sgpr 1
		.amdhsa_reserve_vcc 0
		.amdhsa_float_round_mode_32 0
		.amdhsa_float_round_mode_16_64 0
		.amdhsa_float_denorm_mode_32 3
		.amdhsa_float_denorm_mode_16_64 3
		.amdhsa_dx10_clamp 1
		.amdhsa_ieee_mode 1
		.amdhsa_fp16_overflow 0
		.amdhsa_workgroup_processor_mode 1
		.amdhsa_memory_ordered 1
		.amdhsa_forward_progress 0
		.amdhsa_shared_vgpr_count 0
		.amdhsa_exception_fp_ieee_invalid_op 0
		.amdhsa_exception_fp_denorm_src 0
		.amdhsa_exception_fp_ieee_div_zero 0
		.amdhsa_exception_fp_ieee_overflow 0
		.amdhsa_exception_fp_ieee_underflow 0
		.amdhsa_exception_fp_ieee_inexact 0
		.amdhsa_exception_int_div_zero 0
	.end_amdhsa_kernel
	.section	.text._ZN7rocprim17ROCPRIM_400000_NS6detail17trampoline_kernelINS0_14default_configENS1_32segmented_reduce_config_selectorIdEEZNS1_21segmented_reduce_implIS3_PKdPdPKldN6hipcub16HIPCUB_304000_NS6detail27convert_result_type_wrapperIS8_S9_N2at6native12_GLOBAL__N_19CustomMaxEEEEE10hipError_tPvRmT0_T1_jT2_SQ_T4_T3_P12ihipStream_tbEUlT_E_NS1_11comp_targetILNS1_3genE10ELNS1_11target_archE1201ELNS1_3gpuE5ELNS1_3repE0EEENS1_30default_config_static_selectorELNS0_4arch9wavefront6targetE0EEEvSP_,"axG",@progbits,_ZN7rocprim17ROCPRIM_400000_NS6detail17trampoline_kernelINS0_14default_configENS1_32segmented_reduce_config_selectorIdEEZNS1_21segmented_reduce_implIS3_PKdPdPKldN6hipcub16HIPCUB_304000_NS6detail27convert_result_type_wrapperIS8_S9_N2at6native12_GLOBAL__N_19CustomMaxEEEEE10hipError_tPvRmT0_T1_jT2_SQ_T4_T3_P12ihipStream_tbEUlT_E_NS1_11comp_targetILNS1_3genE10ELNS1_11target_archE1201ELNS1_3gpuE5ELNS1_3repE0EEENS1_30default_config_static_selectorELNS0_4arch9wavefront6targetE0EEEvSP_,comdat
.Lfunc_end147:
	.size	_ZN7rocprim17ROCPRIM_400000_NS6detail17trampoline_kernelINS0_14default_configENS1_32segmented_reduce_config_selectorIdEEZNS1_21segmented_reduce_implIS3_PKdPdPKldN6hipcub16HIPCUB_304000_NS6detail27convert_result_type_wrapperIS8_S9_N2at6native12_GLOBAL__N_19CustomMaxEEEEE10hipError_tPvRmT0_T1_jT2_SQ_T4_T3_P12ihipStream_tbEUlT_E_NS1_11comp_targetILNS1_3genE10ELNS1_11target_archE1201ELNS1_3gpuE5ELNS1_3repE0EEENS1_30default_config_static_selectorELNS0_4arch9wavefront6targetE0EEEvSP_, .Lfunc_end147-_ZN7rocprim17ROCPRIM_400000_NS6detail17trampoline_kernelINS0_14default_configENS1_32segmented_reduce_config_selectorIdEEZNS1_21segmented_reduce_implIS3_PKdPdPKldN6hipcub16HIPCUB_304000_NS6detail27convert_result_type_wrapperIS8_S9_N2at6native12_GLOBAL__N_19CustomMaxEEEEE10hipError_tPvRmT0_T1_jT2_SQ_T4_T3_P12ihipStream_tbEUlT_E_NS1_11comp_targetILNS1_3genE10ELNS1_11target_archE1201ELNS1_3gpuE5ELNS1_3repE0EEENS1_30default_config_static_selectorELNS0_4arch9wavefront6targetE0EEEvSP_
                                        ; -- End function
	.section	.AMDGPU.csdata,"",@progbits
; Kernel info:
; codeLenInByte = 0
; NumSgprs: 0
; NumVgprs: 0
; ScratchSize: 0
; MemoryBound: 0
; FloatMode: 240
; IeeeMode: 1
; LDSByteSize: 0 bytes/workgroup (compile time only)
; SGPRBlocks: 0
; VGPRBlocks: 0
; NumSGPRsForWavesPerEU: 1
; NumVGPRsForWavesPerEU: 1
; Occupancy: 16
; WaveLimiterHint : 0
; COMPUTE_PGM_RSRC2:SCRATCH_EN: 0
; COMPUTE_PGM_RSRC2:USER_SGPR: 15
; COMPUTE_PGM_RSRC2:TRAP_HANDLER: 0
; COMPUTE_PGM_RSRC2:TGID_X_EN: 1
; COMPUTE_PGM_RSRC2:TGID_Y_EN: 0
; COMPUTE_PGM_RSRC2:TGID_Z_EN: 0
; COMPUTE_PGM_RSRC2:TIDIG_COMP_CNT: 0
	.section	.text._ZN7rocprim17ROCPRIM_400000_NS6detail17trampoline_kernelINS0_14default_configENS1_32segmented_reduce_config_selectorIdEEZNS1_21segmented_reduce_implIS3_PKdPdPKldN6hipcub16HIPCUB_304000_NS6detail27convert_result_type_wrapperIS8_S9_N2at6native12_GLOBAL__N_19CustomMaxEEEEE10hipError_tPvRmT0_T1_jT2_SQ_T4_T3_P12ihipStream_tbEUlT_E_NS1_11comp_targetILNS1_3genE4ELNS1_11target_archE910ELNS1_3gpuE8ELNS1_3repE0EEENS1_30default_config_static_selectorELNS0_4arch9wavefront6targetE0EEEvSP_,"axG",@progbits,_ZN7rocprim17ROCPRIM_400000_NS6detail17trampoline_kernelINS0_14default_configENS1_32segmented_reduce_config_selectorIdEEZNS1_21segmented_reduce_implIS3_PKdPdPKldN6hipcub16HIPCUB_304000_NS6detail27convert_result_type_wrapperIS8_S9_N2at6native12_GLOBAL__N_19CustomMaxEEEEE10hipError_tPvRmT0_T1_jT2_SQ_T4_T3_P12ihipStream_tbEUlT_E_NS1_11comp_targetILNS1_3genE4ELNS1_11target_archE910ELNS1_3gpuE8ELNS1_3repE0EEENS1_30default_config_static_selectorELNS0_4arch9wavefront6targetE0EEEvSP_,comdat
	.globl	_ZN7rocprim17ROCPRIM_400000_NS6detail17trampoline_kernelINS0_14default_configENS1_32segmented_reduce_config_selectorIdEEZNS1_21segmented_reduce_implIS3_PKdPdPKldN6hipcub16HIPCUB_304000_NS6detail27convert_result_type_wrapperIS8_S9_N2at6native12_GLOBAL__N_19CustomMaxEEEEE10hipError_tPvRmT0_T1_jT2_SQ_T4_T3_P12ihipStream_tbEUlT_E_NS1_11comp_targetILNS1_3genE4ELNS1_11target_archE910ELNS1_3gpuE8ELNS1_3repE0EEENS1_30default_config_static_selectorELNS0_4arch9wavefront6targetE0EEEvSP_ ; -- Begin function _ZN7rocprim17ROCPRIM_400000_NS6detail17trampoline_kernelINS0_14default_configENS1_32segmented_reduce_config_selectorIdEEZNS1_21segmented_reduce_implIS3_PKdPdPKldN6hipcub16HIPCUB_304000_NS6detail27convert_result_type_wrapperIS8_S9_N2at6native12_GLOBAL__N_19CustomMaxEEEEE10hipError_tPvRmT0_T1_jT2_SQ_T4_T3_P12ihipStream_tbEUlT_E_NS1_11comp_targetILNS1_3genE4ELNS1_11target_archE910ELNS1_3gpuE8ELNS1_3repE0EEENS1_30default_config_static_selectorELNS0_4arch9wavefront6targetE0EEEvSP_
	.p2align	8
	.type	_ZN7rocprim17ROCPRIM_400000_NS6detail17trampoline_kernelINS0_14default_configENS1_32segmented_reduce_config_selectorIdEEZNS1_21segmented_reduce_implIS3_PKdPdPKldN6hipcub16HIPCUB_304000_NS6detail27convert_result_type_wrapperIS8_S9_N2at6native12_GLOBAL__N_19CustomMaxEEEEE10hipError_tPvRmT0_T1_jT2_SQ_T4_T3_P12ihipStream_tbEUlT_E_NS1_11comp_targetILNS1_3genE4ELNS1_11target_archE910ELNS1_3gpuE8ELNS1_3repE0EEENS1_30default_config_static_selectorELNS0_4arch9wavefront6targetE0EEEvSP_,@function
_ZN7rocprim17ROCPRIM_400000_NS6detail17trampoline_kernelINS0_14default_configENS1_32segmented_reduce_config_selectorIdEEZNS1_21segmented_reduce_implIS3_PKdPdPKldN6hipcub16HIPCUB_304000_NS6detail27convert_result_type_wrapperIS8_S9_N2at6native12_GLOBAL__N_19CustomMaxEEEEE10hipError_tPvRmT0_T1_jT2_SQ_T4_T3_P12ihipStream_tbEUlT_E_NS1_11comp_targetILNS1_3genE4ELNS1_11target_archE910ELNS1_3gpuE8ELNS1_3repE0EEENS1_30default_config_static_selectorELNS0_4arch9wavefront6targetE0EEEvSP_: ; @_ZN7rocprim17ROCPRIM_400000_NS6detail17trampoline_kernelINS0_14default_configENS1_32segmented_reduce_config_selectorIdEEZNS1_21segmented_reduce_implIS3_PKdPdPKldN6hipcub16HIPCUB_304000_NS6detail27convert_result_type_wrapperIS8_S9_N2at6native12_GLOBAL__N_19CustomMaxEEEEE10hipError_tPvRmT0_T1_jT2_SQ_T4_T3_P12ihipStream_tbEUlT_E_NS1_11comp_targetILNS1_3genE4ELNS1_11target_archE910ELNS1_3gpuE8ELNS1_3repE0EEENS1_30default_config_static_selectorELNS0_4arch9wavefront6targetE0EEEvSP_
; %bb.0:
	.section	.rodata,"a",@progbits
	.p2align	6, 0x0
	.amdhsa_kernel _ZN7rocprim17ROCPRIM_400000_NS6detail17trampoline_kernelINS0_14default_configENS1_32segmented_reduce_config_selectorIdEEZNS1_21segmented_reduce_implIS3_PKdPdPKldN6hipcub16HIPCUB_304000_NS6detail27convert_result_type_wrapperIS8_S9_N2at6native12_GLOBAL__N_19CustomMaxEEEEE10hipError_tPvRmT0_T1_jT2_SQ_T4_T3_P12ihipStream_tbEUlT_E_NS1_11comp_targetILNS1_3genE4ELNS1_11target_archE910ELNS1_3gpuE8ELNS1_3repE0EEENS1_30default_config_static_selectorELNS0_4arch9wavefront6targetE0EEEvSP_
		.amdhsa_group_segment_fixed_size 0
		.amdhsa_private_segment_fixed_size 0
		.amdhsa_kernarg_size 56
		.amdhsa_user_sgpr_count 15
		.amdhsa_user_sgpr_dispatch_ptr 0
		.amdhsa_user_sgpr_queue_ptr 0
		.amdhsa_user_sgpr_kernarg_segment_ptr 1
		.amdhsa_user_sgpr_dispatch_id 0
		.amdhsa_user_sgpr_private_segment_size 0
		.amdhsa_wavefront_size32 1
		.amdhsa_uses_dynamic_stack 0
		.amdhsa_enable_private_segment 0
		.amdhsa_system_sgpr_workgroup_id_x 1
		.amdhsa_system_sgpr_workgroup_id_y 0
		.amdhsa_system_sgpr_workgroup_id_z 0
		.amdhsa_system_sgpr_workgroup_info 0
		.amdhsa_system_vgpr_workitem_id 0
		.amdhsa_next_free_vgpr 1
		.amdhsa_next_free_sgpr 1
		.amdhsa_reserve_vcc 0
		.amdhsa_float_round_mode_32 0
		.amdhsa_float_round_mode_16_64 0
		.amdhsa_float_denorm_mode_32 3
		.amdhsa_float_denorm_mode_16_64 3
		.amdhsa_dx10_clamp 1
		.amdhsa_ieee_mode 1
		.amdhsa_fp16_overflow 0
		.amdhsa_workgroup_processor_mode 1
		.amdhsa_memory_ordered 1
		.amdhsa_forward_progress 0
		.amdhsa_shared_vgpr_count 0
		.amdhsa_exception_fp_ieee_invalid_op 0
		.amdhsa_exception_fp_denorm_src 0
		.amdhsa_exception_fp_ieee_div_zero 0
		.amdhsa_exception_fp_ieee_overflow 0
		.amdhsa_exception_fp_ieee_underflow 0
		.amdhsa_exception_fp_ieee_inexact 0
		.amdhsa_exception_int_div_zero 0
	.end_amdhsa_kernel
	.section	.text._ZN7rocprim17ROCPRIM_400000_NS6detail17trampoline_kernelINS0_14default_configENS1_32segmented_reduce_config_selectorIdEEZNS1_21segmented_reduce_implIS3_PKdPdPKldN6hipcub16HIPCUB_304000_NS6detail27convert_result_type_wrapperIS8_S9_N2at6native12_GLOBAL__N_19CustomMaxEEEEE10hipError_tPvRmT0_T1_jT2_SQ_T4_T3_P12ihipStream_tbEUlT_E_NS1_11comp_targetILNS1_3genE4ELNS1_11target_archE910ELNS1_3gpuE8ELNS1_3repE0EEENS1_30default_config_static_selectorELNS0_4arch9wavefront6targetE0EEEvSP_,"axG",@progbits,_ZN7rocprim17ROCPRIM_400000_NS6detail17trampoline_kernelINS0_14default_configENS1_32segmented_reduce_config_selectorIdEEZNS1_21segmented_reduce_implIS3_PKdPdPKldN6hipcub16HIPCUB_304000_NS6detail27convert_result_type_wrapperIS8_S9_N2at6native12_GLOBAL__N_19CustomMaxEEEEE10hipError_tPvRmT0_T1_jT2_SQ_T4_T3_P12ihipStream_tbEUlT_E_NS1_11comp_targetILNS1_3genE4ELNS1_11target_archE910ELNS1_3gpuE8ELNS1_3repE0EEENS1_30default_config_static_selectorELNS0_4arch9wavefront6targetE0EEEvSP_,comdat
.Lfunc_end148:
	.size	_ZN7rocprim17ROCPRIM_400000_NS6detail17trampoline_kernelINS0_14default_configENS1_32segmented_reduce_config_selectorIdEEZNS1_21segmented_reduce_implIS3_PKdPdPKldN6hipcub16HIPCUB_304000_NS6detail27convert_result_type_wrapperIS8_S9_N2at6native12_GLOBAL__N_19CustomMaxEEEEE10hipError_tPvRmT0_T1_jT2_SQ_T4_T3_P12ihipStream_tbEUlT_E_NS1_11comp_targetILNS1_3genE4ELNS1_11target_archE910ELNS1_3gpuE8ELNS1_3repE0EEENS1_30default_config_static_selectorELNS0_4arch9wavefront6targetE0EEEvSP_, .Lfunc_end148-_ZN7rocprim17ROCPRIM_400000_NS6detail17trampoline_kernelINS0_14default_configENS1_32segmented_reduce_config_selectorIdEEZNS1_21segmented_reduce_implIS3_PKdPdPKldN6hipcub16HIPCUB_304000_NS6detail27convert_result_type_wrapperIS8_S9_N2at6native12_GLOBAL__N_19CustomMaxEEEEE10hipError_tPvRmT0_T1_jT2_SQ_T4_T3_P12ihipStream_tbEUlT_E_NS1_11comp_targetILNS1_3genE4ELNS1_11target_archE910ELNS1_3gpuE8ELNS1_3repE0EEENS1_30default_config_static_selectorELNS0_4arch9wavefront6targetE0EEEvSP_
                                        ; -- End function
	.section	.AMDGPU.csdata,"",@progbits
; Kernel info:
; codeLenInByte = 0
; NumSgprs: 0
; NumVgprs: 0
; ScratchSize: 0
; MemoryBound: 0
; FloatMode: 240
; IeeeMode: 1
; LDSByteSize: 0 bytes/workgroup (compile time only)
; SGPRBlocks: 0
; VGPRBlocks: 0
; NumSGPRsForWavesPerEU: 1
; NumVGPRsForWavesPerEU: 1
; Occupancy: 16
; WaveLimiterHint : 0
; COMPUTE_PGM_RSRC2:SCRATCH_EN: 0
; COMPUTE_PGM_RSRC2:USER_SGPR: 15
; COMPUTE_PGM_RSRC2:TRAP_HANDLER: 0
; COMPUTE_PGM_RSRC2:TGID_X_EN: 1
; COMPUTE_PGM_RSRC2:TGID_Y_EN: 0
; COMPUTE_PGM_RSRC2:TGID_Z_EN: 0
; COMPUTE_PGM_RSRC2:TIDIG_COMP_CNT: 0
	.section	.text._ZN7rocprim17ROCPRIM_400000_NS6detail17trampoline_kernelINS0_14default_configENS1_32segmented_reduce_config_selectorIdEEZNS1_21segmented_reduce_implIS3_PKdPdPKldN6hipcub16HIPCUB_304000_NS6detail27convert_result_type_wrapperIS8_S9_N2at6native12_GLOBAL__N_19CustomMaxEEEEE10hipError_tPvRmT0_T1_jT2_SQ_T4_T3_P12ihipStream_tbEUlT_E_NS1_11comp_targetILNS1_3genE3ELNS1_11target_archE908ELNS1_3gpuE7ELNS1_3repE0EEENS1_30default_config_static_selectorELNS0_4arch9wavefront6targetE0EEEvSP_,"axG",@progbits,_ZN7rocprim17ROCPRIM_400000_NS6detail17trampoline_kernelINS0_14default_configENS1_32segmented_reduce_config_selectorIdEEZNS1_21segmented_reduce_implIS3_PKdPdPKldN6hipcub16HIPCUB_304000_NS6detail27convert_result_type_wrapperIS8_S9_N2at6native12_GLOBAL__N_19CustomMaxEEEEE10hipError_tPvRmT0_T1_jT2_SQ_T4_T3_P12ihipStream_tbEUlT_E_NS1_11comp_targetILNS1_3genE3ELNS1_11target_archE908ELNS1_3gpuE7ELNS1_3repE0EEENS1_30default_config_static_selectorELNS0_4arch9wavefront6targetE0EEEvSP_,comdat
	.globl	_ZN7rocprim17ROCPRIM_400000_NS6detail17trampoline_kernelINS0_14default_configENS1_32segmented_reduce_config_selectorIdEEZNS1_21segmented_reduce_implIS3_PKdPdPKldN6hipcub16HIPCUB_304000_NS6detail27convert_result_type_wrapperIS8_S9_N2at6native12_GLOBAL__N_19CustomMaxEEEEE10hipError_tPvRmT0_T1_jT2_SQ_T4_T3_P12ihipStream_tbEUlT_E_NS1_11comp_targetILNS1_3genE3ELNS1_11target_archE908ELNS1_3gpuE7ELNS1_3repE0EEENS1_30default_config_static_selectorELNS0_4arch9wavefront6targetE0EEEvSP_ ; -- Begin function _ZN7rocprim17ROCPRIM_400000_NS6detail17trampoline_kernelINS0_14default_configENS1_32segmented_reduce_config_selectorIdEEZNS1_21segmented_reduce_implIS3_PKdPdPKldN6hipcub16HIPCUB_304000_NS6detail27convert_result_type_wrapperIS8_S9_N2at6native12_GLOBAL__N_19CustomMaxEEEEE10hipError_tPvRmT0_T1_jT2_SQ_T4_T3_P12ihipStream_tbEUlT_E_NS1_11comp_targetILNS1_3genE3ELNS1_11target_archE908ELNS1_3gpuE7ELNS1_3repE0EEENS1_30default_config_static_selectorELNS0_4arch9wavefront6targetE0EEEvSP_
	.p2align	8
	.type	_ZN7rocprim17ROCPRIM_400000_NS6detail17trampoline_kernelINS0_14default_configENS1_32segmented_reduce_config_selectorIdEEZNS1_21segmented_reduce_implIS3_PKdPdPKldN6hipcub16HIPCUB_304000_NS6detail27convert_result_type_wrapperIS8_S9_N2at6native12_GLOBAL__N_19CustomMaxEEEEE10hipError_tPvRmT0_T1_jT2_SQ_T4_T3_P12ihipStream_tbEUlT_E_NS1_11comp_targetILNS1_3genE3ELNS1_11target_archE908ELNS1_3gpuE7ELNS1_3repE0EEENS1_30default_config_static_selectorELNS0_4arch9wavefront6targetE0EEEvSP_,@function
_ZN7rocprim17ROCPRIM_400000_NS6detail17trampoline_kernelINS0_14default_configENS1_32segmented_reduce_config_selectorIdEEZNS1_21segmented_reduce_implIS3_PKdPdPKldN6hipcub16HIPCUB_304000_NS6detail27convert_result_type_wrapperIS8_S9_N2at6native12_GLOBAL__N_19CustomMaxEEEEE10hipError_tPvRmT0_T1_jT2_SQ_T4_T3_P12ihipStream_tbEUlT_E_NS1_11comp_targetILNS1_3genE3ELNS1_11target_archE908ELNS1_3gpuE7ELNS1_3repE0EEENS1_30default_config_static_selectorELNS0_4arch9wavefront6targetE0EEEvSP_: ; @_ZN7rocprim17ROCPRIM_400000_NS6detail17trampoline_kernelINS0_14default_configENS1_32segmented_reduce_config_selectorIdEEZNS1_21segmented_reduce_implIS3_PKdPdPKldN6hipcub16HIPCUB_304000_NS6detail27convert_result_type_wrapperIS8_S9_N2at6native12_GLOBAL__N_19CustomMaxEEEEE10hipError_tPvRmT0_T1_jT2_SQ_T4_T3_P12ihipStream_tbEUlT_E_NS1_11comp_targetILNS1_3genE3ELNS1_11target_archE908ELNS1_3gpuE7ELNS1_3repE0EEENS1_30default_config_static_selectorELNS0_4arch9wavefront6targetE0EEEvSP_
; %bb.0:
	.section	.rodata,"a",@progbits
	.p2align	6, 0x0
	.amdhsa_kernel _ZN7rocprim17ROCPRIM_400000_NS6detail17trampoline_kernelINS0_14default_configENS1_32segmented_reduce_config_selectorIdEEZNS1_21segmented_reduce_implIS3_PKdPdPKldN6hipcub16HIPCUB_304000_NS6detail27convert_result_type_wrapperIS8_S9_N2at6native12_GLOBAL__N_19CustomMaxEEEEE10hipError_tPvRmT0_T1_jT2_SQ_T4_T3_P12ihipStream_tbEUlT_E_NS1_11comp_targetILNS1_3genE3ELNS1_11target_archE908ELNS1_3gpuE7ELNS1_3repE0EEENS1_30default_config_static_selectorELNS0_4arch9wavefront6targetE0EEEvSP_
		.amdhsa_group_segment_fixed_size 0
		.amdhsa_private_segment_fixed_size 0
		.amdhsa_kernarg_size 56
		.amdhsa_user_sgpr_count 15
		.amdhsa_user_sgpr_dispatch_ptr 0
		.amdhsa_user_sgpr_queue_ptr 0
		.amdhsa_user_sgpr_kernarg_segment_ptr 1
		.amdhsa_user_sgpr_dispatch_id 0
		.amdhsa_user_sgpr_private_segment_size 0
		.amdhsa_wavefront_size32 1
		.amdhsa_uses_dynamic_stack 0
		.amdhsa_enable_private_segment 0
		.amdhsa_system_sgpr_workgroup_id_x 1
		.amdhsa_system_sgpr_workgroup_id_y 0
		.amdhsa_system_sgpr_workgroup_id_z 0
		.amdhsa_system_sgpr_workgroup_info 0
		.amdhsa_system_vgpr_workitem_id 0
		.amdhsa_next_free_vgpr 1
		.amdhsa_next_free_sgpr 1
		.amdhsa_reserve_vcc 0
		.amdhsa_float_round_mode_32 0
		.amdhsa_float_round_mode_16_64 0
		.amdhsa_float_denorm_mode_32 3
		.amdhsa_float_denorm_mode_16_64 3
		.amdhsa_dx10_clamp 1
		.amdhsa_ieee_mode 1
		.amdhsa_fp16_overflow 0
		.amdhsa_workgroup_processor_mode 1
		.amdhsa_memory_ordered 1
		.amdhsa_forward_progress 0
		.amdhsa_shared_vgpr_count 0
		.amdhsa_exception_fp_ieee_invalid_op 0
		.amdhsa_exception_fp_denorm_src 0
		.amdhsa_exception_fp_ieee_div_zero 0
		.amdhsa_exception_fp_ieee_overflow 0
		.amdhsa_exception_fp_ieee_underflow 0
		.amdhsa_exception_fp_ieee_inexact 0
		.amdhsa_exception_int_div_zero 0
	.end_amdhsa_kernel
	.section	.text._ZN7rocprim17ROCPRIM_400000_NS6detail17trampoline_kernelINS0_14default_configENS1_32segmented_reduce_config_selectorIdEEZNS1_21segmented_reduce_implIS3_PKdPdPKldN6hipcub16HIPCUB_304000_NS6detail27convert_result_type_wrapperIS8_S9_N2at6native12_GLOBAL__N_19CustomMaxEEEEE10hipError_tPvRmT0_T1_jT2_SQ_T4_T3_P12ihipStream_tbEUlT_E_NS1_11comp_targetILNS1_3genE3ELNS1_11target_archE908ELNS1_3gpuE7ELNS1_3repE0EEENS1_30default_config_static_selectorELNS0_4arch9wavefront6targetE0EEEvSP_,"axG",@progbits,_ZN7rocprim17ROCPRIM_400000_NS6detail17trampoline_kernelINS0_14default_configENS1_32segmented_reduce_config_selectorIdEEZNS1_21segmented_reduce_implIS3_PKdPdPKldN6hipcub16HIPCUB_304000_NS6detail27convert_result_type_wrapperIS8_S9_N2at6native12_GLOBAL__N_19CustomMaxEEEEE10hipError_tPvRmT0_T1_jT2_SQ_T4_T3_P12ihipStream_tbEUlT_E_NS1_11comp_targetILNS1_3genE3ELNS1_11target_archE908ELNS1_3gpuE7ELNS1_3repE0EEENS1_30default_config_static_selectorELNS0_4arch9wavefront6targetE0EEEvSP_,comdat
.Lfunc_end149:
	.size	_ZN7rocprim17ROCPRIM_400000_NS6detail17trampoline_kernelINS0_14default_configENS1_32segmented_reduce_config_selectorIdEEZNS1_21segmented_reduce_implIS3_PKdPdPKldN6hipcub16HIPCUB_304000_NS6detail27convert_result_type_wrapperIS8_S9_N2at6native12_GLOBAL__N_19CustomMaxEEEEE10hipError_tPvRmT0_T1_jT2_SQ_T4_T3_P12ihipStream_tbEUlT_E_NS1_11comp_targetILNS1_3genE3ELNS1_11target_archE908ELNS1_3gpuE7ELNS1_3repE0EEENS1_30default_config_static_selectorELNS0_4arch9wavefront6targetE0EEEvSP_, .Lfunc_end149-_ZN7rocprim17ROCPRIM_400000_NS6detail17trampoline_kernelINS0_14default_configENS1_32segmented_reduce_config_selectorIdEEZNS1_21segmented_reduce_implIS3_PKdPdPKldN6hipcub16HIPCUB_304000_NS6detail27convert_result_type_wrapperIS8_S9_N2at6native12_GLOBAL__N_19CustomMaxEEEEE10hipError_tPvRmT0_T1_jT2_SQ_T4_T3_P12ihipStream_tbEUlT_E_NS1_11comp_targetILNS1_3genE3ELNS1_11target_archE908ELNS1_3gpuE7ELNS1_3repE0EEENS1_30default_config_static_selectorELNS0_4arch9wavefront6targetE0EEEvSP_
                                        ; -- End function
	.section	.AMDGPU.csdata,"",@progbits
; Kernel info:
; codeLenInByte = 0
; NumSgprs: 0
; NumVgprs: 0
; ScratchSize: 0
; MemoryBound: 0
; FloatMode: 240
; IeeeMode: 1
; LDSByteSize: 0 bytes/workgroup (compile time only)
; SGPRBlocks: 0
; VGPRBlocks: 0
; NumSGPRsForWavesPerEU: 1
; NumVGPRsForWavesPerEU: 1
; Occupancy: 16
; WaveLimiterHint : 0
; COMPUTE_PGM_RSRC2:SCRATCH_EN: 0
; COMPUTE_PGM_RSRC2:USER_SGPR: 15
; COMPUTE_PGM_RSRC2:TRAP_HANDLER: 0
; COMPUTE_PGM_RSRC2:TGID_X_EN: 1
; COMPUTE_PGM_RSRC2:TGID_Y_EN: 0
; COMPUTE_PGM_RSRC2:TGID_Z_EN: 0
; COMPUTE_PGM_RSRC2:TIDIG_COMP_CNT: 0
	.section	.text._ZN7rocprim17ROCPRIM_400000_NS6detail17trampoline_kernelINS0_14default_configENS1_32segmented_reduce_config_selectorIdEEZNS1_21segmented_reduce_implIS3_PKdPdPKldN6hipcub16HIPCUB_304000_NS6detail27convert_result_type_wrapperIS8_S9_N2at6native12_GLOBAL__N_19CustomMaxEEEEE10hipError_tPvRmT0_T1_jT2_SQ_T4_T3_P12ihipStream_tbEUlT_E_NS1_11comp_targetILNS1_3genE2ELNS1_11target_archE906ELNS1_3gpuE6ELNS1_3repE0EEENS1_30default_config_static_selectorELNS0_4arch9wavefront6targetE0EEEvSP_,"axG",@progbits,_ZN7rocprim17ROCPRIM_400000_NS6detail17trampoline_kernelINS0_14default_configENS1_32segmented_reduce_config_selectorIdEEZNS1_21segmented_reduce_implIS3_PKdPdPKldN6hipcub16HIPCUB_304000_NS6detail27convert_result_type_wrapperIS8_S9_N2at6native12_GLOBAL__N_19CustomMaxEEEEE10hipError_tPvRmT0_T1_jT2_SQ_T4_T3_P12ihipStream_tbEUlT_E_NS1_11comp_targetILNS1_3genE2ELNS1_11target_archE906ELNS1_3gpuE6ELNS1_3repE0EEENS1_30default_config_static_selectorELNS0_4arch9wavefront6targetE0EEEvSP_,comdat
	.globl	_ZN7rocprim17ROCPRIM_400000_NS6detail17trampoline_kernelINS0_14default_configENS1_32segmented_reduce_config_selectorIdEEZNS1_21segmented_reduce_implIS3_PKdPdPKldN6hipcub16HIPCUB_304000_NS6detail27convert_result_type_wrapperIS8_S9_N2at6native12_GLOBAL__N_19CustomMaxEEEEE10hipError_tPvRmT0_T1_jT2_SQ_T4_T3_P12ihipStream_tbEUlT_E_NS1_11comp_targetILNS1_3genE2ELNS1_11target_archE906ELNS1_3gpuE6ELNS1_3repE0EEENS1_30default_config_static_selectorELNS0_4arch9wavefront6targetE0EEEvSP_ ; -- Begin function _ZN7rocprim17ROCPRIM_400000_NS6detail17trampoline_kernelINS0_14default_configENS1_32segmented_reduce_config_selectorIdEEZNS1_21segmented_reduce_implIS3_PKdPdPKldN6hipcub16HIPCUB_304000_NS6detail27convert_result_type_wrapperIS8_S9_N2at6native12_GLOBAL__N_19CustomMaxEEEEE10hipError_tPvRmT0_T1_jT2_SQ_T4_T3_P12ihipStream_tbEUlT_E_NS1_11comp_targetILNS1_3genE2ELNS1_11target_archE906ELNS1_3gpuE6ELNS1_3repE0EEENS1_30default_config_static_selectorELNS0_4arch9wavefront6targetE0EEEvSP_
	.p2align	8
	.type	_ZN7rocprim17ROCPRIM_400000_NS6detail17trampoline_kernelINS0_14default_configENS1_32segmented_reduce_config_selectorIdEEZNS1_21segmented_reduce_implIS3_PKdPdPKldN6hipcub16HIPCUB_304000_NS6detail27convert_result_type_wrapperIS8_S9_N2at6native12_GLOBAL__N_19CustomMaxEEEEE10hipError_tPvRmT0_T1_jT2_SQ_T4_T3_P12ihipStream_tbEUlT_E_NS1_11comp_targetILNS1_3genE2ELNS1_11target_archE906ELNS1_3gpuE6ELNS1_3repE0EEENS1_30default_config_static_selectorELNS0_4arch9wavefront6targetE0EEEvSP_,@function
_ZN7rocprim17ROCPRIM_400000_NS6detail17trampoline_kernelINS0_14default_configENS1_32segmented_reduce_config_selectorIdEEZNS1_21segmented_reduce_implIS3_PKdPdPKldN6hipcub16HIPCUB_304000_NS6detail27convert_result_type_wrapperIS8_S9_N2at6native12_GLOBAL__N_19CustomMaxEEEEE10hipError_tPvRmT0_T1_jT2_SQ_T4_T3_P12ihipStream_tbEUlT_E_NS1_11comp_targetILNS1_3genE2ELNS1_11target_archE906ELNS1_3gpuE6ELNS1_3repE0EEENS1_30default_config_static_selectorELNS0_4arch9wavefront6targetE0EEEvSP_: ; @_ZN7rocprim17ROCPRIM_400000_NS6detail17trampoline_kernelINS0_14default_configENS1_32segmented_reduce_config_selectorIdEEZNS1_21segmented_reduce_implIS3_PKdPdPKldN6hipcub16HIPCUB_304000_NS6detail27convert_result_type_wrapperIS8_S9_N2at6native12_GLOBAL__N_19CustomMaxEEEEE10hipError_tPvRmT0_T1_jT2_SQ_T4_T3_P12ihipStream_tbEUlT_E_NS1_11comp_targetILNS1_3genE2ELNS1_11target_archE906ELNS1_3gpuE6ELNS1_3repE0EEENS1_30default_config_static_selectorELNS0_4arch9wavefront6targetE0EEEvSP_
; %bb.0:
	.section	.rodata,"a",@progbits
	.p2align	6, 0x0
	.amdhsa_kernel _ZN7rocprim17ROCPRIM_400000_NS6detail17trampoline_kernelINS0_14default_configENS1_32segmented_reduce_config_selectorIdEEZNS1_21segmented_reduce_implIS3_PKdPdPKldN6hipcub16HIPCUB_304000_NS6detail27convert_result_type_wrapperIS8_S9_N2at6native12_GLOBAL__N_19CustomMaxEEEEE10hipError_tPvRmT0_T1_jT2_SQ_T4_T3_P12ihipStream_tbEUlT_E_NS1_11comp_targetILNS1_3genE2ELNS1_11target_archE906ELNS1_3gpuE6ELNS1_3repE0EEENS1_30default_config_static_selectorELNS0_4arch9wavefront6targetE0EEEvSP_
		.amdhsa_group_segment_fixed_size 0
		.amdhsa_private_segment_fixed_size 0
		.amdhsa_kernarg_size 56
		.amdhsa_user_sgpr_count 15
		.amdhsa_user_sgpr_dispatch_ptr 0
		.amdhsa_user_sgpr_queue_ptr 0
		.amdhsa_user_sgpr_kernarg_segment_ptr 1
		.amdhsa_user_sgpr_dispatch_id 0
		.amdhsa_user_sgpr_private_segment_size 0
		.amdhsa_wavefront_size32 1
		.amdhsa_uses_dynamic_stack 0
		.amdhsa_enable_private_segment 0
		.amdhsa_system_sgpr_workgroup_id_x 1
		.amdhsa_system_sgpr_workgroup_id_y 0
		.amdhsa_system_sgpr_workgroup_id_z 0
		.amdhsa_system_sgpr_workgroup_info 0
		.amdhsa_system_vgpr_workitem_id 0
		.amdhsa_next_free_vgpr 1
		.amdhsa_next_free_sgpr 1
		.amdhsa_reserve_vcc 0
		.amdhsa_float_round_mode_32 0
		.amdhsa_float_round_mode_16_64 0
		.amdhsa_float_denorm_mode_32 3
		.amdhsa_float_denorm_mode_16_64 3
		.amdhsa_dx10_clamp 1
		.amdhsa_ieee_mode 1
		.amdhsa_fp16_overflow 0
		.amdhsa_workgroup_processor_mode 1
		.amdhsa_memory_ordered 1
		.amdhsa_forward_progress 0
		.amdhsa_shared_vgpr_count 0
		.amdhsa_exception_fp_ieee_invalid_op 0
		.amdhsa_exception_fp_denorm_src 0
		.amdhsa_exception_fp_ieee_div_zero 0
		.amdhsa_exception_fp_ieee_overflow 0
		.amdhsa_exception_fp_ieee_underflow 0
		.amdhsa_exception_fp_ieee_inexact 0
		.amdhsa_exception_int_div_zero 0
	.end_amdhsa_kernel
	.section	.text._ZN7rocprim17ROCPRIM_400000_NS6detail17trampoline_kernelINS0_14default_configENS1_32segmented_reduce_config_selectorIdEEZNS1_21segmented_reduce_implIS3_PKdPdPKldN6hipcub16HIPCUB_304000_NS6detail27convert_result_type_wrapperIS8_S9_N2at6native12_GLOBAL__N_19CustomMaxEEEEE10hipError_tPvRmT0_T1_jT2_SQ_T4_T3_P12ihipStream_tbEUlT_E_NS1_11comp_targetILNS1_3genE2ELNS1_11target_archE906ELNS1_3gpuE6ELNS1_3repE0EEENS1_30default_config_static_selectorELNS0_4arch9wavefront6targetE0EEEvSP_,"axG",@progbits,_ZN7rocprim17ROCPRIM_400000_NS6detail17trampoline_kernelINS0_14default_configENS1_32segmented_reduce_config_selectorIdEEZNS1_21segmented_reduce_implIS3_PKdPdPKldN6hipcub16HIPCUB_304000_NS6detail27convert_result_type_wrapperIS8_S9_N2at6native12_GLOBAL__N_19CustomMaxEEEEE10hipError_tPvRmT0_T1_jT2_SQ_T4_T3_P12ihipStream_tbEUlT_E_NS1_11comp_targetILNS1_3genE2ELNS1_11target_archE906ELNS1_3gpuE6ELNS1_3repE0EEENS1_30default_config_static_selectorELNS0_4arch9wavefront6targetE0EEEvSP_,comdat
.Lfunc_end150:
	.size	_ZN7rocprim17ROCPRIM_400000_NS6detail17trampoline_kernelINS0_14default_configENS1_32segmented_reduce_config_selectorIdEEZNS1_21segmented_reduce_implIS3_PKdPdPKldN6hipcub16HIPCUB_304000_NS6detail27convert_result_type_wrapperIS8_S9_N2at6native12_GLOBAL__N_19CustomMaxEEEEE10hipError_tPvRmT0_T1_jT2_SQ_T4_T3_P12ihipStream_tbEUlT_E_NS1_11comp_targetILNS1_3genE2ELNS1_11target_archE906ELNS1_3gpuE6ELNS1_3repE0EEENS1_30default_config_static_selectorELNS0_4arch9wavefront6targetE0EEEvSP_, .Lfunc_end150-_ZN7rocprim17ROCPRIM_400000_NS6detail17trampoline_kernelINS0_14default_configENS1_32segmented_reduce_config_selectorIdEEZNS1_21segmented_reduce_implIS3_PKdPdPKldN6hipcub16HIPCUB_304000_NS6detail27convert_result_type_wrapperIS8_S9_N2at6native12_GLOBAL__N_19CustomMaxEEEEE10hipError_tPvRmT0_T1_jT2_SQ_T4_T3_P12ihipStream_tbEUlT_E_NS1_11comp_targetILNS1_3genE2ELNS1_11target_archE906ELNS1_3gpuE6ELNS1_3repE0EEENS1_30default_config_static_selectorELNS0_4arch9wavefront6targetE0EEEvSP_
                                        ; -- End function
	.section	.AMDGPU.csdata,"",@progbits
; Kernel info:
; codeLenInByte = 0
; NumSgprs: 0
; NumVgprs: 0
; ScratchSize: 0
; MemoryBound: 0
; FloatMode: 240
; IeeeMode: 1
; LDSByteSize: 0 bytes/workgroup (compile time only)
; SGPRBlocks: 0
; VGPRBlocks: 0
; NumSGPRsForWavesPerEU: 1
; NumVGPRsForWavesPerEU: 1
; Occupancy: 16
; WaveLimiterHint : 0
; COMPUTE_PGM_RSRC2:SCRATCH_EN: 0
; COMPUTE_PGM_RSRC2:USER_SGPR: 15
; COMPUTE_PGM_RSRC2:TRAP_HANDLER: 0
; COMPUTE_PGM_RSRC2:TGID_X_EN: 1
; COMPUTE_PGM_RSRC2:TGID_Y_EN: 0
; COMPUTE_PGM_RSRC2:TGID_Z_EN: 0
; COMPUTE_PGM_RSRC2:TIDIG_COMP_CNT: 0
	.section	.text._ZN7rocprim17ROCPRIM_400000_NS6detail17trampoline_kernelINS0_14default_configENS1_32segmented_reduce_config_selectorIdEEZNS1_21segmented_reduce_implIS3_PKdPdPKldN6hipcub16HIPCUB_304000_NS6detail27convert_result_type_wrapperIS8_S9_N2at6native12_GLOBAL__N_19CustomMaxEEEEE10hipError_tPvRmT0_T1_jT2_SQ_T4_T3_P12ihipStream_tbEUlT_E_NS1_11comp_targetILNS1_3genE9ELNS1_11target_archE1100ELNS1_3gpuE3ELNS1_3repE0EEENS1_30default_config_static_selectorELNS0_4arch9wavefront6targetE0EEEvSP_,"axG",@progbits,_ZN7rocprim17ROCPRIM_400000_NS6detail17trampoline_kernelINS0_14default_configENS1_32segmented_reduce_config_selectorIdEEZNS1_21segmented_reduce_implIS3_PKdPdPKldN6hipcub16HIPCUB_304000_NS6detail27convert_result_type_wrapperIS8_S9_N2at6native12_GLOBAL__N_19CustomMaxEEEEE10hipError_tPvRmT0_T1_jT2_SQ_T4_T3_P12ihipStream_tbEUlT_E_NS1_11comp_targetILNS1_3genE9ELNS1_11target_archE1100ELNS1_3gpuE3ELNS1_3repE0EEENS1_30default_config_static_selectorELNS0_4arch9wavefront6targetE0EEEvSP_,comdat
	.globl	_ZN7rocprim17ROCPRIM_400000_NS6detail17trampoline_kernelINS0_14default_configENS1_32segmented_reduce_config_selectorIdEEZNS1_21segmented_reduce_implIS3_PKdPdPKldN6hipcub16HIPCUB_304000_NS6detail27convert_result_type_wrapperIS8_S9_N2at6native12_GLOBAL__N_19CustomMaxEEEEE10hipError_tPvRmT0_T1_jT2_SQ_T4_T3_P12ihipStream_tbEUlT_E_NS1_11comp_targetILNS1_3genE9ELNS1_11target_archE1100ELNS1_3gpuE3ELNS1_3repE0EEENS1_30default_config_static_selectorELNS0_4arch9wavefront6targetE0EEEvSP_ ; -- Begin function _ZN7rocprim17ROCPRIM_400000_NS6detail17trampoline_kernelINS0_14default_configENS1_32segmented_reduce_config_selectorIdEEZNS1_21segmented_reduce_implIS3_PKdPdPKldN6hipcub16HIPCUB_304000_NS6detail27convert_result_type_wrapperIS8_S9_N2at6native12_GLOBAL__N_19CustomMaxEEEEE10hipError_tPvRmT0_T1_jT2_SQ_T4_T3_P12ihipStream_tbEUlT_E_NS1_11comp_targetILNS1_3genE9ELNS1_11target_archE1100ELNS1_3gpuE3ELNS1_3repE0EEENS1_30default_config_static_selectorELNS0_4arch9wavefront6targetE0EEEvSP_
	.p2align	8
	.type	_ZN7rocprim17ROCPRIM_400000_NS6detail17trampoline_kernelINS0_14default_configENS1_32segmented_reduce_config_selectorIdEEZNS1_21segmented_reduce_implIS3_PKdPdPKldN6hipcub16HIPCUB_304000_NS6detail27convert_result_type_wrapperIS8_S9_N2at6native12_GLOBAL__N_19CustomMaxEEEEE10hipError_tPvRmT0_T1_jT2_SQ_T4_T3_P12ihipStream_tbEUlT_E_NS1_11comp_targetILNS1_3genE9ELNS1_11target_archE1100ELNS1_3gpuE3ELNS1_3repE0EEENS1_30default_config_static_selectorELNS0_4arch9wavefront6targetE0EEEvSP_,@function
_ZN7rocprim17ROCPRIM_400000_NS6detail17trampoline_kernelINS0_14default_configENS1_32segmented_reduce_config_selectorIdEEZNS1_21segmented_reduce_implIS3_PKdPdPKldN6hipcub16HIPCUB_304000_NS6detail27convert_result_type_wrapperIS8_S9_N2at6native12_GLOBAL__N_19CustomMaxEEEEE10hipError_tPvRmT0_T1_jT2_SQ_T4_T3_P12ihipStream_tbEUlT_E_NS1_11comp_targetILNS1_3genE9ELNS1_11target_archE1100ELNS1_3gpuE3ELNS1_3repE0EEENS1_30default_config_static_selectorELNS0_4arch9wavefront6targetE0EEEvSP_: ; @_ZN7rocprim17ROCPRIM_400000_NS6detail17trampoline_kernelINS0_14default_configENS1_32segmented_reduce_config_selectorIdEEZNS1_21segmented_reduce_implIS3_PKdPdPKldN6hipcub16HIPCUB_304000_NS6detail27convert_result_type_wrapperIS8_S9_N2at6native12_GLOBAL__N_19CustomMaxEEEEE10hipError_tPvRmT0_T1_jT2_SQ_T4_T3_P12ihipStream_tbEUlT_E_NS1_11comp_targetILNS1_3genE9ELNS1_11target_archE1100ELNS1_3gpuE3ELNS1_3repE0EEENS1_30default_config_static_selectorELNS0_4arch9wavefront6targetE0EEEvSP_
; %bb.0:
	s_mov_b32 s2, s15
	s_clause 0x2
	s_load_b256 s[4:11], s[0:1], 0x0
	s_load_b64 s[14:15], s[0:1], 0x20
	s_load_b64 s[12:13], s[0:1], 0x30
	s_mov_b32 s3, 0
	s_waitcnt lgkmcnt(0)
	s_lshl_b64 s[8:9], s[8:9], 3
	s_delay_alu instid0(SALU_CYCLE_1) | instskip(SKIP_4) | instid1(SALU_CYCLE_1)
	s_add_u32 s0, s10, s8
	s_addc_u32 s1, s11, s9
	s_add_u32 s14, s14, s8
	s_addc_u32 s15, s15, s9
	s_lshl_b64 s[10:11], s[2:3], 3
	s_add_u32 s0, s0, s10
	s_addc_u32 s1, s1, s11
	s_add_u32 s14, s14, s10
	s_addc_u32 s15, s15, s11
	s_load_b64 s[16:17], s[0:1], 0x0
	s_load_b64 s[14:15], s[14:15], 0x0
	s_waitcnt lgkmcnt(0)
	v_cmp_gt_i64_e64 s0, s[14:15], s[16:17]
	s_delay_alu instid0(VALU_DEP_1)
	s_and_b32 vcc_lo, exec_lo, s0
	v_cmp_eq_u32_e64 s0, 0, v0
	s_cbranch_vccnz .LBB151_3
; %bb.1:
	s_delay_alu instid0(VALU_DEP_1)
	s_and_b32 s3, s0, exec_lo
	s_cbranch_execz .LBB151_4
; %bb.2:
	v_dual_mov_b32 v3, s12 :: v_dual_mov_b32 v4, s13
	s_and_saveexec_b32 s0, s3
	s_cbranch_execnz .LBB151_373
	s_branch .LBB151_374
.LBB151_3:
.LBB151_4:
	s_add_u32 s0, s16, 0x1000
	s_addc_u32 s1, s17, 0
	s_delay_alu instid0(SALU_CYCLE_1) | instskip(NEXT) | instid1(VALU_DEP_1)
	v_cmp_le_i64_e64 s2, s[0:1], s[14:15]
	s_and_b32 vcc_lo, exec_lo, s2
	s_cbranch_vccz .LBB151_133
; %bb.5:
	v_lshlrev_b32_e32 v39, 3, v0
	s_lshl_b64 s[18:19], s[16:17], 3
	s_delay_alu instid0(SALU_CYCLE_1) | instskip(SKIP_1) | instid1(VALU_DEP_1)
	s_add_u32 s20, s4, s18
	s_addc_u32 s21, s5, s19
	v_add_co_u32 v13, s2, s20, v39
	s_delay_alu instid0(VALU_DEP_1) | instskip(SKIP_1) | instid1(VALU_DEP_2)
	v_add_co_ci_u32_e64 v14, null, s21, 0, s2
	s_mov_b32 s2, exec_lo
	v_add_co_u32 v1, vcc_lo, 0x1000, v13
	s_delay_alu instid0(VALU_DEP_2)
	v_add_co_ci_u32_e32 v2, vcc_lo, 0, v14, vcc_lo
	v_add_co_u32 v17, vcc_lo, v13, 0x2000
	v_add_co_ci_u32_e32 v18, vcc_lo, 0, v14, vcc_lo
	v_add_co_u32 v3, vcc_lo, 0x2000, v13
	v_add_co_ci_u32_e32 v4, vcc_lo, 0, v14, vcc_lo
	s_clause 0x4
	global_load_b64 v[25:26], v[17:18], off
	global_load_b64 v[33:34], v39, s[20:21]
	global_load_b64 v[29:30], v39, s[20:21] offset:2048
	global_load_b64 v[27:28], v[1:2], off offset:2048
	global_load_b64 v[23:24], v[3:4], off offset:2048
	v_add_co_u32 v1, vcc_lo, 0x3000, v13
	v_add_co_ci_u32_e32 v2, vcc_lo, 0, v14, vcc_lo
	v_add_co_u32 v3, vcc_lo, v13, 0x4000
	v_add_co_ci_u32_e32 v4, vcc_lo, 0, v14, vcc_lo
	;; [unrolled: 2-line block ×7, first 2 shown]
	s_clause 0xa
	global_load_b64 v[21:22], v[3:4], off offset:-4096
	global_load_b64 v[15:16], v[3:4], off
	global_load_b64 v[11:12], v[7:8], off offset:-4096
	global_load_b64 v[7:8], v[7:8], off
	global_load_b64 v[19:20], v[1:2], off offset:2048
	global_load_b64 v[13:14], v[5:6], off offset:2048
	;; [unrolled: 1-line block ×4, first 2 shown]
	global_load_b64 v[3:4], v[35:36], off
	global_load_b64 v[31:32], v[17:18], off offset:-4096
	global_load_b64 v[1:2], v[35:36], off offset:2048
	s_waitcnt vmcnt(14)
	v_dual_mov_b32 v17, v33 :: v_dual_mov_b32 v18, v34
	v_cmpx_o_f64_e32 v[33:34], v[33:34]
	s_cbranch_execz .LBB151_9
; %bb.6:
	s_waitcnt vmcnt(13)
	v_dual_mov_b32 v17, v29 :: v_dual_mov_b32 v18, v30
	s_mov_b32 s20, exec_lo
	v_cmpx_o_f64_e32 v[29:30], v[29:30]
; %bb.7:
	v_cmp_lt_f64_e32 vcc_lo, v[33:34], v[29:30]
	v_dual_cndmask_b32 v18, v34, v30 :: v_dual_cndmask_b32 v17, v33, v29
; %bb.8:
	s_or_b32 exec_lo, exec_lo, s20
.LBB151_9:
	s_delay_alu instid0(SALU_CYCLE_1) | instskip(NEXT) | instid1(SALU_CYCLE_1)
	s_or_b32 exec_lo, exec_lo, s2
	s_mov_b32 s2, exec_lo
	s_delay_alu instid0(VALU_DEP_1)
	v_cmpx_o_f64_e32 v[17:18], v[17:18]
	s_cbranch_execz .LBB151_13
; %bb.10:
	s_waitcnt vmcnt(1)
	v_dual_mov_b32 v36, v32 :: v_dual_mov_b32 v35, v31
	s_mov_b32 s20, exec_lo
	v_cmpx_o_f64_e32 v[31:32], v[31:32]
; %bb.11:
	v_cmp_lt_f64_e32 vcc_lo, v[17:18], v[31:32]
	v_dual_cndmask_b32 v36, v18, v32 :: v_dual_cndmask_b32 v35, v17, v31
; %bb.12:
	s_or_b32 exec_lo, exec_lo, s20
	s_delay_alu instid0(VALU_DEP_1)
	v_dual_mov_b32 v17, v35 :: v_dual_mov_b32 v18, v36
.LBB151_13:
	s_or_b32 exec_lo, exec_lo, s2
	s_delay_alu instid0(SALU_CYCLE_1) | instskip(NEXT) | instid1(VALU_DEP_1)
	s_mov_b32 s2, exec_lo
	v_cmpx_o_f64_e32 v[17:18], v[17:18]
	s_cbranch_execz .LBB151_17
; %bb.14:
	s_waitcnt vmcnt(12)
	v_dual_mov_b32 v36, v28 :: v_dual_mov_b32 v35, v27
	s_mov_b32 s20, exec_lo
	v_cmpx_o_f64_e32 v[27:28], v[27:28]
; %bb.15:
	v_cmp_lt_f64_e32 vcc_lo, v[17:18], v[27:28]
	v_dual_cndmask_b32 v36, v18, v28 :: v_dual_cndmask_b32 v35, v17, v27
; %bb.16:
	s_or_b32 exec_lo, exec_lo, s20
	s_delay_alu instid0(VALU_DEP_1)
	v_dual_mov_b32 v17, v35 :: v_dual_mov_b32 v18, v36
.LBB151_17:
	s_or_b32 exec_lo, exec_lo, s2
	s_delay_alu instid0(SALU_CYCLE_1) | instskip(NEXT) | instid1(VALU_DEP_1)
	s_mov_b32 s2, exec_lo
	v_cmpx_o_f64_e32 v[17:18], v[17:18]
	s_cbranch_execz .LBB151_21
; %bb.18:
	v_dual_mov_b32 v36, v26 :: v_dual_mov_b32 v35, v25
	s_mov_b32 s20, exec_lo
	v_cmpx_o_f64_e32 v[25:26], v[25:26]
; %bb.19:
	v_cmp_lt_f64_e32 vcc_lo, v[17:18], v[25:26]
	v_dual_cndmask_b32 v36, v18, v26 :: v_dual_cndmask_b32 v35, v17, v25
; %bb.20:
	s_or_b32 exec_lo, exec_lo, s20
	s_delay_alu instid0(VALU_DEP_1)
	v_dual_mov_b32 v17, v35 :: v_dual_mov_b32 v18, v36
.LBB151_21:
	s_or_b32 exec_lo, exec_lo, s2
	s_delay_alu instid0(SALU_CYCLE_1) | instskip(NEXT) | instid1(VALU_DEP_1)
	s_mov_b32 s2, exec_lo
	v_cmpx_o_f64_e32 v[17:18], v[17:18]
	s_cbranch_execz .LBB151_25
; %bb.22:
	s_waitcnt vmcnt(11)
	v_dual_mov_b32 v36, v24 :: v_dual_mov_b32 v35, v23
	s_mov_b32 s20, exec_lo
	v_cmpx_o_f64_e32 v[23:24], v[23:24]
; %bb.23:
	v_cmp_lt_f64_e32 vcc_lo, v[17:18], v[23:24]
	v_dual_cndmask_b32 v36, v18, v24 :: v_dual_cndmask_b32 v35, v17, v23
; %bb.24:
	s_or_b32 exec_lo, exec_lo, s20
	s_delay_alu instid0(VALU_DEP_1)
	v_dual_mov_b32 v17, v35 :: v_dual_mov_b32 v18, v36
.LBB151_25:
	s_or_b32 exec_lo, exec_lo, s2
	s_delay_alu instid0(SALU_CYCLE_1) | instskip(NEXT) | instid1(VALU_DEP_1)
	s_mov_b32 s2, exec_lo
	v_cmpx_o_f64_e32 v[17:18], v[17:18]
	s_cbranch_execz .LBB151_29
; %bb.26:
	s_waitcnt vmcnt(10)
	v_dual_mov_b32 v36, v22 :: v_dual_mov_b32 v35, v21
	s_mov_b32 s20, exec_lo
	v_cmpx_o_f64_e32 v[21:22], v[21:22]
; %bb.27:
	v_cmp_lt_f64_e32 vcc_lo, v[17:18], v[21:22]
	v_dual_cndmask_b32 v36, v18, v22 :: v_dual_cndmask_b32 v35, v17, v21
; %bb.28:
	s_or_b32 exec_lo, exec_lo, s20
	s_delay_alu instid0(VALU_DEP_1)
	v_dual_mov_b32 v17, v35 :: v_dual_mov_b32 v18, v36
.LBB151_29:
	;; [unrolled: 18-line block ×11, first 2 shown]
	s_or_b32 exec_lo, exec_lo, s2
	s_add_u32 s20, s16, 0x2000
	s_addc_u32 s21, s17, 0
	s_delay_alu instid0(SALU_CYCLE_1) | instskip(NEXT) | instid1(VALU_DEP_1)
	v_cmp_ge_i64_e64 s2, s[20:21], s[14:15]
	s_and_b32 vcc_lo, exec_lo, s2
	s_cbranch_vccnz .LBB151_135
; %bb.66:
	s_add_u32 s2, s4, s18
	s_addc_u32 s18, s5, s19
	s_waitcnt vmcnt(0)
	v_add_co_u32 v1, s2, s2, v39
	s_delay_alu instid0(VALU_DEP_1) | instskip(NEXT) | instid1(VALU_DEP_2)
	v_add_co_ci_u32_e64 v2, null, s18, 0, s2
	v_add_co_u32 v35, vcc_lo, 0x8000, v1
	s_delay_alu instid0(VALU_DEP_2)
	v_add_co_ci_u32_e32 v36, vcc_lo, 0, v2, vcc_lo
.LBB151_67:                             ; =>This Inner Loop Header: Depth=1
	s_waitcnt vmcnt(0)
	s_delay_alu instid0(VALU_DEP_2) | instskip(NEXT) | instid1(VALU_DEP_2)
	v_add_co_u32 v1, vcc_lo, 0x1000, v35
	v_add_co_ci_u32_e32 v2, vcc_lo, 0, v36, vcc_lo
	v_add_co_u32 v3, vcc_lo, v35, 0x2000
	v_add_co_ci_u32_e32 v4, vcc_lo, 0, v36, vcc_lo
	;; [unrolled: 2-line block ×6, first 2 shown]
	s_clause 0x8
	global_load_b64 v[29:30], v[35:36], off offset:2048
	global_load_b64 v[31:32], v[3:4], off offset:-4096
	global_load_b64 v[25:26], v[3:4], off
	global_load_b64 v[21:22], v[9:10], off offset:-4096
	global_load_b64 v[15:16], v[9:10], off
	global_load_b64 v[27:28], v[1:2], off offset:2048
	global_load_b64 v[23:24], v[5:6], off offset:2048
	;; [unrolled: 1-line block ×4, first 2 shown]
	v_add_co_u32 v1, vcc_lo, v35, 0x6000
	v_add_co_ci_u32_e32 v2, vcc_lo, 0, v36, vcc_lo
	v_add_co_u32 v3, vcc_lo, 0x5000, v35
	v_add_co_ci_u32_e32 v4, vcc_lo, 0, v36, vcc_lo
	;; [unrolled: 2-line block ×4, first 2 shown]
	s_clause 0x6
	global_load_b64 v[11:12], v[1:2], off offset:-4096
	global_load_b64 v[33:34], v[35:36], off
	global_load_b64 v[7:8], v[1:2], off
	global_load_b64 v[9:10], v[3:4], off offset:2048
	global_load_b64 v[5:6], v[5:6], off offset:2048
	global_load_b64 v[3:4], v[37:38], off
	global_load_b64 v[1:2], v[37:38], off offset:2048
	s_mov_b32 s2, exec_lo
	v_cmpx_o_f64_e32 v[17:18], v[17:18]
	s_cbranch_execz .LBB151_71
; %bb.68:                               ;   in Loop: Header=BB151_67 Depth=1
	s_waitcnt vmcnt(5)
	v_dual_mov_b32 v38, v34 :: v_dual_mov_b32 v37, v33
	s_mov_b32 s18, exec_lo
	v_cmpx_o_f64_e32 v[33:34], v[33:34]
; %bb.69:                               ;   in Loop: Header=BB151_67 Depth=1
	v_cmp_lt_f64_e32 vcc_lo, v[17:18], v[33:34]
	v_dual_cndmask_b32 v38, v18, v34 :: v_dual_cndmask_b32 v37, v17, v33
; %bb.70:                               ;   in Loop: Header=BB151_67 Depth=1
	s_or_b32 exec_lo, exec_lo, s18
	s_delay_alu instid0(VALU_DEP_1)
	v_dual_mov_b32 v17, v37 :: v_dual_mov_b32 v18, v38
.LBB151_71:                             ;   in Loop: Header=BB151_67 Depth=1
	s_or_b32 exec_lo, exec_lo, s2
	s_delay_alu instid0(SALU_CYCLE_1) | instskip(NEXT) | instid1(VALU_DEP_1)
	s_mov_b32 s2, exec_lo
	v_cmpx_o_f64_e32 v[17:18], v[17:18]
	s_cbranch_execz .LBB151_75
; %bb.72:                               ;   in Loop: Header=BB151_67 Depth=1
	s_waitcnt vmcnt(15)
	v_dual_mov_b32 v38, v30 :: v_dual_mov_b32 v37, v29
	s_mov_b32 s18, exec_lo
	v_cmpx_o_f64_e32 v[29:30], v[29:30]
; %bb.73:                               ;   in Loop: Header=BB151_67 Depth=1
	v_cmp_lt_f64_e32 vcc_lo, v[17:18], v[29:30]
	v_dual_cndmask_b32 v38, v18, v30 :: v_dual_cndmask_b32 v37, v17, v29
; %bb.74:                               ;   in Loop: Header=BB151_67 Depth=1
	s_or_b32 exec_lo, exec_lo, s18
	s_delay_alu instid0(VALU_DEP_1)
	v_dual_mov_b32 v17, v37 :: v_dual_mov_b32 v18, v38
.LBB151_75:                             ;   in Loop: Header=BB151_67 Depth=1
	s_or_b32 exec_lo, exec_lo, s2
	s_delay_alu instid0(SALU_CYCLE_1) | instskip(NEXT) | instid1(VALU_DEP_1)
	;; [unrolled: 18-line block ×8, first 2 shown]
	s_mov_b32 s2, exec_lo
	v_cmpx_o_f64_e32 v[17:18], v[17:18]
	s_cbranch_execz .LBB151_103
; %bb.100:                              ;   in Loop: Header=BB151_67 Depth=1
	s_waitcnt vmcnt(11)
	v_dual_mov_b32 v38, v16 :: v_dual_mov_b32 v37, v15
	s_mov_b32 s18, exec_lo
	v_cmpx_o_f64_e32 v[15:16], v[15:16]
; %bb.101:                              ;   in Loop: Header=BB151_67 Depth=1
	v_cmp_lt_f64_e32 vcc_lo, v[17:18], v[15:16]
	v_dual_cndmask_b32 v38, v18, v16 :: v_dual_cndmask_b32 v37, v17, v15
; %bb.102:                              ;   in Loop: Header=BB151_67 Depth=1
	s_or_b32 exec_lo, exec_lo, s18
	s_delay_alu instid0(VALU_DEP_1)
	v_dual_mov_b32 v17, v37 :: v_dual_mov_b32 v18, v38
.LBB151_103:                            ;   in Loop: Header=BB151_67 Depth=1
	s_or_b32 exec_lo, exec_lo, s2
	s_delay_alu instid0(SALU_CYCLE_1) | instskip(NEXT) | instid1(VALU_DEP_1)
	s_mov_b32 s2, exec_lo
	v_cmpx_o_f64_e32 v[17:18], v[17:18]
	s_cbranch_execz .LBB151_107
; %bb.104:                              ;   in Loop: Header=BB151_67 Depth=1
	s_waitcnt vmcnt(7)
	v_dual_mov_b32 v38, v14 :: v_dual_mov_b32 v37, v13
	s_mov_b32 s18, exec_lo
	v_cmpx_o_f64_e32 v[13:14], v[13:14]
; %bb.105:                              ;   in Loop: Header=BB151_67 Depth=1
	v_cmp_lt_f64_e32 vcc_lo, v[17:18], v[13:14]
	v_dual_cndmask_b32 v38, v18, v14 :: v_dual_cndmask_b32 v37, v17, v13
; %bb.106:                              ;   in Loop: Header=BB151_67 Depth=1
	s_or_b32 exec_lo, exec_lo, s18
	s_delay_alu instid0(VALU_DEP_1)
	v_dual_mov_b32 v17, v37 :: v_dual_mov_b32 v18, v38
.LBB151_107:                            ;   in Loop: Header=BB151_67 Depth=1
	s_or_b32 exec_lo, exec_lo, s2
	s_delay_alu instid0(SALU_CYCLE_1) | instskip(NEXT) | instid1(VALU_DEP_1)
	;; [unrolled: 18-line block ×7, first 2 shown]
	s_mov_b32 s2, exec_lo
	v_cmpx_o_f64_e32 v[17:18], v[17:18]
	s_cbranch_execz .LBB151_131
; %bb.128:                              ;   in Loop: Header=BB151_67 Depth=1
	s_waitcnt vmcnt(0)
	v_dual_mov_b32 v38, v2 :: v_dual_mov_b32 v37, v1
	s_mov_b32 s18, exec_lo
	v_cmpx_o_f64_e32 v[1:2], v[1:2]
; %bb.129:                              ;   in Loop: Header=BB151_67 Depth=1
	v_cmp_lt_f64_e32 vcc_lo, v[17:18], v[1:2]
	v_dual_cndmask_b32 v38, v18, v2 :: v_dual_cndmask_b32 v37, v17, v1
; %bb.130:                              ;   in Loop: Header=BB151_67 Depth=1
	s_or_b32 exec_lo, exec_lo, s18
	s_delay_alu instid0(VALU_DEP_1)
	v_dual_mov_b32 v17, v37 :: v_dual_mov_b32 v18, v38
.LBB151_131:                            ;   in Loop: Header=BB151_67 Depth=1
	s_or_b32 exec_lo, exec_lo, s2
	s_add_u32 s18, s0, 0x1000
	s_addc_u32 s19, s1, 0
	s_add_u32 s0, s0, 0x2000
	s_addc_u32 s1, s1, 0
	v_add_co_u32 v35, vcc_lo, 0x8000, v35
	v_cmp_lt_i64_e64 s0, s[0:1], s[14:15]
	v_add_co_ci_u32_e32 v36, vcc_lo, 0, v36, vcc_lo
	s_delay_alu instid0(VALU_DEP_2)
	s_and_b32 vcc_lo, exec_lo, s0
	s_cbranch_vccz .LBB151_134
; %bb.132:                              ;   in Loop: Header=BB151_67 Depth=1
	s_mov_b64 s[0:1], s[18:19]
	s_branch .LBB151_67
.LBB151_133:
                                        ; implicit-def: $vgpr1_vgpr2
	s_cbranch_execnz .LBB151_268
	s_branch .LBB151_366
.LBB151_134:
	s_mov_b64 s[0:1], s[18:19]
.LBB151_135:
	s_delay_alu instid0(SALU_CYCLE_1)
	s_sub_i32 s2, s14, s0
	s_lshl_b64 s[0:1], s[0:1], 3
	s_mov_b32 s18, exec_lo
	s_add_u32 s0, s4, s0
	s_addc_u32 s1, s5, s1
	v_cmpx_gt_u32_e64 s2, v0
	s_cbranch_execz .LBB151_137
; %bb.136:
	global_load_b64 v[33:34], v39, s[0:1]
.LBB151_137:
	s_or_b32 exec_lo, exec_lo, s18
	v_or_b32_e32 v49, 0x100, v0
	s_mov_b32 s18, exec_lo
	s_delay_alu instid0(VALU_DEP_1)
	v_cmpx_gt_u32_e64 s2, v49
	s_cbranch_execz .LBB151_139
; %bb.138:
	global_load_b64 v[29:30], v39, s[0:1] offset:2048
.LBB151_139:
	s_or_b32 exec_lo, exec_lo, s18
	v_or_b32_e32 v48, 0x200, v0
	s_mov_b32 s18, exec_lo
	s_delay_alu instid0(VALU_DEP_1)
	v_cmpx_gt_u32_e64 s2, v48
	s_cbranch_execz .LBB151_141
; %bb.140:
	s_waitcnt vmcnt(1)
	v_lshlrev_b32_e32 v31, 3, v48
	global_load_b64 v[31:32], v31, s[0:1]
.LBB151_141:
	s_or_b32 exec_lo, exec_lo, s18
	v_or_b32_e32 v47, 0x300, v0
	s_mov_b32 s18, exec_lo
	s_delay_alu instid0(VALU_DEP_1)
	v_cmpx_gt_u32_e64 s2, v47
	s_cbranch_execz .LBB151_143
; %bb.142:
	s_waitcnt vmcnt(10)
	v_lshlrev_b32_e32 v27, 3, v47
	global_load_b64 v[27:28], v27, s[0:1]
.LBB151_143:
	;; [unrolled: 11-line block ×14, first 2 shown]
	s_or_b32 exec_lo, exec_lo, s18
	v_cmp_o_f64_e32 vcc_lo, v[17:18], v[17:18]
	v_cmp_gt_u32_e64 s0, s2, v0
	s_delay_alu instid0(VALU_DEP_1) | instskip(NEXT) | instid1(SALU_CYCLE_1)
	s_and_b32 s1, s0, vcc_lo
	s_and_saveexec_b32 s0, s1
	s_cbranch_execz .LBB151_171
; %bb.168:
	s_mov_b32 s1, exec_lo
	s_waitcnt vmcnt(0)
	v_cmpx_o_f64_e32 v[33:34], v[33:34]
; %bb.169:
	v_cmp_lt_f64_e32 vcc_lo, v[17:18], v[33:34]
	v_dual_cndmask_b32 v34, v18, v34 :: v_dual_cndmask_b32 v33, v17, v33
; %bb.170:
	s_or_b32 exec_lo, exec_lo, s1
	s_delay_alu instid0(VALU_DEP_1)
	v_dual_mov_b32 v17, v33 :: v_dual_mov_b32 v18, v34
.LBB151_171:
	s_or_b32 exec_lo, exec_lo, s0
	s_delay_alu instid0(VALU_DEP_1) | instskip(SKIP_1) | instid1(VALU_DEP_1)
	v_cmp_o_f64_e32 vcc_lo, v[17:18], v[17:18]
	v_cmp_gt_u32_e64 s0, s2, v49
	s_and_b32 s1, s0, vcc_lo
	s_delay_alu instid0(SALU_CYCLE_1)
	s_and_saveexec_b32 s0, s1
	s_cbranch_execz .LBB151_175
; %bb.172:
	s_mov_b32 s1, exec_lo
	s_waitcnt vmcnt(0)
	v_cmpx_o_f64_e32 v[29:30], v[29:30]
; %bb.173:
	v_cmp_lt_f64_e32 vcc_lo, v[17:18], v[29:30]
	v_dual_cndmask_b32 v30, v18, v30 :: v_dual_cndmask_b32 v29, v17, v29
; %bb.174:
	s_or_b32 exec_lo, exec_lo, s1
	s_delay_alu instid0(VALU_DEP_1)
	v_dual_mov_b32 v17, v29 :: v_dual_mov_b32 v18, v30
.LBB151_175:
	s_or_b32 exec_lo, exec_lo, s0
	s_delay_alu instid0(VALU_DEP_1) | instskip(SKIP_1) | instid1(VALU_DEP_1)
	v_cmp_o_f64_e32 vcc_lo, v[17:18], v[17:18]
	v_cmp_gt_u32_e64 s0, s2, v48
	s_and_b32 s1, s0, vcc_lo
	s_delay_alu instid0(SALU_CYCLE_1)
	;; [unrolled: 20-line block ×15, first 2 shown]
	s_and_saveexec_b32 s0, s1
	s_cbranch_execz .LBB151_231
; %bb.228:
	s_mov_b32 s1, exec_lo
	s_waitcnt vmcnt(0)
	v_cmpx_o_f64_e32 v[1:2], v[1:2]
; %bb.229:
	v_cmp_lt_f64_e32 vcc_lo, v[17:18], v[1:2]
	v_dual_cndmask_b32 v2, v18, v2 :: v_dual_cndmask_b32 v1, v17, v1
; %bb.230:
	s_or_b32 exec_lo, exec_lo, s1
	s_delay_alu instid0(VALU_DEP_1)
	v_dual_mov_b32 v18, v2 :: v_dual_mov_b32 v17, v1
.LBB151_231:
	s_or_b32 exec_lo, exec_lo, s0
	s_waitcnt vmcnt(0)
	s_delay_alu instid0(VALU_DEP_1) | instskip(NEXT) | instid1(VALU_DEP_2)
	v_mov_b32_dpp v1, v17 quad_perm:[1,0,3,2] row_mask:0xf bank_mask:0xf
	v_mov_b32_dpp v2, v18 quad_perm:[1,0,3,2] row_mask:0xf bank_mask:0xf
	s_mov_b32 s0, exec_lo
	s_delay_alu instid0(VALU_DEP_1)
	v_cmpx_o_f64_e32 v[1:2], v[1:2]
	s_xor_b32 s0, exec_lo, s0
	s_cbranch_execz .LBB151_235
; %bb.232:
	s_mov_b32 s1, exec_lo
	v_cmpx_o_f64_e32 v[17:18], v[17:18]
; %bb.233:
	v_cmp_gt_f64_e32 vcc_lo, v[17:18], v[1:2]
	v_dual_cndmask_b32 v18, v2, v18 :: v_dual_cndmask_b32 v17, v1, v17
; %bb.234:
	s_or_b32 exec_lo, exec_lo, s1
	s_delay_alu instid0(VALU_DEP_1)
	v_dual_mov_b32 v1, v17 :: v_dual_mov_b32 v2, v18
.LBB151_235:
	s_or_b32 exec_lo, exec_lo, s0
	s_delay_alu instid0(VALU_DEP_1) | instskip(NEXT) | instid1(VALU_DEP_2)
	v_mov_b32_dpp v3, v1 quad_perm:[2,3,0,1] row_mask:0xf bank_mask:0xf
	v_mov_b32_dpp v4, v2 quad_perm:[2,3,0,1] row_mask:0xf bank_mask:0xf
	s_mov_b32 s0, exec_lo
	s_delay_alu instid0(VALU_DEP_1)
	v_cmpx_o_f64_e32 v[3:4], v[3:4]
	s_cbranch_execz .LBB151_239
; %bb.236:
	s_mov_b32 s1, exec_lo
	v_cmpx_o_f64_e32 v[1:2], v[1:2]
; %bb.237:
	v_cmp_gt_f64_e32 vcc_lo, v[1:2], v[3:4]
	v_dual_cndmask_b32 v2, v4, v2 :: v_dual_cndmask_b32 v1, v3, v1
; %bb.238:
	s_or_b32 exec_lo, exec_lo, s1
	s_delay_alu instid0(VALU_DEP_1)
	v_dual_mov_b32 v4, v2 :: v_dual_mov_b32 v3, v1
.LBB151_239:
	s_or_b32 exec_lo, exec_lo, s0
	s_delay_alu instid0(VALU_DEP_1) | instskip(NEXT) | instid1(VALU_DEP_2)
	v_mov_b32_dpp v1, v3 row_ror:4 row_mask:0xf bank_mask:0xf
	v_mov_b32_dpp v2, v4 row_ror:4 row_mask:0xf bank_mask:0xf
	s_mov_b32 s0, exec_lo
	s_delay_alu instid0(VALU_DEP_1)
	v_cmpx_o_f64_e32 v[1:2], v[1:2]
	s_cbranch_execz .LBB151_243
; %bb.240:
	s_mov_b32 s1, exec_lo
	v_cmpx_o_f64_e32 v[3:4], v[3:4]
; %bb.241:
	v_cmp_gt_f64_e32 vcc_lo, v[3:4], v[1:2]
	v_dual_cndmask_b32 v4, v2, v4 :: v_dual_cndmask_b32 v3, v1, v3
; %bb.242:
	s_or_b32 exec_lo, exec_lo, s1
	s_delay_alu instid0(VALU_DEP_1)
	v_dual_mov_b32 v1, v3 :: v_dual_mov_b32 v2, v4
.LBB151_243:
	s_or_b32 exec_lo, exec_lo, s0
	s_delay_alu instid0(VALU_DEP_1) | instskip(NEXT) | instid1(VALU_DEP_2)
	v_mov_b32_dpp v3, v1 row_ror:8 row_mask:0xf bank_mask:0xf
	v_mov_b32_dpp v4, v2 row_ror:8 row_mask:0xf bank_mask:0xf
	s_mov_b32 s0, exec_lo
	s_delay_alu instid0(VALU_DEP_1)
	v_cmpx_o_f64_e32 v[3:4], v[3:4]
	s_cbranch_execz .LBB151_247
; %bb.244:
	s_mov_b32 s1, exec_lo
	v_cmpx_o_f64_e32 v[1:2], v[1:2]
; %bb.245:
	v_cmp_gt_f64_e32 vcc_lo, v[1:2], v[3:4]
	v_dual_cndmask_b32 v2, v4, v2 :: v_dual_cndmask_b32 v1, v3, v1
; %bb.246:
	s_or_b32 exec_lo, exec_lo, s1
	s_delay_alu instid0(VALU_DEP_1)
	v_dual_mov_b32 v4, v2 :: v_dual_mov_b32 v3, v1
.LBB151_247:
	s_or_b32 exec_lo, exec_lo, s0
	ds_swizzle_b32 v1, v3 offset:swizzle(BROADCAST,32,15)
	ds_swizzle_b32 v2, v4 offset:swizzle(BROADCAST,32,15)
	s_mov_b32 s0, exec_lo
	s_waitcnt lgkmcnt(0)
	v_cmpx_o_f64_e32 v[1:2], v[1:2]
	s_cbranch_execz .LBB151_251
; %bb.248:
	s_mov_b32 s1, exec_lo
	v_cmpx_o_f64_e32 v[3:4], v[3:4]
; %bb.249:
	v_cmp_gt_f64_e32 vcc_lo, v[3:4], v[1:2]
	v_dual_cndmask_b32 v4, v2, v4 :: v_dual_cndmask_b32 v3, v1, v3
; %bb.250:
	s_or_b32 exec_lo, exec_lo, s1
	s_delay_alu instid0(VALU_DEP_1)
	v_dual_mov_b32 v1, v3 :: v_dual_mov_b32 v2, v4
.LBB151_251:
	s_or_b32 exec_lo, exec_lo, s0
	v_mov_b32_e32 v3, 0
	v_mbcnt_lo_u32_b32 v5, -1, 0
	s_mov_b32 s0, exec_lo
	ds_bpermute_b32 v1, v3, v1 offset:124
	ds_bpermute_b32 v2, v3, v2 offset:124
	v_cmpx_eq_u32_e32 0, v5
	s_cbranch_execz .LBB151_253
; %bb.252:
	v_lshrrev_b32_e32 v3, 2, v0
	s_delay_alu instid0(VALU_DEP_1)
	v_and_b32_e32 v3, 56, v3
	s_waitcnt lgkmcnt(0)
	ds_store_b64 v3, v[1:2]
.LBB151_253:
	s_or_b32 exec_lo, exec_lo, s0
	s_delay_alu instid0(SALU_CYCLE_1)
	s_mov_b32 s1, exec_lo
	s_waitcnt lgkmcnt(0)
	s_barrier
	buffer_gl0_inv
	v_cmpx_gt_u32_e32 32, v0
	s_cbranch_execz .LBB151_267
; %bb.254:
	v_and_b32_e32 v6, 7, v5
	s_delay_alu instid0(VALU_DEP_1) | instskip(SKIP_4) | instid1(VALU_DEP_1)
	v_lshlrev_b32_e32 v1, 3, v6
	v_cmp_ne_u32_e64 s0, 7, v6
	ds_load_b64 v[1:2], v1
	v_add_co_ci_u32_e64 v3, s0, 0, v5, s0
	s_mov_b32 s0, exec_lo
	v_lshlrev_b32_e32 v4, 2, v3
	s_waitcnt lgkmcnt(0)
	ds_bpermute_b32 v3, v4, v1
	ds_bpermute_b32 v4, v4, v2
	v_cmpx_o_f64_e32 v[1:2], v[1:2]
	s_cbranch_execz .LBB151_258
; %bb.255:
	s_mov_b32 s2, exec_lo
	s_waitcnt lgkmcnt(0)
	v_cmpx_o_f64_e32 v[3:4], v[3:4]
; %bb.256:
	v_cmp_lt_f64_e32 vcc_lo, v[1:2], v[3:4]
	v_dual_cndmask_b32 v4, v2, v4 :: v_dual_cndmask_b32 v3, v1, v3
; %bb.257:
	s_or_b32 exec_lo, exec_lo, s2
	s_delay_alu instid0(VALU_DEP_1)
	v_dual_mov_b32 v1, v3 :: v_dual_mov_b32 v2, v4
.LBB151_258:
	s_or_b32 exec_lo, exec_lo, s0
	v_cmp_gt_u32_e64 s0, 6, v6
	s_waitcnt lgkmcnt(1)
	s_delay_alu instid0(VALU_DEP_1) | instskip(SKIP_1) | instid1(VALU_DEP_1)
	v_cndmask_b32_e64 v3, 0, 1, s0
	s_mov_b32 s0, exec_lo
	v_lshlrev_b32_e32 v3, 1, v3
	s_waitcnt lgkmcnt(0)
	s_delay_alu instid0(VALU_DEP_1)
	v_add_lshl_u32 v4, v3, v5, 2
	ds_bpermute_b32 v3, v4, v1
	ds_bpermute_b32 v4, v4, v2
	v_cmpx_o_f64_e32 v[1:2], v[1:2]
	s_cbranch_execz .LBB151_262
; %bb.259:
	s_mov_b32 s2, exec_lo
	s_waitcnt lgkmcnt(0)
	v_cmpx_o_f64_e32 v[3:4], v[3:4]
; %bb.260:
	v_cmp_lt_f64_e32 vcc_lo, v[1:2], v[3:4]
	v_dual_cndmask_b32 v4, v2, v4 :: v_dual_cndmask_b32 v3, v1, v3
; %bb.261:
	s_or_b32 exec_lo, exec_lo, s2
	s_delay_alu instid0(VALU_DEP_1)
	v_dual_mov_b32 v1, v3 :: v_dual_mov_b32 v2, v4
.LBB151_262:
	s_or_b32 exec_lo, exec_lo, s0
	v_cmp_gt_u32_e64 s0, 4, v6
	s_waitcnt lgkmcnt(1)
	s_delay_alu instid0(VALU_DEP_1) | instskip(SKIP_1) | instid1(VALU_DEP_1)
	v_cndmask_b32_e64 v3, 0, 1, s0
	s_mov_b32 s0, exec_lo
	v_lshlrev_b32_e32 v3, 2, v3
	s_waitcnt lgkmcnt(0)
	s_delay_alu instid0(VALU_DEP_1)
	v_add_lshl_u32 v4, v3, v5, 2
	ds_bpermute_b32 v3, v4, v1
	ds_bpermute_b32 v4, v4, v2
	v_cmpx_o_f64_e32 v[1:2], v[1:2]
	s_cbranch_execz .LBB151_266
; %bb.263:
	s_mov_b32 s2, exec_lo
	s_waitcnt lgkmcnt(0)
	v_cmpx_o_f64_e32 v[3:4], v[3:4]
; %bb.264:
	v_cmp_lt_f64_e32 vcc_lo, v[1:2], v[3:4]
	v_dual_cndmask_b32 v4, v2, v4 :: v_dual_cndmask_b32 v3, v1, v3
; %bb.265:
	s_or_b32 exec_lo, exec_lo, s2
	s_delay_alu instid0(VALU_DEP_1)
	v_dual_mov_b32 v1, v3 :: v_dual_mov_b32 v2, v4
.LBB151_266:
	s_or_b32 exec_lo, exec_lo, s0
.LBB151_267:
	s_delay_alu instid0(SALU_CYCLE_1)
	s_or_b32 exec_lo, exec_lo, s1
	s_branch .LBB151_366
.LBB151_268:
	s_sub_i32 s1, s14, s16
	s_mov_b32 s2, exec_lo
                                        ; implicit-def: $vgpr3_vgpr4
	v_cmpx_gt_u32_e64 s1, v0
	s_cbranch_execz .LBB151_278
; %bb.269:
	v_add_co_u32 v1, s0, s16, v0
	s_delay_alu instid0(VALU_DEP_1) | instskip(SKIP_1) | instid1(VALU_DEP_1)
	v_add_co_ci_u32_e64 v2, null, s17, 0, s0
	s_waitcnt lgkmcnt(0)
	v_lshlrev_b64 v[3:4], 3, v[1:2]
	s_delay_alu instid0(VALU_DEP_1) | instskip(NEXT) | instid1(VALU_DEP_2)
	v_add_co_u32 v5, vcc_lo, s4, v3
	v_add_co_ci_u32_e32 v6, vcc_lo, s5, v4, vcc_lo
	v_add_co_u32 v1, vcc_lo, 0x100, v1
	v_add_co_ci_u32_e32 v2, vcc_lo, 0, v2, vcc_lo
	global_load_b64 v[3:4], v[5:6], off
	s_mov_b32 s4, exec_lo
	v_cmpx_gt_i64_e64 s[14:15], v[1:2]
	s_cbranch_execz .LBB151_277
; %bb.270:
	v_add_co_u32 v5, vcc_lo, 0x800, v5
	v_add_co_ci_u32_e32 v6, vcc_lo, 0, v6, vcc_lo
	s_mov_b32 s5, 0
	s_set_inst_prefetch_distance 0x1
	s_branch .LBB151_273
	.p2align	6
.LBB151_271:                            ;   in Loop: Header=BB151_273 Depth=1
	s_or_b32 exec_lo, exec_lo, s16
	s_delay_alu instid0(VALU_DEP_1)
	v_dual_mov_b32 v3, v7 :: v_dual_mov_b32 v4, v8
.LBB151_272:                            ;   in Loop: Header=BB151_273 Depth=1
	s_or_b32 exec_lo, exec_lo, s0
	v_add_co_u32 v1, vcc_lo, 0x100, v1
	v_add_co_ci_u32_e32 v2, vcc_lo, 0, v2, vcc_lo
	v_add_co_u32 v5, s0, 0x800, v5
	s_delay_alu instid0(VALU_DEP_1) | instskip(NEXT) | instid1(VALU_DEP_3)
	v_add_co_ci_u32_e64 v6, s0, 0, v6, s0
	v_cmp_le_i64_e32 vcc_lo, s[14:15], v[1:2]
	s_or_b32 s5, vcc_lo, s5
	s_delay_alu instid0(SALU_CYCLE_1)
	s_and_not1_b32 exec_lo, exec_lo, s5
	s_cbranch_execz .LBB151_276
.LBB151_273:                            ; =>This Inner Loop Header: Depth=1
	s_mov_b32 s0, exec_lo
	s_waitcnt vmcnt(0)
	v_cmpx_o_f64_e32 v[3:4], v[3:4]
	s_cbranch_execz .LBB151_272
; %bb.274:                              ;   in Loop: Header=BB151_273 Depth=1
	global_load_b64 v[7:8], v[5:6], off
	s_mov_b32 s16, exec_lo
	s_waitcnt vmcnt(0)
	v_cmpx_o_f64_e32 v[7:8], v[7:8]
	s_cbranch_execz .LBB151_271
; %bb.275:                              ;   in Loop: Header=BB151_273 Depth=1
	v_cmp_lt_f64_e32 vcc_lo, v[3:4], v[7:8]
	v_dual_cndmask_b32 v8, v4, v8 :: v_dual_cndmask_b32 v7, v3, v7
	s_branch .LBB151_271
.LBB151_276:
	s_set_inst_prefetch_distance 0x2
	s_or_b32 exec_lo, exec_lo, s5
.LBB151_277:
	s_delay_alu instid0(SALU_CYCLE_1)
	s_or_b32 exec_lo, exec_lo, s4
.LBB151_278:
	s_delay_alu instid0(SALU_CYCLE_1)
	s_or_b32 exec_lo, exec_lo, s2
	v_lshrrev_b32_e32 v10, 5, v0
	v_mbcnt_lo_u32_b32 v9, -1, 0
	s_cmpk_lt_u32 s1, 0x100
	s_mov_b32 s0, -1
	s_cbranch_scc0 .LBB151_328
; %bb.279:
	s_delay_alu instid0(VALU_DEP_1) | instskip(SKIP_3) | instid1(VALU_DEP_1)
	v_cmp_ne_u32_e32 vcc_lo, 31, v9
	s_waitcnt vmcnt(0) lgkmcnt(0)
	v_dual_mov_b32 v5, v3 :: v_dual_mov_b32 v6, v4
	v_add_co_ci_u32_e32 v1, vcc_lo, 0, v9, vcc_lo
	v_lshlrev_b32_e32 v1, 2, v1
	ds_bpermute_b32 v7, v1, v3
	ds_bpermute_b32 v8, v1, v4
	v_and_b32_e32 v1, 0xe0, v0
	s_delay_alu instid0(VALU_DEP_1) | instskip(SKIP_1) | instid1(VALU_DEP_1)
	v_sub_nc_u32_e64 v11, s1, v1 clamp
	v_add_nc_u32_e32 v1, 1, v9
	v_cmp_lt_u32_e32 vcc_lo, v1, v11
	v_dual_mov_b32 v1, v3 :: v_dual_mov_b32 v2, v4
	s_and_saveexec_b32 s0, vcc_lo
	s_cbranch_execz .LBB151_285
; %bb.280:
	v_dual_mov_b32 v6, v4 :: v_dual_mov_b32 v5, v3
	s_mov_b32 s2, exec_lo
	v_cmpx_o_f64_e32 v[3:4], v[3:4]
	s_cbranch_execz .LBB151_284
; %bb.281:
	s_mov_b32 s4, exec_lo
	s_waitcnt lgkmcnt(0)
	v_cmpx_o_f64_e32 v[7:8], v[7:8]
; %bb.282:
	v_cmp_lt_f64_e32 vcc_lo, v[3:4], v[7:8]
	v_dual_cndmask_b32 v8, v4, v8 :: v_dual_cndmask_b32 v7, v3, v7
; %bb.283:
	s_or_b32 exec_lo, exec_lo, s4
	s_delay_alu instid0(VALU_DEP_1)
	v_dual_mov_b32 v5, v7 :: v_dual_mov_b32 v6, v8
.LBB151_284:
	s_or_b32 exec_lo, exec_lo, s2
	s_delay_alu instid0(VALU_DEP_1)
	v_dual_mov_b32 v1, v5 :: v_dual_mov_b32 v2, v6
.LBB151_285:
	s_or_b32 exec_lo, exec_lo, s0
	v_cmp_gt_u32_e32 vcc_lo, 30, v9
	v_add_nc_u32_e32 v12, 2, v9
	s_mov_b32 s0, exec_lo
	s_waitcnt lgkmcnt(1)
	v_cndmask_b32_e64 v7, 0, 1, vcc_lo
	s_delay_alu instid0(VALU_DEP_1) | instskip(SKIP_1) | instid1(VALU_DEP_1)
	v_lshlrev_b32_e32 v7, 1, v7
	s_waitcnt lgkmcnt(0)
	v_add_lshl_u32 v8, v7, v9, 2
	ds_bpermute_b32 v7, v8, v5
	ds_bpermute_b32 v8, v8, v6
	v_cmpx_lt_u32_e64 v12, v11
	s_cbranch_execz .LBB151_291
; %bb.286:
	s_mov_b32 s2, exec_lo
	v_cmpx_o_f64_e32 v[1:2], v[1:2]
	s_cbranch_execz .LBB151_290
; %bb.287:
	s_mov_b32 s4, exec_lo
	s_waitcnt lgkmcnt(0)
	v_cmpx_o_f64_e32 v[7:8], v[7:8]
; %bb.288:
	v_cmp_lt_f64_e32 vcc_lo, v[1:2], v[7:8]
	v_dual_cndmask_b32 v8, v2, v8 :: v_dual_cndmask_b32 v7, v1, v7
; %bb.289:
	s_or_b32 exec_lo, exec_lo, s4
	s_delay_alu instid0(VALU_DEP_1)
	v_dual_mov_b32 v1, v7 :: v_dual_mov_b32 v2, v8
.LBB151_290:
	s_or_b32 exec_lo, exec_lo, s2
	s_delay_alu instid0(VALU_DEP_1)
	v_dual_mov_b32 v5, v1 :: v_dual_mov_b32 v6, v2
.LBB151_291:
	s_or_b32 exec_lo, exec_lo, s0
	v_cmp_gt_u32_e32 vcc_lo, 28, v9
	v_add_nc_u32_e32 v12, 4, v9
	s_mov_b32 s0, exec_lo
	s_waitcnt lgkmcnt(1)
	v_cndmask_b32_e64 v7, 0, 1, vcc_lo
	s_delay_alu instid0(VALU_DEP_1) | instskip(SKIP_1) | instid1(VALU_DEP_1)
	v_lshlrev_b32_e32 v7, 2, v7
	s_waitcnt lgkmcnt(0)
	v_add_lshl_u32 v8, v7, v9, 2
	ds_bpermute_b32 v7, v8, v5
	ds_bpermute_b32 v8, v8, v6
	v_cmpx_lt_u32_e64 v12, v11
	s_cbranch_execz .LBB151_297
; %bb.292:
	s_mov_b32 s2, exec_lo
	v_cmpx_o_f64_e32 v[1:2], v[1:2]
	s_cbranch_execz .LBB151_296
; %bb.293:
	s_mov_b32 s4, exec_lo
	s_waitcnt lgkmcnt(0)
	v_cmpx_o_f64_e32 v[7:8], v[7:8]
; %bb.294:
	v_cmp_lt_f64_e32 vcc_lo, v[1:2], v[7:8]
	v_dual_cndmask_b32 v8, v2, v8 :: v_dual_cndmask_b32 v7, v1, v7
; %bb.295:
	s_or_b32 exec_lo, exec_lo, s4
	s_delay_alu instid0(VALU_DEP_1)
	v_dual_mov_b32 v1, v7 :: v_dual_mov_b32 v2, v8
.LBB151_296:
	s_or_b32 exec_lo, exec_lo, s2
	s_delay_alu instid0(VALU_DEP_1)
	v_dual_mov_b32 v5, v1 :: v_dual_mov_b32 v6, v2
.LBB151_297:
	;; [unrolled: 34-line block ×3, first 2 shown]
	s_or_b32 exec_lo, exec_lo, s0
	v_cmp_o_f64_e32 vcc_lo, v[1:2], v[1:2]
	v_cmp_gt_u32_e64 s0, 16, v9
	s_waitcnt lgkmcnt(1)
	s_delay_alu instid0(VALU_DEP_1) | instskip(NEXT) | instid1(VALU_DEP_1)
	v_cndmask_b32_e64 v7, 0, 1, s0
	v_lshlrev_b32_e32 v7, 4, v7
	s_delay_alu instid0(VALU_DEP_1) | instskip(SKIP_3) | instid1(VALU_DEP_1)
	v_add_lshl_u32 v7, v7, v9, 2
	ds_bpermute_b32 v5, v7, v5
	ds_bpermute_b32 v6, v7, v6
	v_add_nc_u32_e32 v7, 16, v9
	v_cmp_lt_u32_e64 s0, v7, v11
	s_delay_alu instid0(VALU_DEP_1) | instskip(NEXT) | instid1(SALU_CYCLE_1)
	s_and_b32 s2, s0, vcc_lo
	s_and_saveexec_b32 s0, s2
	s_cbranch_execz .LBB151_307
; %bb.304:
	s_mov_b32 s2, exec_lo
	s_waitcnt lgkmcnt(0)
	v_cmpx_o_f64_e32 v[5:6], v[5:6]
; %bb.305:
	v_cmp_lt_f64_e32 vcc_lo, v[1:2], v[5:6]
	v_dual_cndmask_b32 v6, v2, v6 :: v_dual_cndmask_b32 v5, v1, v5
; %bb.306:
	s_or_b32 exec_lo, exec_lo, s2
	s_delay_alu instid0(VALU_DEP_1)
	v_dual_mov_b32 v1, v5 :: v_dual_mov_b32 v2, v6
.LBB151_307:
	s_or_b32 exec_lo, exec_lo, s0
	s_delay_alu instid0(SALU_CYCLE_1)
	s_mov_b32 s0, exec_lo
	v_cmpx_eq_u32_e32 0, v9
	s_cbranch_execz .LBB151_309
; %bb.308:
	s_waitcnt lgkmcnt(1)
	v_lshlrev_b32_e32 v5, 3, v10
	ds_store_b64 v5, v[1:2]
.LBB151_309:
	s_or_b32 exec_lo, exec_lo, s0
	s_delay_alu instid0(SALU_CYCLE_1)
	s_mov_b32 s2, exec_lo
	s_waitcnt lgkmcnt(0)
	s_barrier
	buffer_gl0_inv
	v_cmpx_gt_u32_e32 8, v0
	s_cbranch_execz .LBB151_327
; %bb.310:
	v_lshlrev_b32_e32 v1, 3, v9
	v_and_b32_e32 v7, 7, v9
	s_add_i32 s1, s1, 31
	s_mov_b32 s0, exec_lo
	s_lshr_b32 s1, s1, 5
	ds_load_b64 v[1:2], v1
	v_cmp_ne_u32_e32 vcc_lo, 7, v7
	v_add_nc_u32_e32 v8, 1, v7
	v_add_co_ci_u32_e32 v5, vcc_lo, 0, v9, vcc_lo
	s_delay_alu instid0(VALU_DEP_1)
	v_lshlrev_b32_e32 v6, 2, v5
	s_waitcnt lgkmcnt(0)
	ds_bpermute_b32 v5, v6, v1
	ds_bpermute_b32 v6, v6, v2
	v_cmpx_gt_u32_e64 s1, v8
	s_cbranch_execz .LBB151_316
; %bb.311:
	s_mov_b32 s4, exec_lo
	v_cmpx_o_f64_e32 v[1:2], v[1:2]
	s_cbranch_execz .LBB151_315
; %bb.312:
	s_mov_b32 s5, exec_lo
	s_waitcnt lgkmcnt(0)
	v_cmpx_o_f64_e32 v[5:6], v[5:6]
; %bb.313:
	v_cmp_lt_f64_e32 vcc_lo, v[1:2], v[5:6]
	v_dual_cndmask_b32 v6, v2, v6 :: v_dual_cndmask_b32 v5, v1, v5
; %bb.314:
	s_or_b32 exec_lo, exec_lo, s5
	s_delay_alu instid0(VALU_DEP_1)
	v_dual_mov_b32 v1, v5 :: v_dual_mov_b32 v2, v6
.LBB151_315:
	s_or_b32 exec_lo, exec_lo, s4
.LBB151_316:
	s_delay_alu instid0(SALU_CYCLE_1)
	s_or_b32 exec_lo, exec_lo, s0
	v_cmp_gt_u32_e32 vcc_lo, 6, v7
	v_add_nc_u32_e32 v8, 2, v7
	s_mov_b32 s0, exec_lo
	s_waitcnt lgkmcnt(1)
	v_cndmask_b32_e64 v5, 0, 1, vcc_lo
	s_delay_alu instid0(VALU_DEP_1) | instskip(SKIP_1) | instid1(VALU_DEP_1)
	v_lshlrev_b32_e32 v5, 1, v5
	s_waitcnt lgkmcnt(0)
	v_add_lshl_u32 v6, v5, v9, 2
	ds_bpermute_b32 v5, v6, v1
	ds_bpermute_b32 v6, v6, v2
	v_cmpx_gt_u32_e64 s1, v8
	s_cbranch_execz .LBB151_322
; %bb.317:
	s_mov_b32 s4, exec_lo
	v_cmpx_o_f64_e32 v[1:2], v[1:2]
	s_cbranch_execz .LBB151_321
; %bb.318:
	s_mov_b32 s5, exec_lo
	s_waitcnt lgkmcnt(0)
	v_cmpx_o_f64_e32 v[5:6], v[5:6]
; %bb.319:
	v_cmp_lt_f64_e32 vcc_lo, v[1:2], v[5:6]
	v_dual_cndmask_b32 v6, v2, v6 :: v_dual_cndmask_b32 v5, v1, v5
; %bb.320:
	s_or_b32 exec_lo, exec_lo, s5
	s_delay_alu instid0(VALU_DEP_1)
	v_dual_mov_b32 v1, v5 :: v_dual_mov_b32 v2, v6
.LBB151_321:
	s_or_b32 exec_lo, exec_lo, s4
.LBB151_322:
	s_delay_alu instid0(SALU_CYCLE_1) | instskip(NEXT) | instid1(VALU_DEP_1)
	s_or_b32 exec_lo, exec_lo, s0
	v_cmp_o_f64_e32 vcc_lo, v[1:2], v[1:2]
	v_cmp_gt_u32_e64 s0, 4, v7
	v_add_nc_u32_e32 v7, 4, v7
	s_waitcnt lgkmcnt(1)
	s_delay_alu instid0(VALU_DEP_2) | instskip(NEXT) | instid1(VALU_DEP_2)
	v_cndmask_b32_e64 v5, 0, 1, s0
	v_cmp_gt_u32_e64 s0, s1, v7
	s_delay_alu instid0(VALU_DEP_2) | instskip(SKIP_1) | instid1(VALU_DEP_1)
	v_lshlrev_b32_e32 v5, 2, v5
	s_waitcnt lgkmcnt(0)
	v_add_lshl_u32 v6, v5, v9, 2
	ds_bpermute_b32 v5, v6, v1
	ds_bpermute_b32 v6, v6, v2
	s_and_b32 s1, s0, vcc_lo
	s_delay_alu instid0(SALU_CYCLE_1)
	s_and_saveexec_b32 s0, s1
	s_cbranch_execz .LBB151_326
; %bb.323:
	s_mov_b32 s1, exec_lo
	s_waitcnt lgkmcnt(0)
	v_cmpx_o_f64_e32 v[5:6], v[5:6]
; %bb.324:
	v_cmp_lt_f64_e32 vcc_lo, v[1:2], v[5:6]
	v_dual_cndmask_b32 v6, v2, v6 :: v_dual_cndmask_b32 v5, v1, v5
; %bb.325:
	s_or_b32 exec_lo, exec_lo, s1
	s_delay_alu instid0(VALU_DEP_1)
	v_dual_mov_b32 v1, v5 :: v_dual_mov_b32 v2, v6
.LBB151_326:
	s_or_b32 exec_lo, exec_lo, s0
.LBB151_327:
	s_delay_alu instid0(SALU_CYCLE_1)
	s_or_b32 exec_lo, exec_lo, s2
	s_branch .LBB151_366
.LBB151_328:
                                        ; implicit-def: $vgpr1_vgpr2
	s_and_b32 vcc_lo, exec_lo, s0
	s_cbranch_vccz .LBB151_366
; %bb.329:
	s_waitcnt vmcnt(0) lgkmcnt(1)
	v_mov_b32_dpp v1, v3 quad_perm:[1,0,3,2] row_mask:0xf bank_mask:0xf
	s_waitcnt lgkmcnt(0)
	v_mov_b32_dpp v2, v4 quad_perm:[1,0,3,2] row_mask:0xf bank_mask:0xf
	s_mov_b32 s0, exec_lo
	s_delay_alu instid0(VALU_DEP_1)
	v_cmpx_o_f64_e32 v[1:2], v[1:2]
	s_cbranch_execz .LBB151_333
; %bb.330:
	s_mov_b32 s1, exec_lo
	v_cmpx_o_f64_e32 v[3:4], v[3:4]
; %bb.331:
	v_cmp_gt_f64_e32 vcc_lo, v[3:4], v[1:2]
	v_dual_cndmask_b32 v4, v2, v4 :: v_dual_cndmask_b32 v3, v1, v3
; %bb.332:
	s_or_b32 exec_lo, exec_lo, s1
	s_delay_alu instid0(VALU_DEP_1)
	v_dual_mov_b32 v1, v3 :: v_dual_mov_b32 v2, v4
.LBB151_333:
	s_or_b32 exec_lo, exec_lo, s0
	s_delay_alu instid0(VALU_DEP_1) | instskip(NEXT) | instid1(VALU_DEP_2)
	v_mov_b32_dpp v3, v1 quad_perm:[2,3,0,1] row_mask:0xf bank_mask:0xf
	v_mov_b32_dpp v4, v2 quad_perm:[2,3,0,1] row_mask:0xf bank_mask:0xf
	s_mov_b32 s0, exec_lo
	s_delay_alu instid0(VALU_DEP_1)
	v_cmpx_o_f64_e32 v[3:4], v[3:4]
	s_cbranch_execz .LBB151_337
; %bb.334:
	s_mov_b32 s1, exec_lo
	v_cmpx_o_f64_e32 v[1:2], v[1:2]
; %bb.335:
	v_cmp_gt_f64_e32 vcc_lo, v[1:2], v[3:4]
	v_dual_cndmask_b32 v2, v4, v2 :: v_dual_cndmask_b32 v1, v3, v1
; %bb.336:
	s_or_b32 exec_lo, exec_lo, s1
	s_delay_alu instid0(VALU_DEP_1)
	v_dual_mov_b32 v4, v2 :: v_dual_mov_b32 v3, v1
.LBB151_337:
	s_or_b32 exec_lo, exec_lo, s0
	s_delay_alu instid0(VALU_DEP_1) | instskip(NEXT) | instid1(VALU_DEP_2)
	v_mov_b32_dpp v1, v3 row_ror:4 row_mask:0xf bank_mask:0xf
	v_mov_b32_dpp v2, v4 row_ror:4 row_mask:0xf bank_mask:0xf
	s_mov_b32 s0, exec_lo
	s_delay_alu instid0(VALU_DEP_1)
	v_cmpx_o_f64_e32 v[1:2], v[1:2]
	s_cbranch_execz .LBB151_341
; %bb.338:
	s_mov_b32 s1, exec_lo
	v_cmpx_o_f64_e32 v[3:4], v[3:4]
; %bb.339:
	v_cmp_gt_f64_e32 vcc_lo, v[3:4], v[1:2]
	v_dual_cndmask_b32 v4, v2, v4 :: v_dual_cndmask_b32 v3, v1, v3
; %bb.340:
	s_or_b32 exec_lo, exec_lo, s1
	s_delay_alu instid0(VALU_DEP_1)
	v_dual_mov_b32 v1, v3 :: v_dual_mov_b32 v2, v4
.LBB151_341:
	s_or_b32 exec_lo, exec_lo, s0
	s_delay_alu instid0(VALU_DEP_1) | instskip(NEXT) | instid1(VALU_DEP_2)
	v_mov_b32_dpp v3, v1 row_ror:8 row_mask:0xf bank_mask:0xf
	v_mov_b32_dpp v4, v2 row_ror:8 row_mask:0xf bank_mask:0xf
	s_mov_b32 s0, exec_lo
	s_delay_alu instid0(VALU_DEP_1)
	v_cmpx_o_f64_e32 v[3:4], v[3:4]
	s_cbranch_execz .LBB151_345
; %bb.342:
	s_mov_b32 s1, exec_lo
	v_cmpx_o_f64_e32 v[1:2], v[1:2]
; %bb.343:
	v_cmp_gt_f64_e32 vcc_lo, v[1:2], v[3:4]
	v_dual_cndmask_b32 v2, v4, v2 :: v_dual_cndmask_b32 v1, v3, v1
; %bb.344:
	s_or_b32 exec_lo, exec_lo, s1
	s_delay_alu instid0(VALU_DEP_1)
	v_dual_mov_b32 v4, v2 :: v_dual_mov_b32 v3, v1
.LBB151_345:
	s_or_b32 exec_lo, exec_lo, s0
	ds_swizzle_b32 v1, v3 offset:swizzle(BROADCAST,32,15)
	ds_swizzle_b32 v2, v4 offset:swizzle(BROADCAST,32,15)
	s_mov_b32 s0, exec_lo
	s_waitcnt lgkmcnt(0)
	v_cmpx_o_f64_e32 v[1:2], v[1:2]
	s_cbranch_execz .LBB151_349
; %bb.346:
	s_mov_b32 s1, exec_lo
	v_cmpx_o_f64_e32 v[3:4], v[3:4]
; %bb.347:
	v_cmp_gt_f64_e32 vcc_lo, v[3:4], v[1:2]
	v_dual_cndmask_b32 v4, v2, v4 :: v_dual_cndmask_b32 v3, v1, v3
; %bb.348:
	s_or_b32 exec_lo, exec_lo, s1
	s_delay_alu instid0(VALU_DEP_1)
	v_dual_mov_b32 v1, v3 :: v_dual_mov_b32 v2, v4
.LBB151_349:
	s_or_b32 exec_lo, exec_lo, s0
	v_mov_b32_e32 v3, 0
	s_mov_b32 s0, exec_lo
	ds_bpermute_b32 v1, v3, v1 offset:124
	ds_bpermute_b32 v2, v3, v2 offset:124
	v_cmpx_eq_u32_e32 0, v9
	s_cbranch_execz .LBB151_351
; %bb.350:
	v_lshlrev_b32_e32 v3, 3, v10
	s_waitcnt lgkmcnt(0)
	ds_store_b64 v3, v[1:2]
.LBB151_351:
	s_or_b32 exec_lo, exec_lo, s0
	s_delay_alu instid0(SALU_CYCLE_1)
	s_mov_b32 s1, exec_lo
	s_waitcnt lgkmcnt(0)
	s_barrier
	buffer_gl0_inv
	v_cmpx_gt_u32_e32 32, v0
	s_cbranch_execz .LBB151_365
; %bb.352:
	v_and_b32_e32 v5, 7, v9
	s_delay_alu instid0(VALU_DEP_1) | instskip(SKIP_4) | instid1(VALU_DEP_1)
	v_lshlrev_b32_e32 v1, 3, v5
	v_cmp_ne_u32_e64 s0, 7, v5
	ds_load_b64 v[1:2], v1
	v_add_co_ci_u32_e64 v3, s0, 0, v9, s0
	s_mov_b32 s0, exec_lo
	v_lshlrev_b32_e32 v4, 2, v3
	s_waitcnt lgkmcnt(0)
	ds_bpermute_b32 v3, v4, v1
	ds_bpermute_b32 v4, v4, v2
	v_cmpx_o_f64_e32 v[1:2], v[1:2]
	s_cbranch_execz .LBB151_356
; %bb.353:
	s_mov_b32 s2, exec_lo
	s_waitcnt lgkmcnt(0)
	v_cmpx_o_f64_e32 v[3:4], v[3:4]
; %bb.354:
	v_cmp_lt_f64_e32 vcc_lo, v[1:2], v[3:4]
	v_dual_cndmask_b32 v4, v2, v4 :: v_dual_cndmask_b32 v3, v1, v3
; %bb.355:
	s_or_b32 exec_lo, exec_lo, s2
	s_delay_alu instid0(VALU_DEP_1)
	v_dual_mov_b32 v1, v3 :: v_dual_mov_b32 v2, v4
.LBB151_356:
	s_or_b32 exec_lo, exec_lo, s0
	v_cmp_gt_u32_e64 s0, 6, v5
	s_waitcnt lgkmcnt(1)
	s_delay_alu instid0(VALU_DEP_1) | instskip(SKIP_1) | instid1(VALU_DEP_1)
	v_cndmask_b32_e64 v3, 0, 1, s0
	s_mov_b32 s0, exec_lo
	v_lshlrev_b32_e32 v3, 1, v3
	s_waitcnt lgkmcnt(0)
	s_delay_alu instid0(VALU_DEP_1)
	v_add_lshl_u32 v4, v3, v9, 2
	ds_bpermute_b32 v3, v4, v1
	ds_bpermute_b32 v4, v4, v2
	v_cmpx_o_f64_e32 v[1:2], v[1:2]
	s_cbranch_execz .LBB151_360
; %bb.357:
	s_mov_b32 s2, exec_lo
	s_waitcnt lgkmcnt(0)
	v_cmpx_o_f64_e32 v[3:4], v[3:4]
; %bb.358:
	v_cmp_lt_f64_e32 vcc_lo, v[1:2], v[3:4]
	v_dual_cndmask_b32 v4, v2, v4 :: v_dual_cndmask_b32 v3, v1, v3
; %bb.359:
	s_or_b32 exec_lo, exec_lo, s2
	s_delay_alu instid0(VALU_DEP_1)
	v_dual_mov_b32 v1, v3 :: v_dual_mov_b32 v2, v4
.LBB151_360:
	s_or_b32 exec_lo, exec_lo, s0
	v_cmp_gt_u32_e64 s0, 4, v5
	s_waitcnt lgkmcnt(1)
	s_delay_alu instid0(VALU_DEP_1) | instskip(SKIP_1) | instid1(VALU_DEP_1)
	v_cndmask_b32_e64 v3, 0, 1, s0
	s_mov_b32 s0, exec_lo
	v_lshlrev_b32_e32 v3, 2, v3
	s_waitcnt lgkmcnt(0)
	s_delay_alu instid0(VALU_DEP_1)
	v_add_lshl_u32 v4, v3, v9, 2
	ds_bpermute_b32 v3, v4, v1
	ds_bpermute_b32 v4, v4, v2
	v_cmpx_o_f64_e32 v[1:2], v[1:2]
	s_cbranch_execz .LBB151_364
; %bb.361:
	s_mov_b32 s2, exec_lo
	s_waitcnt lgkmcnt(0)
	v_cmpx_o_f64_e32 v[3:4], v[3:4]
; %bb.362:
	v_cmp_lt_f64_e32 vcc_lo, v[1:2], v[3:4]
	v_dual_cndmask_b32 v4, v2, v4 :: v_dual_cndmask_b32 v3, v1, v3
; %bb.363:
	s_or_b32 exec_lo, exec_lo, s2
	s_delay_alu instid0(VALU_DEP_1)
	v_dual_mov_b32 v1, v3 :: v_dual_mov_b32 v2, v4
.LBB151_364:
	s_or_b32 exec_lo, exec_lo, s0
.LBB151_365:
	s_delay_alu instid0(SALU_CYCLE_1)
	s_or_b32 exec_lo, exec_lo, s1
.LBB151_366:
	s_delay_alu instid0(SALU_CYCLE_1)
	s_mov_b32 s0, exec_lo
                                        ; implicit-def: $vgpr3_vgpr4
	v_cmpx_eq_u32_e32 0, v0
	s_cbranch_execz .LBB151_372
; %bb.367:
	v_cmp_u_f64_e64 s1, s[12:13], s[12:13]
	s_waitcnt vmcnt(0) lgkmcnt(0)
	v_dual_mov_b32 v3, s12 :: v_dual_mov_b32 v4, s13
	s_delay_alu instid0(VALU_DEP_2)
	s_and_b32 vcc_lo, exec_lo, s1
	s_cbranch_vccnz .LBB151_371
; %bb.368:
	s_mov_b32 s1, exec_lo
	v_cmpx_o_f64_e32 v[1:2], v[1:2]
; %bb.369:
	v_cmp_lt_f64_e32 vcc_lo, s[12:13], v[1:2]
	v_cndmask_b32_e32 v2, s13, v2, vcc_lo
	v_cndmask_b32_e32 v1, s12, v1, vcc_lo
; %bb.370:
	s_or_b32 exec_lo, exec_lo, s1
	s_delay_alu instid0(VALU_DEP_1)
	v_dual_mov_b32 v4, v2 :: v_dual_mov_b32 v3, v1
.LBB151_371:
	s_or_b32 s3, s3, exec_lo
.LBB151_372:
	s_or_b32 exec_lo, exec_lo, s0
	s_and_saveexec_b32 s0, s3
	s_cbranch_execz .LBB151_374
.LBB151_373:
	s_add_u32 s0, s6, s8
	v_mov_b32_e32 v0, 0
	s_addc_u32 s1, s7, s9
	s_add_u32 s0, s0, s10
	s_addc_u32 s1, s1, s11
	s_waitcnt vmcnt(0) lgkmcnt(0)
	global_store_b64 v0, v[3:4], s[0:1]
.LBB151_374:
	s_nop 0
	s_sendmsg sendmsg(MSG_DEALLOC_VGPRS)
	s_endpgm
	.section	.rodata,"a",@progbits
	.p2align	6, 0x0
	.amdhsa_kernel _ZN7rocprim17ROCPRIM_400000_NS6detail17trampoline_kernelINS0_14default_configENS1_32segmented_reduce_config_selectorIdEEZNS1_21segmented_reduce_implIS3_PKdPdPKldN6hipcub16HIPCUB_304000_NS6detail27convert_result_type_wrapperIS8_S9_N2at6native12_GLOBAL__N_19CustomMaxEEEEE10hipError_tPvRmT0_T1_jT2_SQ_T4_T3_P12ihipStream_tbEUlT_E_NS1_11comp_targetILNS1_3genE9ELNS1_11target_archE1100ELNS1_3gpuE3ELNS1_3repE0EEENS1_30default_config_static_selectorELNS0_4arch9wavefront6targetE0EEEvSP_
		.amdhsa_group_segment_fixed_size 64
		.amdhsa_private_segment_fixed_size 0
		.amdhsa_kernarg_size 56
		.amdhsa_user_sgpr_count 15
		.amdhsa_user_sgpr_dispatch_ptr 0
		.amdhsa_user_sgpr_queue_ptr 0
		.amdhsa_user_sgpr_kernarg_segment_ptr 1
		.amdhsa_user_sgpr_dispatch_id 0
		.amdhsa_user_sgpr_private_segment_size 0
		.amdhsa_wavefront_size32 1
		.amdhsa_uses_dynamic_stack 0
		.amdhsa_enable_private_segment 0
		.amdhsa_system_sgpr_workgroup_id_x 1
		.amdhsa_system_sgpr_workgroup_id_y 0
		.amdhsa_system_sgpr_workgroup_id_z 0
		.amdhsa_system_sgpr_workgroup_info 0
		.amdhsa_system_vgpr_workitem_id 0
		.amdhsa_next_free_vgpr 50
		.amdhsa_next_free_sgpr 22
		.amdhsa_reserve_vcc 1
		.amdhsa_float_round_mode_32 0
		.amdhsa_float_round_mode_16_64 0
		.amdhsa_float_denorm_mode_32 3
		.amdhsa_float_denorm_mode_16_64 3
		.amdhsa_dx10_clamp 1
		.amdhsa_ieee_mode 1
		.amdhsa_fp16_overflow 0
		.amdhsa_workgroup_processor_mode 1
		.amdhsa_memory_ordered 1
		.amdhsa_forward_progress 0
		.amdhsa_shared_vgpr_count 0
		.amdhsa_exception_fp_ieee_invalid_op 0
		.amdhsa_exception_fp_denorm_src 0
		.amdhsa_exception_fp_ieee_div_zero 0
		.amdhsa_exception_fp_ieee_overflow 0
		.amdhsa_exception_fp_ieee_underflow 0
		.amdhsa_exception_fp_ieee_inexact 0
		.amdhsa_exception_int_div_zero 0
	.end_amdhsa_kernel
	.section	.text._ZN7rocprim17ROCPRIM_400000_NS6detail17trampoline_kernelINS0_14default_configENS1_32segmented_reduce_config_selectorIdEEZNS1_21segmented_reduce_implIS3_PKdPdPKldN6hipcub16HIPCUB_304000_NS6detail27convert_result_type_wrapperIS8_S9_N2at6native12_GLOBAL__N_19CustomMaxEEEEE10hipError_tPvRmT0_T1_jT2_SQ_T4_T3_P12ihipStream_tbEUlT_E_NS1_11comp_targetILNS1_3genE9ELNS1_11target_archE1100ELNS1_3gpuE3ELNS1_3repE0EEENS1_30default_config_static_selectorELNS0_4arch9wavefront6targetE0EEEvSP_,"axG",@progbits,_ZN7rocprim17ROCPRIM_400000_NS6detail17trampoline_kernelINS0_14default_configENS1_32segmented_reduce_config_selectorIdEEZNS1_21segmented_reduce_implIS3_PKdPdPKldN6hipcub16HIPCUB_304000_NS6detail27convert_result_type_wrapperIS8_S9_N2at6native12_GLOBAL__N_19CustomMaxEEEEE10hipError_tPvRmT0_T1_jT2_SQ_T4_T3_P12ihipStream_tbEUlT_E_NS1_11comp_targetILNS1_3genE9ELNS1_11target_archE1100ELNS1_3gpuE3ELNS1_3repE0EEENS1_30default_config_static_selectorELNS0_4arch9wavefront6targetE0EEEvSP_,comdat
.Lfunc_end151:
	.size	_ZN7rocprim17ROCPRIM_400000_NS6detail17trampoline_kernelINS0_14default_configENS1_32segmented_reduce_config_selectorIdEEZNS1_21segmented_reduce_implIS3_PKdPdPKldN6hipcub16HIPCUB_304000_NS6detail27convert_result_type_wrapperIS8_S9_N2at6native12_GLOBAL__N_19CustomMaxEEEEE10hipError_tPvRmT0_T1_jT2_SQ_T4_T3_P12ihipStream_tbEUlT_E_NS1_11comp_targetILNS1_3genE9ELNS1_11target_archE1100ELNS1_3gpuE3ELNS1_3repE0EEENS1_30default_config_static_selectorELNS0_4arch9wavefront6targetE0EEEvSP_, .Lfunc_end151-_ZN7rocprim17ROCPRIM_400000_NS6detail17trampoline_kernelINS0_14default_configENS1_32segmented_reduce_config_selectorIdEEZNS1_21segmented_reduce_implIS3_PKdPdPKldN6hipcub16HIPCUB_304000_NS6detail27convert_result_type_wrapperIS8_S9_N2at6native12_GLOBAL__N_19CustomMaxEEEEE10hipError_tPvRmT0_T1_jT2_SQ_T4_T3_P12ihipStream_tbEUlT_E_NS1_11comp_targetILNS1_3genE9ELNS1_11target_archE1100ELNS1_3gpuE3ELNS1_3repE0EEENS1_30default_config_static_selectorELNS0_4arch9wavefront6targetE0EEEvSP_
                                        ; -- End function
	.section	.AMDGPU.csdata,"",@progbits
; Kernel info:
; codeLenInByte = 8440
; NumSgprs: 24
; NumVgprs: 50
; ScratchSize: 0
; MemoryBound: 1
; FloatMode: 240
; IeeeMode: 1
; LDSByteSize: 64 bytes/workgroup (compile time only)
; SGPRBlocks: 2
; VGPRBlocks: 6
; NumSGPRsForWavesPerEU: 24
; NumVGPRsForWavesPerEU: 50
; Occupancy: 16
; WaveLimiterHint : 1
; COMPUTE_PGM_RSRC2:SCRATCH_EN: 0
; COMPUTE_PGM_RSRC2:USER_SGPR: 15
; COMPUTE_PGM_RSRC2:TRAP_HANDLER: 0
; COMPUTE_PGM_RSRC2:TGID_X_EN: 1
; COMPUTE_PGM_RSRC2:TGID_Y_EN: 0
; COMPUTE_PGM_RSRC2:TGID_Z_EN: 0
; COMPUTE_PGM_RSRC2:TIDIG_COMP_CNT: 0
	.section	.text._ZN7rocprim17ROCPRIM_400000_NS6detail17trampoline_kernelINS0_14default_configENS1_32segmented_reduce_config_selectorIdEEZNS1_21segmented_reduce_implIS3_PKdPdPKldN6hipcub16HIPCUB_304000_NS6detail27convert_result_type_wrapperIS8_S9_N2at6native12_GLOBAL__N_19CustomMaxEEEEE10hipError_tPvRmT0_T1_jT2_SQ_T4_T3_P12ihipStream_tbEUlT_E_NS1_11comp_targetILNS1_3genE8ELNS1_11target_archE1030ELNS1_3gpuE2ELNS1_3repE0EEENS1_30default_config_static_selectorELNS0_4arch9wavefront6targetE0EEEvSP_,"axG",@progbits,_ZN7rocprim17ROCPRIM_400000_NS6detail17trampoline_kernelINS0_14default_configENS1_32segmented_reduce_config_selectorIdEEZNS1_21segmented_reduce_implIS3_PKdPdPKldN6hipcub16HIPCUB_304000_NS6detail27convert_result_type_wrapperIS8_S9_N2at6native12_GLOBAL__N_19CustomMaxEEEEE10hipError_tPvRmT0_T1_jT2_SQ_T4_T3_P12ihipStream_tbEUlT_E_NS1_11comp_targetILNS1_3genE8ELNS1_11target_archE1030ELNS1_3gpuE2ELNS1_3repE0EEENS1_30default_config_static_selectorELNS0_4arch9wavefront6targetE0EEEvSP_,comdat
	.globl	_ZN7rocprim17ROCPRIM_400000_NS6detail17trampoline_kernelINS0_14default_configENS1_32segmented_reduce_config_selectorIdEEZNS1_21segmented_reduce_implIS3_PKdPdPKldN6hipcub16HIPCUB_304000_NS6detail27convert_result_type_wrapperIS8_S9_N2at6native12_GLOBAL__N_19CustomMaxEEEEE10hipError_tPvRmT0_T1_jT2_SQ_T4_T3_P12ihipStream_tbEUlT_E_NS1_11comp_targetILNS1_3genE8ELNS1_11target_archE1030ELNS1_3gpuE2ELNS1_3repE0EEENS1_30default_config_static_selectorELNS0_4arch9wavefront6targetE0EEEvSP_ ; -- Begin function _ZN7rocprim17ROCPRIM_400000_NS6detail17trampoline_kernelINS0_14default_configENS1_32segmented_reduce_config_selectorIdEEZNS1_21segmented_reduce_implIS3_PKdPdPKldN6hipcub16HIPCUB_304000_NS6detail27convert_result_type_wrapperIS8_S9_N2at6native12_GLOBAL__N_19CustomMaxEEEEE10hipError_tPvRmT0_T1_jT2_SQ_T4_T3_P12ihipStream_tbEUlT_E_NS1_11comp_targetILNS1_3genE8ELNS1_11target_archE1030ELNS1_3gpuE2ELNS1_3repE0EEENS1_30default_config_static_selectorELNS0_4arch9wavefront6targetE0EEEvSP_
	.p2align	8
	.type	_ZN7rocprim17ROCPRIM_400000_NS6detail17trampoline_kernelINS0_14default_configENS1_32segmented_reduce_config_selectorIdEEZNS1_21segmented_reduce_implIS3_PKdPdPKldN6hipcub16HIPCUB_304000_NS6detail27convert_result_type_wrapperIS8_S9_N2at6native12_GLOBAL__N_19CustomMaxEEEEE10hipError_tPvRmT0_T1_jT2_SQ_T4_T3_P12ihipStream_tbEUlT_E_NS1_11comp_targetILNS1_3genE8ELNS1_11target_archE1030ELNS1_3gpuE2ELNS1_3repE0EEENS1_30default_config_static_selectorELNS0_4arch9wavefront6targetE0EEEvSP_,@function
_ZN7rocprim17ROCPRIM_400000_NS6detail17trampoline_kernelINS0_14default_configENS1_32segmented_reduce_config_selectorIdEEZNS1_21segmented_reduce_implIS3_PKdPdPKldN6hipcub16HIPCUB_304000_NS6detail27convert_result_type_wrapperIS8_S9_N2at6native12_GLOBAL__N_19CustomMaxEEEEE10hipError_tPvRmT0_T1_jT2_SQ_T4_T3_P12ihipStream_tbEUlT_E_NS1_11comp_targetILNS1_3genE8ELNS1_11target_archE1030ELNS1_3gpuE2ELNS1_3repE0EEENS1_30default_config_static_selectorELNS0_4arch9wavefront6targetE0EEEvSP_: ; @_ZN7rocprim17ROCPRIM_400000_NS6detail17trampoline_kernelINS0_14default_configENS1_32segmented_reduce_config_selectorIdEEZNS1_21segmented_reduce_implIS3_PKdPdPKldN6hipcub16HIPCUB_304000_NS6detail27convert_result_type_wrapperIS8_S9_N2at6native12_GLOBAL__N_19CustomMaxEEEEE10hipError_tPvRmT0_T1_jT2_SQ_T4_T3_P12ihipStream_tbEUlT_E_NS1_11comp_targetILNS1_3genE8ELNS1_11target_archE1030ELNS1_3gpuE2ELNS1_3repE0EEENS1_30default_config_static_selectorELNS0_4arch9wavefront6targetE0EEEvSP_
; %bb.0:
	.section	.rodata,"a",@progbits
	.p2align	6, 0x0
	.amdhsa_kernel _ZN7rocprim17ROCPRIM_400000_NS6detail17trampoline_kernelINS0_14default_configENS1_32segmented_reduce_config_selectorIdEEZNS1_21segmented_reduce_implIS3_PKdPdPKldN6hipcub16HIPCUB_304000_NS6detail27convert_result_type_wrapperIS8_S9_N2at6native12_GLOBAL__N_19CustomMaxEEEEE10hipError_tPvRmT0_T1_jT2_SQ_T4_T3_P12ihipStream_tbEUlT_E_NS1_11comp_targetILNS1_3genE8ELNS1_11target_archE1030ELNS1_3gpuE2ELNS1_3repE0EEENS1_30default_config_static_selectorELNS0_4arch9wavefront6targetE0EEEvSP_
		.amdhsa_group_segment_fixed_size 0
		.amdhsa_private_segment_fixed_size 0
		.amdhsa_kernarg_size 56
		.amdhsa_user_sgpr_count 15
		.amdhsa_user_sgpr_dispatch_ptr 0
		.amdhsa_user_sgpr_queue_ptr 0
		.amdhsa_user_sgpr_kernarg_segment_ptr 1
		.amdhsa_user_sgpr_dispatch_id 0
		.amdhsa_user_sgpr_private_segment_size 0
		.amdhsa_wavefront_size32 1
		.amdhsa_uses_dynamic_stack 0
		.amdhsa_enable_private_segment 0
		.amdhsa_system_sgpr_workgroup_id_x 1
		.amdhsa_system_sgpr_workgroup_id_y 0
		.amdhsa_system_sgpr_workgroup_id_z 0
		.amdhsa_system_sgpr_workgroup_info 0
		.amdhsa_system_vgpr_workitem_id 0
		.amdhsa_next_free_vgpr 1
		.amdhsa_next_free_sgpr 1
		.amdhsa_reserve_vcc 0
		.amdhsa_float_round_mode_32 0
		.amdhsa_float_round_mode_16_64 0
		.amdhsa_float_denorm_mode_32 3
		.amdhsa_float_denorm_mode_16_64 3
		.amdhsa_dx10_clamp 1
		.amdhsa_ieee_mode 1
		.amdhsa_fp16_overflow 0
		.amdhsa_workgroup_processor_mode 1
		.amdhsa_memory_ordered 1
		.amdhsa_forward_progress 0
		.amdhsa_shared_vgpr_count 0
		.amdhsa_exception_fp_ieee_invalid_op 0
		.amdhsa_exception_fp_denorm_src 0
		.amdhsa_exception_fp_ieee_div_zero 0
		.amdhsa_exception_fp_ieee_overflow 0
		.amdhsa_exception_fp_ieee_underflow 0
		.amdhsa_exception_fp_ieee_inexact 0
		.amdhsa_exception_int_div_zero 0
	.end_amdhsa_kernel
	.section	.text._ZN7rocprim17ROCPRIM_400000_NS6detail17trampoline_kernelINS0_14default_configENS1_32segmented_reduce_config_selectorIdEEZNS1_21segmented_reduce_implIS3_PKdPdPKldN6hipcub16HIPCUB_304000_NS6detail27convert_result_type_wrapperIS8_S9_N2at6native12_GLOBAL__N_19CustomMaxEEEEE10hipError_tPvRmT0_T1_jT2_SQ_T4_T3_P12ihipStream_tbEUlT_E_NS1_11comp_targetILNS1_3genE8ELNS1_11target_archE1030ELNS1_3gpuE2ELNS1_3repE0EEENS1_30default_config_static_selectorELNS0_4arch9wavefront6targetE0EEEvSP_,"axG",@progbits,_ZN7rocprim17ROCPRIM_400000_NS6detail17trampoline_kernelINS0_14default_configENS1_32segmented_reduce_config_selectorIdEEZNS1_21segmented_reduce_implIS3_PKdPdPKldN6hipcub16HIPCUB_304000_NS6detail27convert_result_type_wrapperIS8_S9_N2at6native12_GLOBAL__N_19CustomMaxEEEEE10hipError_tPvRmT0_T1_jT2_SQ_T4_T3_P12ihipStream_tbEUlT_E_NS1_11comp_targetILNS1_3genE8ELNS1_11target_archE1030ELNS1_3gpuE2ELNS1_3repE0EEENS1_30default_config_static_selectorELNS0_4arch9wavefront6targetE0EEEvSP_,comdat
.Lfunc_end152:
	.size	_ZN7rocprim17ROCPRIM_400000_NS6detail17trampoline_kernelINS0_14default_configENS1_32segmented_reduce_config_selectorIdEEZNS1_21segmented_reduce_implIS3_PKdPdPKldN6hipcub16HIPCUB_304000_NS6detail27convert_result_type_wrapperIS8_S9_N2at6native12_GLOBAL__N_19CustomMaxEEEEE10hipError_tPvRmT0_T1_jT2_SQ_T4_T3_P12ihipStream_tbEUlT_E_NS1_11comp_targetILNS1_3genE8ELNS1_11target_archE1030ELNS1_3gpuE2ELNS1_3repE0EEENS1_30default_config_static_selectorELNS0_4arch9wavefront6targetE0EEEvSP_, .Lfunc_end152-_ZN7rocprim17ROCPRIM_400000_NS6detail17trampoline_kernelINS0_14default_configENS1_32segmented_reduce_config_selectorIdEEZNS1_21segmented_reduce_implIS3_PKdPdPKldN6hipcub16HIPCUB_304000_NS6detail27convert_result_type_wrapperIS8_S9_N2at6native12_GLOBAL__N_19CustomMaxEEEEE10hipError_tPvRmT0_T1_jT2_SQ_T4_T3_P12ihipStream_tbEUlT_E_NS1_11comp_targetILNS1_3genE8ELNS1_11target_archE1030ELNS1_3gpuE2ELNS1_3repE0EEENS1_30default_config_static_selectorELNS0_4arch9wavefront6targetE0EEEvSP_
                                        ; -- End function
	.section	.AMDGPU.csdata,"",@progbits
; Kernel info:
; codeLenInByte = 0
; NumSgprs: 0
; NumVgprs: 0
; ScratchSize: 0
; MemoryBound: 0
; FloatMode: 240
; IeeeMode: 1
; LDSByteSize: 0 bytes/workgroup (compile time only)
; SGPRBlocks: 0
; VGPRBlocks: 0
; NumSGPRsForWavesPerEU: 1
; NumVGPRsForWavesPerEU: 1
; Occupancy: 16
; WaveLimiterHint : 0
; COMPUTE_PGM_RSRC2:SCRATCH_EN: 0
; COMPUTE_PGM_RSRC2:USER_SGPR: 15
; COMPUTE_PGM_RSRC2:TRAP_HANDLER: 0
; COMPUTE_PGM_RSRC2:TGID_X_EN: 1
; COMPUTE_PGM_RSRC2:TGID_Y_EN: 0
; COMPUTE_PGM_RSRC2:TGID_Z_EN: 0
; COMPUTE_PGM_RSRC2:TIDIG_COMP_CNT: 0
	.section	.text._ZN7rocprim17ROCPRIM_400000_NS6detail17trampoline_kernelINS0_14default_configENS1_32segmented_reduce_config_selectorIdEEZNS1_21segmented_reduce_implIS3_PKdPdPKldN6hipcub16HIPCUB_304000_NS6detail27convert_result_type_wrapperIS8_S9_N2at6native12_GLOBAL__N_19CustomSumEEEEE10hipError_tPvRmT0_T1_jT2_SQ_T4_T3_P12ihipStream_tbEUlT_E_NS1_11comp_targetILNS1_3genE0ELNS1_11target_archE4294967295ELNS1_3gpuE0ELNS1_3repE0EEENS1_30default_config_static_selectorELNS0_4arch9wavefront6targetE0EEEvSP_,"axG",@progbits,_ZN7rocprim17ROCPRIM_400000_NS6detail17trampoline_kernelINS0_14default_configENS1_32segmented_reduce_config_selectorIdEEZNS1_21segmented_reduce_implIS3_PKdPdPKldN6hipcub16HIPCUB_304000_NS6detail27convert_result_type_wrapperIS8_S9_N2at6native12_GLOBAL__N_19CustomSumEEEEE10hipError_tPvRmT0_T1_jT2_SQ_T4_T3_P12ihipStream_tbEUlT_E_NS1_11comp_targetILNS1_3genE0ELNS1_11target_archE4294967295ELNS1_3gpuE0ELNS1_3repE0EEENS1_30default_config_static_selectorELNS0_4arch9wavefront6targetE0EEEvSP_,comdat
	.globl	_ZN7rocprim17ROCPRIM_400000_NS6detail17trampoline_kernelINS0_14default_configENS1_32segmented_reduce_config_selectorIdEEZNS1_21segmented_reduce_implIS3_PKdPdPKldN6hipcub16HIPCUB_304000_NS6detail27convert_result_type_wrapperIS8_S9_N2at6native12_GLOBAL__N_19CustomSumEEEEE10hipError_tPvRmT0_T1_jT2_SQ_T4_T3_P12ihipStream_tbEUlT_E_NS1_11comp_targetILNS1_3genE0ELNS1_11target_archE4294967295ELNS1_3gpuE0ELNS1_3repE0EEENS1_30default_config_static_selectorELNS0_4arch9wavefront6targetE0EEEvSP_ ; -- Begin function _ZN7rocprim17ROCPRIM_400000_NS6detail17trampoline_kernelINS0_14default_configENS1_32segmented_reduce_config_selectorIdEEZNS1_21segmented_reduce_implIS3_PKdPdPKldN6hipcub16HIPCUB_304000_NS6detail27convert_result_type_wrapperIS8_S9_N2at6native12_GLOBAL__N_19CustomSumEEEEE10hipError_tPvRmT0_T1_jT2_SQ_T4_T3_P12ihipStream_tbEUlT_E_NS1_11comp_targetILNS1_3genE0ELNS1_11target_archE4294967295ELNS1_3gpuE0ELNS1_3repE0EEENS1_30default_config_static_selectorELNS0_4arch9wavefront6targetE0EEEvSP_
	.p2align	8
	.type	_ZN7rocprim17ROCPRIM_400000_NS6detail17trampoline_kernelINS0_14default_configENS1_32segmented_reduce_config_selectorIdEEZNS1_21segmented_reduce_implIS3_PKdPdPKldN6hipcub16HIPCUB_304000_NS6detail27convert_result_type_wrapperIS8_S9_N2at6native12_GLOBAL__N_19CustomSumEEEEE10hipError_tPvRmT0_T1_jT2_SQ_T4_T3_P12ihipStream_tbEUlT_E_NS1_11comp_targetILNS1_3genE0ELNS1_11target_archE4294967295ELNS1_3gpuE0ELNS1_3repE0EEENS1_30default_config_static_selectorELNS0_4arch9wavefront6targetE0EEEvSP_,@function
_ZN7rocprim17ROCPRIM_400000_NS6detail17trampoline_kernelINS0_14default_configENS1_32segmented_reduce_config_selectorIdEEZNS1_21segmented_reduce_implIS3_PKdPdPKldN6hipcub16HIPCUB_304000_NS6detail27convert_result_type_wrapperIS8_S9_N2at6native12_GLOBAL__N_19CustomSumEEEEE10hipError_tPvRmT0_T1_jT2_SQ_T4_T3_P12ihipStream_tbEUlT_E_NS1_11comp_targetILNS1_3genE0ELNS1_11target_archE4294967295ELNS1_3gpuE0ELNS1_3repE0EEENS1_30default_config_static_selectorELNS0_4arch9wavefront6targetE0EEEvSP_: ; @_ZN7rocprim17ROCPRIM_400000_NS6detail17trampoline_kernelINS0_14default_configENS1_32segmented_reduce_config_selectorIdEEZNS1_21segmented_reduce_implIS3_PKdPdPKldN6hipcub16HIPCUB_304000_NS6detail27convert_result_type_wrapperIS8_S9_N2at6native12_GLOBAL__N_19CustomSumEEEEE10hipError_tPvRmT0_T1_jT2_SQ_T4_T3_P12ihipStream_tbEUlT_E_NS1_11comp_targetILNS1_3genE0ELNS1_11target_archE4294967295ELNS1_3gpuE0ELNS1_3repE0EEENS1_30default_config_static_selectorELNS0_4arch9wavefront6targetE0EEEvSP_
; %bb.0:
	.section	.rodata,"a",@progbits
	.p2align	6, 0x0
	.amdhsa_kernel _ZN7rocprim17ROCPRIM_400000_NS6detail17trampoline_kernelINS0_14default_configENS1_32segmented_reduce_config_selectorIdEEZNS1_21segmented_reduce_implIS3_PKdPdPKldN6hipcub16HIPCUB_304000_NS6detail27convert_result_type_wrapperIS8_S9_N2at6native12_GLOBAL__N_19CustomSumEEEEE10hipError_tPvRmT0_T1_jT2_SQ_T4_T3_P12ihipStream_tbEUlT_E_NS1_11comp_targetILNS1_3genE0ELNS1_11target_archE4294967295ELNS1_3gpuE0ELNS1_3repE0EEENS1_30default_config_static_selectorELNS0_4arch9wavefront6targetE0EEEvSP_
		.amdhsa_group_segment_fixed_size 0
		.amdhsa_private_segment_fixed_size 0
		.amdhsa_kernarg_size 56
		.amdhsa_user_sgpr_count 15
		.amdhsa_user_sgpr_dispatch_ptr 0
		.amdhsa_user_sgpr_queue_ptr 0
		.amdhsa_user_sgpr_kernarg_segment_ptr 1
		.amdhsa_user_sgpr_dispatch_id 0
		.amdhsa_user_sgpr_private_segment_size 0
		.amdhsa_wavefront_size32 1
		.amdhsa_uses_dynamic_stack 0
		.amdhsa_enable_private_segment 0
		.amdhsa_system_sgpr_workgroup_id_x 1
		.amdhsa_system_sgpr_workgroup_id_y 0
		.amdhsa_system_sgpr_workgroup_id_z 0
		.amdhsa_system_sgpr_workgroup_info 0
		.amdhsa_system_vgpr_workitem_id 0
		.amdhsa_next_free_vgpr 1
		.amdhsa_next_free_sgpr 1
		.amdhsa_reserve_vcc 0
		.amdhsa_float_round_mode_32 0
		.amdhsa_float_round_mode_16_64 0
		.amdhsa_float_denorm_mode_32 3
		.amdhsa_float_denorm_mode_16_64 3
		.amdhsa_dx10_clamp 1
		.amdhsa_ieee_mode 1
		.amdhsa_fp16_overflow 0
		.amdhsa_workgroup_processor_mode 1
		.amdhsa_memory_ordered 1
		.amdhsa_forward_progress 0
		.amdhsa_shared_vgpr_count 0
		.amdhsa_exception_fp_ieee_invalid_op 0
		.amdhsa_exception_fp_denorm_src 0
		.amdhsa_exception_fp_ieee_div_zero 0
		.amdhsa_exception_fp_ieee_overflow 0
		.amdhsa_exception_fp_ieee_underflow 0
		.amdhsa_exception_fp_ieee_inexact 0
		.amdhsa_exception_int_div_zero 0
	.end_amdhsa_kernel
	.section	.text._ZN7rocprim17ROCPRIM_400000_NS6detail17trampoline_kernelINS0_14default_configENS1_32segmented_reduce_config_selectorIdEEZNS1_21segmented_reduce_implIS3_PKdPdPKldN6hipcub16HIPCUB_304000_NS6detail27convert_result_type_wrapperIS8_S9_N2at6native12_GLOBAL__N_19CustomSumEEEEE10hipError_tPvRmT0_T1_jT2_SQ_T4_T3_P12ihipStream_tbEUlT_E_NS1_11comp_targetILNS1_3genE0ELNS1_11target_archE4294967295ELNS1_3gpuE0ELNS1_3repE0EEENS1_30default_config_static_selectorELNS0_4arch9wavefront6targetE0EEEvSP_,"axG",@progbits,_ZN7rocprim17ROCPRIM_400000_NS6detail17trampoline_kernelINS0_14default_configENS1_32segmented_reduce_config_selectorIdEEZNS1_21segmented_reduce_implIS3_PKdPdPKldN6hipcub16HIPCUB_304000_NS6detail27convert_result_type_wrapperIS8_S9_N2at6native12_GLOBAL__N_19CustomSumEEEEE10hipError_tPvRmT0_T1_jT2_SQ_T4_T3_P12ihipStream_tbEUlT_E_NS1_11comp_targetILNS1_3genE0ELNS1_11target_archE4294967295ELNS1_3gpuE0ELNS1_3repE0EEENS1_30default_config_static_selectorELNS0_4arch9wavefront6targetE0EEEvSP_,comdat
.Lfunc_end153:
	.size	_ZN7rocprim17ROCPRIM_400000_NS6detail17trampoline_kernelINS0_14default_configENS1_32segmented_reduce_config_selectorIdEEZNS1_21segmented_reduce_implIS3_PKdPdPKldN6hipcub16HIPCUB_304000_NS6detail27convert_result_type_wrapperIS8_S9_N2at6native12_GLOBAL__N_19CustomSumEEEEE10hipError_tPvRmT0_T1_jT2_SQ_T4_T3_P12ihipStream_tbEUlT_E_NS1_11comp_targetILNS1_3genE0ELNS1_11target_archE4294967295ELNS1_3gpuE0ELNS1_3repE0EEENS1_30default_config_static_selectorELNS0_4arch9wavefront6targetE0EEEvSP_, .Lfunc_end153-_ZN7rocprim17ROCPRIM_400000_NS6detail17trampoline_kernelINS0_14default_configENS1_32segmented_reduce_config_selectorIdEEZNS1_21segmented_reduce_implIS3_PKdPdPKldN6hipcub16HIPCUB_304000_NS6detail27convert_result_type_wrapperIS8_S9_N2at6native12_GLOBAL__N_19CustomSumEEEEE10hipError_tPvRmT0_T1_jT2_SQ_T4_T3_P12ihipStream_tbEUlT_E_NS1_11comp_targetILNS1_3genE0ELNS1_11target_archE4294967295ELNS1_3gpuE0ELNS1_3repE0EEENS1_30default_config_static_selectorELNS0_4arch9wavefront6targetE0EEEvSP_
                                        ; -- End function
	.section	.AMDGPU.csdata,"",@progbits
; Kernel info:
; codeLenInByte = 0
; NumSgprs: 0
; NumVgprs: 0
; ScratchSize: 0
; MemoryBound: 0
; FloatMode: 240
; IeeeMode: 1
; LDSByteSize: 0 bytes/workgroup (compile time only)
; SGPRBlocks: 0
; VGPRBlocks: 0
; NumSGPRsForWavesPerEU: 1
; NumVGPRsForWavesPerEU: 1
; Occupancy: 16
; WaveLimiterHint : 0
; COMPUTE_PGM_RSRC2:SCRATCH_EN: 0
; COMPUTE_PGM_RSRC2:USER_SGPR: 15
; COMPUTE_PGM_RSRC2:TRAP_HANDLER: 0
; COMPUTE_PGM_RSRC2:TGID_X_EN: 1
; COMPUTE_PGM_RSRC2:TGID_Y_EN: 0
; COMPUTE_PGM_RSRC2:TGID_Z_EN: 0
; COMPUTE_PGM_RSRC2:TIDIG_COMP_CNT: 0
	.section	.text._ZN7rocprim17ROCPRIM_400000_NS6detail17trampoline_kernelINS0_14default_configENS1_32segmented_reduce_config_selectorIdEEZNS1_21segmented_reduce_implIS3_PKdPdPKldN6hipcub16HIPCUB_304000_NS6detail27convert_result_type_wrapperIS8_S9_N2at6native12_GLOBAL__N_19CustomSumEEEEE10hipError_tPvRmT0_T1_jT2_SQ_T4_T3_P12ihipStream_tbEUlT_E_NS1_11comp_targetILNS1_3genE5ELNS1_11target_archE942ELNS1_3gpuE9ELNS1_3repE0EEENS1_30default_config_static_selectorELNS0_4arch9wavefront6targetE0EEEvSP_,"axG",@progbits,_ZN7rocprim17ROCPRIM_400000_NS6detail17trampoline_kernelINS0_14default_configENS1_32segmented_reduce_config_selectorIdEEZNS1_21segmented_reduce_implIS3_PKdPdPKldN6hipcub16HIPCUB_304000_NS6detail27convert_result_type_wrapperIS8_S9_N2at6native12_GLOBAL__N_19CustomSumEEEEE10hipError_tPvRmT0_T1_jT2_SQ_T4_T3_P12ihipStream_tbEUlT_E_NS1_11comp_targetILNS1_3genE5ELNS1_11target_archE942ELNS1_3gpuE9ELNS1_3repE0EEENS1_30default_config_static_selectorELNS0_4arch9wavefront6targetE0EEEvSP_,comdat
	.globl	_ZN7rocprim17ROCPRIM_400000_NS6detail17trampoline_kernelINS0_14default_configENS1_32segmented_reduce_config_selectorIdEEZNS1_21segmented_reduce_implIS3_PKdPdPKldN6hipcub16HIPCUB_304000_NS6detail27convert_result_type_wrapperIS8_S9_N2at6native12_GLOBAL__N_19CustomSumEEEEE10hipError_tPvRmT0_T1_jT2_SQ_T4_T3_P12ihipStream_tbEUlT_E_NS1_11comp_targetILNS1_3genE5ELNS1_11target_archE942ELNS1_3gpuE9ELNS1_3repE0EEENS1_30default_config_static_selectorELNS0_4arch9wavefront6targetE0EEEvSP_ ; -- Begin function _ZN7rocprim17ROCPRIM_400000_NS6detail17trampoline_kernelINS0_14default_configENS1_32segmented_reduce_config_selectorIdEEZNS1_21segmented_reduce_implIS3_PKdPdPKldN6hipcub16HIPCUB_304000_NS6detail27convert_result_type_wrapperIS8_S9_N2at6native12_GLOBAL__N_19CustomSumEEEEE10hipError_tPvRmT0_T1_jT2_SQ_T4_T3_P12ihipStream_tbEUlT_E_NS1_11comp_targetILNS1_3genE5ELNS1_11target_archE942ELNS1_3gpuE9ELNS1_3repE0EEENS1_30default_config_static_selectorELNS0_4arch9wavefront6targetE0EEEvSP_
	.p2align	8
	.type	_ZN7rocprim17ROCPRIM_400000_NS6detail17trampoline_kernelINS0_14default_configENS1_32segmented_reduce_config_selectorIdEEZNS1_21segmented_reduce_implIS3_PKdPdPKldN6hipcub16HIPCUB_304000_NS6detail27convert_result_type_wrapperIS8_S9_N2at6native12_GLOBAL__N_19CustomSumEEEEE10hipError_tPvRmT0_T1_jT2_SQ_T4_T3_P12ihipStream_tbEUlT_E_NS1_11comp_targetILNS1_3genE5ELNS1_11target_archE942ELNS1_3gpuE9ELNS1_3repE0EEENS1_30default_config_static_selectorELNS0_4arch9wavefront6targetE0EEEvSP_,@function
_ZN7rocprim17ROCPRIM_400000_NS6detail17trampoline_kernelINS0_14default_configENS1_32segmented_reduce_config_selectorIdEEZNS1_21segmented_reduce_implIS3_PKdPdPKldN6hipcub16HIPCUB_304000_NS6detail27convert_result_type_wrapperIS8_S9_N2at6native12_GLOBAL__N_19CustomSumEEEEE10hipError_tPvRmT0_T1_jT2_SQ_T4_T3_P12ihipStream_tbEUlT_E_NS1_11comp_targetILNS1_3genE5ELNS1_11target_archE942ELNS1_3gpuE9ELNS1_3repE0EEENS1_30default_config_static_selectorELNS0_4arch9wavefront6targetE0EEEvSP_: ; @_ZN7rocprim17ROCPRIM_400000_NS6detail17trampoline_kernelINS0_14default_configENS1_32segmented_reduce_config_selectorIdEEZNS1_21segmented_reduce_implIS3_PKdPdPKldN6hipcub16HIPCUB_304000_NS6detail27convert_result_type_wrapperIS8_S9_N2at6native12_GLOBAL__N_19CustomSumEEEEE10hipError_tPvRmT0_T1_jT2_SQ_T4_T3_P12ihipStream_tbEUlT_E_NS1_11comp_targetILNS1_3genE5ELNS1_11target_archE942ELNS1_3gpuE9ELNS1_3repE0EEENS1_30default_config_static_selectorELNS0_4arch9wavefront6targetE0EEEvSP_
; %bb.0:
	.section	.rodata,"a",@progbits
	.p2align	6, 0x0
	.amdhsa_kernel _ZN7rocprim17ROCPRIM_400000_NS6detail17trampoline_kernelINS0_14default_configENS1_32segmented_reduce_config_selectorIdEEZNS1_21segmented_reduce_implIS3_PKdPdPKldN6hipcub16HIPCUB_304000_NS6detail27convert_result_type_wrapperIS8_S9_N2at6native12_GLOBAL__N_19CustomSumEEEEE10hipError_tPvRmT0_T1_jT2_SQ_T4_T3_P12ihipStream_tbEUlT_E_NS1_11comp_targetILNS1_3genE5ELNS1_11target_archE942ELNS1_3gpuE9ELNS1_3repE0EEENS1_30default_config_static_selectorELNS0_4arch9wavefront6targetE0EEEvSP_
		.amdhsa_group_segment_fixed_size 0
		.amdhsa_private_segment_fixed_size 0
		.amdhsa_kernarg_size 56
		.amdhsa_user_sgpr_count 15
		.amdhsa_user_sgpr_dispatch_ptr 0
		.amdhsa_user_sgpr_queue_ptr 0
		.amdhsa_user_sgpr_kernarg_segment_ptr 1
		.amdhsa_user_sgpr_dispatch_id 0
		.amdhsa_user_sgpr_private_segment_size 0
		.amdhsa_wavefront_size32 1
		.amdhsa_uses_dynamic_stack 0
		.amdhsa_enable_private_segment 0
		.amdhsa_system_sgpr_workgroup_id_x 1
		.amdhsa_system_sgpr_workgroup_id_y 0
		.amdhsa_system_sgpr_workgroup_id_z 0
		.amdhsa_system_sgpr_workgroup_info 0
		.amdhsa_system_vgpr_workitem_id 0
		.amdhsa_next_free_vgpr 1
		.amdhsa_next_free_sgpr 1
		.amdhsa_reserve_vcc 0
		.amdhsa_float_round_mode_32 0
		.amdhsa_float_round_mode_16_64 0
		.amdhsa_float_denorm_mode_32 3
		.amdhsa_float_denorm_mode_16_64 3
		.amdhsa_dx10_clamp 1
		.amdhsa_ieee_mode 1
		.amdhsa_fp16_overflow 0
		.amdhsa_workgroup_processor_mode 1
		.amdhsa_memory_ordered 1
		.amdhsa_forward_progress 0
		.amdhsa_shared_vgpr_count 0
		.amdhsa_exception_fp_ieee_invalid_op 0
		.amdhsa_exception_fp_denorm_src 0
		.amdhsa_exception_fp_ieee_div_zero 0
		.amdhsa_exception_fp_ieee_overflow 0
		.amdhsa_exception_fp_ieee_underflow 0
		.amdhsa_exception_fp_ieee_inexact 0
		.amdhsa_exception_int_div_zero 0
	.end_amdhsa_kernel
	.section	.text._ZN7rocprim17ROCPRIM_400000_NS6detail17trampoline_kernelINS0_14default_configENS1_32segmented_reduce_config_selectorIdEEZNS1_21segmented_reduce_implIS3_PKdPdPKldN6hipcub16HIPCUB_304000_NS6detail27convert_result_type_wrapperIS8_S9_N2at6native12_GLOBAL__N_19CustomSumEEEEE10hipError_tPvRmT0_T1_jT2_SQ_T4_T3_P12ihipStream_tbEUlT_E_NS1_11comp_targetILNS1_3genE5ELNS1_11target_archE942ELNS1_3gpuE9ELNS1_3repE0EEENS1_30default_config_static_selectorELNS0_4arch9wavefront6targetE0EEEvSP_,"axG",@progbits,_ZN7rocprim17ROCPRIM_400000_NS6detail17trampoline_kernelINS0_14default_configENS1_32segmented_reduce_config_selectorIdEEZNS1_21segmented_reduce_implIS3_PKdPdPKldN6hipcub16HIPCUB_304000_NS6detail27convert_result_type_wrapperIS8_S9_N2at6native12_GLOBAL__N_19CustomSumEEEEE10hipError_tPvRmT0_T1_jT2_SQ_T4_T3_P12ihipStream_tbEUlT_E_NS1_11comp_targetILNS1_3genE5ELNS1_11target_archE942ELNS1_3gpuE9ELNS1_3repE0EEENS1_30default_config_static_selectorELNS0_4arch9wavefront6targetE0EEEvSP_,comdat
.Lfunc_end154:
	.size	_ZN7rocprim17ROCPRIM_400000_NS6detail17trampoline_kernelINS0_14default_configENS1_32segmented_reduce_config_selectorIdEEZNS1_21segmented_reduce_implIS3_PKdPdPKldN6hipcub16HIPCUB_304000_NS6detail27convert_result_type_wrapperIS8_S9_N2at6native12_GLOBAL__N_19CustomSumEEEEE10hipError_tPvRmT0_T1_jT2_SQ_T4_T3_P12ihipStream_tbEUlT_E_NS1_11comp_targetILNS1_3genE5ELNS1_11target_archE942ELNS1_3gpuE9ELNS1_3repE0EEENS1_30default_config_static_selectorELNS0_4arch9wavefront6targetE0EEEvSP_, .Lfunc_end154-_ZN7rocprim17ROCPRIM_400000_NS6detail17trampoline_kernelINS0_14default_configENS1_32segmented_reduce_config_selectorIdEEZNS1_21segmented_reduce_implIS3_PKdPdPKldN6hipcub16HIPCUB_304000_NS6detail27convert_result_type_wrapperIS8_S9_N2at6native12_GLOBAL__N_19CustomSumEEEEE10hipError_tPvRmT0_T1_jT2_SQ_T4_T3_P12ihipStream_tbEUlT_E_NS1_11comp_targetILNS1_3genE5ELNS1_11target_archE942ELNS1_3gpuE9ELNS1_3repE0EEENS1_30default_config_static_selectorELNS0_4arch9wavefront6targetE0EEEvSP_
                                        ; -- End function
	.section	.AMDGPU.csdata,"",@progbits
; Kernel info:
; codeLenInByte = 0
; NumSgprs: 0
; NumVgprs: 0
; ScratchSize: 0
; MemoryBound: 0
; FloatMode: 240
; IeeeMode: 1
; LDSByteSize: 0 bytes/workgroup (compile time only)
; SGPRBlocks: 0
; VGPRBlocks: 0
; NumSGPRsForWavesPerEU: 1
; NumVGPRsForWavesPerEU: 1
; Occupancy: 16
; WaveLimiterHint : 0
; COMPUTE_PGM_RSRC2:SCRATCH_EN: 0
; COMPUTE_PGM_RSRC2:USER_SGPR: 15
; COMPUTE_PGM_RSRC2:TRAP_HANDLER: 0
; COMPUTE_PGM_RSRC2:TGID_X_EN: 1
; COMPUTE_PGM_RSRC2:TGID_Y_EN: 0
; COMPUTE_PGM_RSRC2:TGID_Z_EN: 0
; COMPUTE_PGM_RSRC2:TIDIG_COMP_CNT: 0
	.section	.text._ZN7rocprim17ROCPRIM_400000_NS6detail17trampoline_kernelINS0_14default_configENS1_32segmented_reduce_config_selectorIdEEZNS1_21segmented_reduce_implIS3_PKdPdPKldN6hipcub16HIPCUB_304000_NS6detail27convert_result_type_wrapperIS8_S9_N2at6native12_GLOBAL__N_19CustomSumEEEEE10hipError_tPvRmT0_T1_jT2_SQ_T4_T3_P12ihipStream_tbEUlT_E_NS1_11comp_targetILNS1_3genE10ELNS1_11target_archE1201ELNS1_3gpuE5ELNS1_3repE0EEENS1_30default_config_static_selectorELNS0_4arch9wavefront6targetE0EEEvSP_,"axG",@progbits,_ZN7rocprim17ROCPRIM_400000_NS6detail17trampoline_kernelINS0_14default_configENS1_32segmented_reduce_config_selectorIdEEZNS1_21segmented_reduce_implIS3_PKdPdPKldN6hipcub16HIPCUB_304000_NS6detail27convert_result_type_wrapperIS8_S9_N2at6native12_GLOBAL__N_19CustomSumEEEEE10hipError_tPvRmT0_T1_jT2_SQ_T4_T3_P12ihipStream_tbEUlT_E_NS1_11comp_targetILNS1_3genE10ELNS1_11target_archE1201ELNS1_3gpuE5ELNS1_3repE0EEENS1_30default_config_static_selectorELNS0_4arch9wavefront6targetE0EEEvSP_,comdat
	.globl	_ZN7rocprim17ROCPRIM_400000_NS6detail17trampoline_kernelINS0_14default_configENS1_32segmented_reduce_config_selectorIdEEZNS1_21segmented_reduce_implIS3_PKdPdPKldN6hipcub16HIPCUB_304000_NS6detail27convert_result_type_wrapperIS8_S9_N2at6native12_GLOBAL__N_19CustomSumEEEEE10hipError_tPvRmT0_T1_jT2_SQ_T4_T3_P12ihipStream_tbEUlT_E_NS1_11comp_targetILNS1_3genE10ELNS1_11target_archE1201ELNS1_3gpuE5ELNS1_3repE0EEENS1_30default_config_static_selectorELNS0_4arch9wavefront6targetE0EEEvSP_ ; -- Begin function _ZN7rocprim17ROCPRIM_400000_NS6detail17trampoline_kernelINS0_14default_configENS1_32segmented_reduce_config_selectorIdEEZNS1_21segmented_reduce_implIS3_PKdPdPKldN6hipcub16HIPCUB_304000_NS6detail27convert_result_type_wrapperIS8_S9_N2at6native12_GLOBAL__N_19CustomSumEEEEE10hipError_tPvRmT0_T1_jT2_SQ_T4_T3_P12ihipStream_tbEUlT_E_NS1_11comp_targetILNS1_3genE10ELNS1_11target_archE1201ELNS1_3gpuE5ELNS1_3repE0EEENS1_30default_config_static_selectorELNS0_4arch9wavefront6targetE0EEEvSP_
	.p2align	8
	.type	_ZN7rocprim17ROCPRIM_400000_NS6detail17trampoline_kernelINS0_14default_configENS1_32segmented_reduce_config_selectorIdEEZNS1_21segmented_reduce_implIS3_PKdPdPKldN6hipcub16HIPCUB_304000_NS6detail27convert_result_type_wrapperIS8_S9_N2at6native12_GLOBAL__N_19CustomSumEEEEE10hipError_tPvRmT0_T1_jT2_SQ_T4_T3_P12ihipStream_tbEUlT_E_NS1_11comp_targetILNS1_3genE10ELNS1_11target_archE1201ELNS1_3gpuE5ELNS1_3repE0EEENS1_30default_config_static_selectorELNS0_4arch9wavefront6targetE0EEEvSP_,@function
_ZN7rocprim17ROCPRIM_400000_NS6detail17trampoline_kernelINS0_14default_configENS1_32segmented_reduce_config_selectorIdEEZNS1_21segmented_reduce_implIS3_PKdPdPKldN6hipcub16HIPCUB_304000_NS6detail27convert_result_type_wrapperIS8_S9_N2at6native12_GLOBAL__N_19CustomSumEEEEE10hipError_tPvRmT0_T1_jT2_SQ_T4_T3_P12ihipStream_tbEUlT_E_NS1_11comp_targetILNS1_3genE10ELNS1_11target_archE1201ELNS1_3gpuE5ELNS1_3repE0EEENS1_30default_config_static_selectorELNS0_4arch9wavefront6targetE0EEEvSP_: ; @_ZN7rocprim17ROCPRIM_400000_NS6detail17trampoline_kernelINS0_14default_configENS1_32segmented_reduce_config_selectorIdEEZNS1_21segmented_reduce_implIS3_PKdPdPKldN6hipcub16HIPCUB_304000_NS6detail27convert_result_type_wrapperIS8_S9_N2at6native12_GLOBAL__N_19CustomSumEEEEE10hipError_tPvRmT0_T1_jT2_SQ_T4_T3_P12ihipStream_tbEUlT_E_NS1_11comp_targetILNS1_3genE10ELNS1_11target_archE1201ELNS1_3gpuE5ELNS1_3repE0EEENS1_30default_config_static_selectorELNS0_4arch9wavefront6targetE0EEEvSP_
; %bb.0:
	.section	.rodata,"a",@progbits
	.p2align	6, 0x0
	.amdhsa_kernel _ZN7rocprim17ROCPRIM_400000_NS6detail17trampoline_kernelINS0_14default_configENS1_32segmented_reduce_config_selectorIdEEZNS1_21segmented_reduce_implIS3_PKdPdPKldN6hipcub16HIPCUB_304000_NS6detail27convert_result_type_wrapperIS8_S9_N2at6native12_GLOBAL__N_19CustomSumEEEEE10hipError_tPvRmT0_T1_jT2_SQ_T4_T3_P12ihipStream_tbEUlT_E_NS1_11comp_targetILNS1_3genE10ELNS1_11target_archE1201ELNS1_3gpuE5ELNS1_3repE0EEENS1_30default_config_static_selectorELNS0_4arch9wavefront6targetE0EEEvSP_
		.amdhsa_group_segment_fixed_size 0
		.amdhsa_private_segment_fixed_size 0
		.amdhsa_kernarg_size 56
		.amdhsa_user_sgpr_count 15
		.amdhsa_user_sgpr_dispatch_ptr 0
		.amdhsa_user_sgpr_queue_ptr 0
		.amdhsa_user_sgpr_kernarg_segment_ptr 1
		.amdhsa_user_sgpr_dispatch_id 0
		.amdhsa_user_sgpr_private_segment_size 0
		.amdhsa_wavefront_size32 1
		.amdhsa_uses_dynamic_stack 0
		.amdhsa_enable_private_segment 0
		.amdhsa_system_sgpr_workgroup_id_x 1
		.amdhsa_system_sgpr_workgroup_id_y 0
		.amdhsa_system_sgpr_workgroup_id_z 0
		.amdhsa_system_sgpr_workgroup_info 0
		.amdhsa_system_vgpr_workitem_id 0
		.amdhsa_next_free_vgpr 1
		.amdhsa_next_free_sgpr 1
		.amdhsa_reserve_vcc 0
		.amdhsa_float_round_mode_32 0
		.amdhsa_float_round_mode_16_64 0
		.amdhsa_float_denorm_mode_32 3
		.amdhsa_float_denorm_mode_16_64 3
		.amdhsa_dx10_clamp 1
		.amdhsa_ieee_mode 1
		.amdhsa_fp16_overflow 0
		.amdhsa_workgroup_processor_mode 1
		.amdhsa_memory_ordered 1
		.amdhsa_forward_progress 0
		.amdhsa_shared_vgpr_count 0
		.amdhsa_exception_fp_ieee_invalid_op 0
		.amdhsa_exception_fp_denorm_src 0
		.amdhsa_exception_fp_ieee_div_zero 0
		.amdhsa_exception_fp_ieee_overflow 0
		.amdhsa_exception_fp_ieee_underflow 0
		.amdhsa_exception_fp_ieee_inexact 0
		.amdhsa_exception_int_div_zero 0
	.end_amdhsa_kernel
	.section	.text._ZN7rocprim17ROCPRIM_400000_NS6detail17trampoline_kernelINS0_14default_configENS1_32segmented_reduce_config_selectorIdEEZNS1_21segmented_reduce_implIS3_PKdPdPKldN6hipcub16HIPCUB_304000_NS6detail27convert_result_type_wrapperIS8_S9_N2at6native12_GLOBAL__N_19CustomSumEEEEE10hipError_tPvRmT0_T1_jT2_SQ_T4_T3_P12ihipStream_tbEUlT_E_NS1_11comp_targetILNS1_3genE10ELNS1_11target_archE1201ELNS1_3gpuE5ELNS1_3repE0EEENS1_30default_config_static_selectorELNS0_4arch9wavefront6targetE0EEEvSP_,"axG",@progbits,_ZN7rocprim17ROCPRIM_400000_NS6detail17trampoline_kernelINS0_14default_configENS1_32segmented_reduce_config_selectorIdEEZNS1_21segmented_reduce_implIS3_PKdPdPKldN6hipcub16HIPCUB_304000_NS6detail27convert_result_type_wrapperIS8_S9_N2at6native12_GLOBAL__N_19CustomSumEEEEE10hipError_tPvRmT0_T1_jT2_SQ_T4_T3_P12ihipStream_tbEUlT_E_NS1_11comp_targetILNS1_3genE10ELNS1_11target_archE1201ELNS1_3gpuE5ELNS1_3repE0EEENS1_30default_config_static_selectorELNS0_4arch9wavefront6targetE0EEEvSP_,comdat
.Lfunc_end155:
	.size	_ZN7rocprim17ROCPRIM_400000_NS6detail17trampoline_kernelINS0_14default_configENS1_32segmented_reduce_config_selectorIdEEZNS1_21segmented_reduce_implIS3_PKdPdPKldN6hipcub16HIPCUB_304000_NS6detail27convert_result_type_wrapperIS8_S9_N2at6native12_GLOBAL__N_19CustomSumEEEEE10hipError_tPvRmT0_T1_jT2_SQ_T4_T3_P12ihipStream_tbEUlT_E_NS1_11comp_targetILNS1_3genE10ELNS1_11target_archE1201ELNS1_3gpuE5ELNS1_3repE0EEENS1_30default_config_static_selectorELNS0_4arch9wavefront6targetE0EEEvSP_, .Lfunc_end155-_ZN7rocprim17ROCPRIM_400000_NS6detail17trampoline_kernelINS0_14default_configENS1_32segmented_reduce_config_selectorIdEEZNS1_21segmented_reduce_implIS3_PKdPdPKldN6hipcub16HIPCUB_304000_NS6detail27convert_result_type_wrapperIS8_S9_N2at6native12_GLOBAL__N_19CustomSumEEEEE10hipError_tPvRmT0_T1_jT2_SQ_T4_T3_P12ihipStream_tbEUlT_E_NS1_11comp_targetILNS1_3genE10ELNS1_11target_archE1201ELNS1_3gpuE5ELNS1_3repE0EEENS1_30default_config_static_selectorELNS0_4arch9wavefront6targetE0EEEvSP_
                                        ; -- End function
	.section	.AMDGPU.csdata,"",@progbits
; Kernel info:
; codeLenInByte = 0
; NumSgprs: 0
; NumVgprs: 0
; ScratchSize: 0
; MemoryBound: 0
; FloatMode: 240
; IeeeMode: 1
; LDSByteSize: 0 bytes/workgroup (compile time only)
; SGPRBlocks: 0
; VGPRBlocks: 0
; NumSGPRsForWavesPerEU: 1
; NumVGPRsForWavesPerEU: 1
; Occupancy: 16
; WaveLimiterHint : 0
; COMPUTE_PGM_RSRC2:SCRATCH_EN: 0
; COMPUTE_PGM_RSRC2:USER_SGPR: 15
; COMPUTE_PGM_RSRC2:TRAP_HANDLER: 0
; COMPUTE_PGM_RSRC2:TGID_X_EN: 1
; COMPUTE_PGM_RSRC2:TGID_Y_EN: 0
; COMPUTE_PGM_RSRC2:TGID_Z_EN: 0
; COMPUTE_PGM_RSRC2:TIDIG_COMP_CNT: 0
	.section	.text._ZN7rocprim17ROCPRIM_400000_NS6detail17trampoline_kernelINS0_14default_configENS1_32segmented_reduce_config_selectorIdEEZNS1_21segmented_reduce_implIS3_PKdPdPKldN6hipcub16HIPCUB_304000_NS6detail27convert_result_type_wrapperIS8_S9_N2at6native12_GLOBAL__N_19CustomSumEEEEE10hipError_tPvRmT0_T1_jT2_SQ_T4_T3_P12ihipStream_tbEUlT_E_NS1_11comp_targetILNS1_3genE4ELNS1_11target_archE910ELNS1_3gpuE8ELNS1_3repE0EEENS1_30default_config_static_selectorELNS0_4arch9wavefront6targetE0EEEvSP_,"axG",@progbits,_ZN7rocprim17ROCPRIM_400000_NS6detail17trampoline_kernelINS0_14default_configENS1_32segmented_reduce_config_selectorIdEEZNS1_21segmented_reduce_implIS3_PKdPdPKldN6hipcub16HIPCUB_304000_NS6detail27convert_result_type_wrapperIS8_S9_N2at6native12_GLOBAL__N_19CustomSumEEEEE10hipError_tPvRmT0_T1_jT2_SQ_T4_T3_P12ihipStream_tbEUlT_E_NS1_11comp_targetILNS1_3genE4ELNS1_11target_archE910ELNS1_3gpuE8ELNS1_3repE0EEENS1_30default_config_static_selectorELNS0_4arch9wavefront6targetE0EEEvSP_,comdat
	.globl	_ZN7rocprim17ROCPRIM_400000_NS6detail17trampoline_kernelINS0_14default_configENS1_32segmented_reduce_config_selectorIdEEZNS1_21segmented_reduce_implIS3_PKdPdPKldN6hipcub16HIPCUB_304000_NS6detail27convert_result_type_wrapperIS8_S9_N2at6native12_GLOBAL__N_19CustomSumEEEEE10hipError_tPvRmT0_T1_jT2_SQ_T4_T3_P12ihipStream_tbEUlT_E_NS1_11comp_targetILNS1_3genE4ELNS1_11target_archE910ELNS1_3gpuE8ELNS1_3repE0EEENS1_30default_config_static_selectorELNS0_4arch9wavefront6targetE0EEEvSP_ ; -- Begin function _ZN7rocprim17ROCPRIM_400000_NS6detail17trampoline_kernelINS0_14default_configENS1_32segmented_reduce_config_selectorIdEEZNS1_21segmented_reduce_implIS3_PKdPdPKldN6hipcub16HIPCUB_304000_NS6detail27convert_result_type_wrapperIS8_S9_N2at6native12_GLOBAL__N_19CustomSumEEEEE10hipError_tPvRmT0_T1_jT2_SQ_T4_T3_P12ihipStream_tbEUlT_E_NS1_11comp_targetILNS1_3genE4ELNS1_11target_archE910ELNS1_3gpuE8ELNS1_3repE0EEENS1_30default_config_static_selectorELNS0_4arch9wavefront6targetE0EEEvSP_
	.p2align	8
	.type	_ZN7rocprim17ROCPRIM_400000_NS6detail17trampoline_kernelINS0_14default_configENS1_32segmented_reduce_config_selectorIdEEZNS1_21segmented_reduce_implIS3_PKdPdPKldN6hipcub16HIPCUB_304000_NS6detail27convert_result_type_wrapperIS8_S9_N2at6native12_GLOBAL__N_19CustomSumEEEEE10hipError_tPvRmT0_T1_jT2_SQ_T4_T3_P12ihipStream_tbEUlT_E_NS1_11comp_targetILNS1_3genE4ELNS1_11target_archE910ELNS1_3gpuE8ELNS1_3repE0EEENS1_30default_config_static_selectorELNS0_4arch9wavefront6targetE0EEEvSP_,@function
_ZN7rocprim17ROCPRIM_400000_NS6detail17trampoline_kernelINS0_14default_configENS1_32segmented_reduce_config_selectorIdEEZNS1_21segmented_reduce_implIS3_PKdPdPKldN6hipcub16HIPCUB_304000_NS6detail27convert_result_type_wrapperIS8_S9_N2at6native12_GLOBAL__N_19CustomSumEEEEE10hipError_tPvRmT0_T1_jT2_SQ_T4_T3_P12ihipStream_tbEUlT_E_NS1_11comp_targetILNS1_3genE4ELNS1_11target_archE910ELNS1_3gpuE8ELNS1_3repE0EEENS1_30default_config_static_selectorELNS0_4arch9wavefront6targetE0EEEvSP_: ; @_ZN7rocprim17ROCPRIM_400000_NS6detail17trampoline_kernelINS0_14default_configENS1_32segmented_reduce_config_selectorIdEEZNS1_21segmented_reduce_implIS3_PKdPdPKldN6hipcub16HIPCUB_304000_NS6detail27convert_result_type_wrapperIS8_S9_N2at6native12_GLOBAL__N_19CustomSumEEEEE10hipError_tPvRmT0_T1_jT2_SQ_T4_T3_P12ihipStream_tbEUlT_E_NS1_11comp_targetILNS1_3genE4ELNS1_11target_archE910ELNS1_3gpuE8ELNS1_3repE0EEENS1_30default_config_static_selectorELNS0_4arch9wavefront6targetE0EEEvSP_
; %bb.0:
	.section	.rodata,"a",@progbits
	.p2align	6, 0x0
	.amdhsa_kernel _ZN7rocprim17ROCPRIM_400000_NS6detail17trampoline_kernelINS0_14default_configENS1_32segmented_reduce_config_selectorIdEEZNS1_21segmented_reduce_implIS3_PKdPdPKldN6hipcub16HIPCUB_304000_NS6detail27convert_result_type_wrapperIS8_S9_N2at6native12_GLOBAL__N_19CustomSumEEEEE10hipError_tPvRmT0_T1_jT2_SQ_T4_T3_P12ihipStream_tbEUlT_E_NS1_11comp_targetILNS1_3genE4ELNS1_11target_archE910ELNS1_3gpuE8ELNS1_3repE0EEENS1_30default_config_static_selectorELNS0_4arch9wavefront6targetE0EEEvSP_
		.amdhsa_group_segment_fixed_size 0
		.amdhsa_private_segment_fixed_size 0
		.amdhsa_kernarg_size 56
		.amdhsa_user_sgpr_count 15
		.amdhsa_user_sgpr_dispatch_ptr 0
		.amdhsa_user_sgpr_queue_ptr 0
		.amdhsa_user_sgpr_kernarg_segment_ptr 1
		.amdhsa_user_sgpr_dispatch_id 0
		.amdhsa_user_sgpr_private_segment_size 0
		.amdhsa_wavefront_size32 1
		.amdhsa_uses_dynamic_stack 0
		.amdhsa_enable_private_segment 0
		.amdhsa_system_sgpr_workgroup_id_x 1
		.amdhsa_system_sgpr_workgroup_id_y 0
		.amdhsa_system_sgpr_workgroup_id_z 0
		.amdhsa_system_sgpr_workgroup_info 0
		.amdhsa_system_vgpr_workitem_id 0
		.amdhsa_next_free_vgpr 1
		.amdhsa_next_free_sgpr 1
		.amdhsa_reserve_vcc 0
		.amdhsa_float_round_mode_32 0
		.amdhsa_float_round_mode_16_64 0
		.amdhsa_float_denorm_mode_32 3
		.amdhsa_float_denorm_mode_16_64 3
		.amdhsa_dx10_clamp 1
		.amdhsa_ieee_mode 1
		.amdhsa_fp16_overflow 0
		.amdhsa_workgroup_processor_mode 1
		.amdhsa_memory_ordered 1
		.amdhsa_forward_progress 0
		.amdhsa_shared_vgpr_count 0
		.amdhsa_exception_fp_ieee_invalid_op 0
		.amdhsa_exception_fp_denorm_src 0
		.amdhsa_exception_fp_ieee_div_zero 0
		.amdhsa_exception_fp_ieee_overflow 0
		.amdhsa_exception_fp_ieee_underflow 0
		.amdhsa_exception_fp_ieee_inexact 0
		.amdhsa_exception_int_div_zero 0
	.end_amdhsa_kernel
	.section	.text._ZN7rocprim17ROCPRIM_400000_NS6detail17trampoline_kernelINS0_14default_configENS1_32segmented_reduce_config_selectorIdEEZNS1_21segmented_reduce_implIS3_PKdPdPKldN6hipcub16HIPCUB_304000_NS6detail27convert_result_type_wrapperIS8_S9_N2at6native12_GLOBAL__N_19CustomSumEEEEE10hipError_tPvRmT0_T1_jT2_SQ_T4_T3_P12ihipStream_tbEUlT_E_NS1_11comp_targetILNS1_3genE4ELNS1_11target_archE910ELNS1_3gpuE8ELNS1_3repE0EEENS1_30default_config_static_selectorELNS0_4arch9wavefront6targetE0EEEvSP_,"axG",@progbits,_ZN7rocprim17ROCPRIM_400000_NS6detail17trampoline_kernelINS0_14default_configENS1_32segmented_reduce_config_selectorIdEEZNS1_21segmented_reduce_implIS3_PKdPdPKldN6hipcub16HIPCUB_304000_NS6detail27convert_result_type_wrapperIS8_S9_N2at6native12_GLOBAL__N_19CustomSumEEEEE10hipError_tPvRmT0_T1_jT2_SQ_T4_T3_P12ihipStream_tbEUlT_E_NS1_11comp_targetILNS1_3genE4ELNS1_11target_archE910ELNS1_3gpuE8ELNS1_3repE0EEENS1_30default_config_static_selectorELNS0_4arch9wavefront6targetE0EEEvSP_,comdat
.Lfunc_end156:
	.size	_ZN7rocprim17ROCPRIM_400000_NS6detail17trampoline_kernelINS0_14default_configENS1_32segmented_reduce_config_selectorIdEEZNS1_21segmented_reduce_implIS3_PKdPdPKldN6hipcub16HIPCUB_304000_NS6detail27convert_result_type_wrapperIS8_S9_N2at6native12_GLOBAL__N_19CustomSumEEEEE10hipError_tPvRmT0_T1_jT2_SQ_T4_T3_P12ihipStream_tbEUlT_E_NS1_11comp_targetILNS1_3genE4ELNS1_11target_archE910ELNS1_3gpuE8ELNS1_3repE0EEENS1_30default_config_static_selectorELNS0_4arch9wavefront6targetE0EEEvSP_, .Lfunc_end156-_ZN7rocprim17ROCPRIM_400000_NS6detail17trampoline_kernelINS0_14default_configENS1_32segmented_reduce_config_selectorIdEEZNS1_21segmented_reduce_implIS3_PKdPdPKldN6hipcub16HIPCUB_304000_NS6detail27convert_result_type_wrapperIS8_S9_N2at6native12_GLOBAL__N_19CustomSumEEEEE10hipError_tPvRmT0_T1_jT2_SQ_T4_T3_P12ihipStream_tbEUlT_E_NS1_11comp_targetILNS1_3genE4ELNS1_11target_archE910ELNS1_3gpuE8ELNS1_3repE0EEENS1_30default_config_static_selectorELNS0_4arch9wavefront6targetE0EEEvSP_
                                        ; -- End function
	.section	.AMDGPU.csdata,"",@progbits
; Kernel info:
; codeLenInByte = 0
; NumSgprs: 0
; NumVgprs: 0
; ScratchSize: 0
; MemoryBound: 0
; FloatMode: 240
; IeeeMode: 1
; LDSByteSize: 0 bytes/workgroup (compile time only)
; SGPRBlocks: 0
; VGPRBlocks: 0
; NumSGPRsForWavesPerEU: 1
; NumVGPRsForWavesPerEU: 1
; Occupancy: 16
; WaveLimiterHint : 0
; COMPUTE_PGM_RSRC2:SCRATCH_EN: 0
; COMPUTE_PGM_RSRC2:USER_SGPR: 15
; COMPUTE_PGM_RSRC2:TRAP_HANDLER: 0
; COMPUTE_PGM_RSRC2:TGID_X_EN: 1
; COMPUTE_PGM_RSRC2:TGID_Y_EN: 0
; COMPUTE_PGM_RSRC2:TGID_Z_EN: 0
; COMPUTE_PGM_RSRC2:TIDIG_COMP_CNT: 0
	.section	.text._ZN7rocprim17ROCPRIM_400000_NS6detail17trampoline_kernelINS0_14default_configENS1_32segmented_reduce_config_selectorIdEEZNS1_21segmented_reduce_implIS3_PKdPdPKldN6hipcub16HIPCUB_304000_NS6detail27convert_result_type_wrapperIS8_S9_N2at6native12_GLOBAL__N_19CustomSumEEEEE10hipError_tPvRmT0_T1_jT2_SQ_T4_T3_P12ihipStream_tbEUlT_E_NS1_11comp_targetILNS1_3genE3ELNS1_11target_archE908ELNS1_3gpuE7ELNS1_3repE0EEENS1_30default_config_static_selectorELNS0_4arch9wavefront6targetE0EEEvSP_,"axG",@progbits,_ZN7rocprim17ROCPRIM_400000_NS6detail17trampoline_kernelINS0_14default_configENS1_32segmented_reduce_config_selectorIdEEZNS1_21segmented_reduce_implIS3_PKdPdPKldN6hipcub16HIPCUB_304000_NS6detail27convert_result_type_wrapperIS8_S9_N2at6native12_GLOBAL__N_19CustomSumEEEEE10hipError_tPvRmT0_T1_jT2_SQ_T4_T3_P12ihipStream_tbEUlT_E_NS1_11comp_targetILNS1_3genE3ELNS1_11target_archE908ELNS1_3gpuE7ELNS1_3repE0EEENS1_30default_config_static_selectorELNS0_4arch9wavefront6targetE0EEEvSP_,comdat
	.globl	_ZN7rocprim17ROCPRIM_400000_NS6detail17trampoline_kernelINS0_14default_configENS1_32segmented_reduce_config_selectorIdEEZNS1_21segmented_reduce_implIS3_PKdPdPKldN6hipcub16HIPCUB_304000_NS6detail27convert_result_type_wrapperIS8_S9_N2at6native12_GLOBAL__N_19CustomSumEEEEE10hipError_tPvRmT0_T1_jT2_SQ_T4_T3_P12ihipStream_tbEUlT_E_NS1_11comp_targetILNS1_3genE3ELNS1_11target_archE908ELNS1_3gpuE7ELNS1_3repE0EEENS1_30default_config_static_selectorELNS0_4arch9wavefront6targetE0EEEvSP_ ; -- Begin function _ZN7rocprim17ROCPRIM_400000_NS6detail17trampoline_kernelINS0_14default_configENS1_32segmented_reduce_config_selectorIdEEZNS1_21segmented_reduce_implIS3_PKdPdPKldN6hipcub16HIPCUB_304000_NS6detail27convert_result_type_wrapperIS8_S9_N2at6native12_GLOBAL__N_19CustomSumEEEEE10hipError_tPvRmT0_T1_jT2_SQ_T4_T3_P12ihipStream_tbEUlT_E_NS1_11comp_targetILNS1_3genE3ELNS1_11target_archE908ELNS1_3gpuE7ELNS1_3repE0EEENS1_30default_config_static_selectorELNS0_4arch9wavefront6targetE0EEEvSP_
	.p2align	8
	.type	_ZN7rocprim17ROCPRIM_400000_NS6detail17trampoline_kernelINS0_14default_configENS1_32segmented_reduce_config_selectorIdEEZNS1_21segmented_reduce_implIS3_PKdPdPKldN6hipcub16HIPCUB_304000_NS6detail27convert_result_type_wrapperIS8_S9_N2at6native12_GLOBAL__N_19CustomSumEEEEE10hipError_tPvRmT0_T1_jT2_SQ_T4_T3_P12ihipStream_tbEUlT_E_NS1_11comp_targetILNS1_3genE3ELNS1_11target_archE908ELNS1_3gpuE7ELNS1_3repE0EEENS1_30default_config_static_selectorELNS0_4arch9wavefront6targetE0EEEvSP_,@function
_ZN7rocprim17ROCPRIM_400000_NS6detail17trampoline_kernelINS0_14default_configENS1_32segmented_reduce_config_selectorIdEEZNS1_21segmented_reduce_implIS3_PKdPdPKldN6hipcub16HIPCUB_304000_NS6detail27convert_result_type_wrapperIS8_S9_N2at6native12_GLOBAL__N_19CustomSumEEEEE10hipError_tPvRmT0_T1_jT2_SQ_T4_T3_P12ihipStream_tbEUlT_E_NS1_11comp_targetILNS1_3genE3ELNS1_11target_archE908ELNS1_3gpuE7ELNS1_3repE0EEENS1_30default_config_static_selectorELNS0_4arch9wavefront6targetE0EEEvSP_: ; @_ZN7rocprim17ROCPRIM_400000_NS6detail17trampoline_kernelINS0_14default_configENS1_32segmented_reduce_config_selectorIdEEZNS1_21segmented_reduce_implIS3_PKdPdPKldN6hipcub16HIPCUB_304000_NS6detail27convert_result_type_wrapperIS8_S9_N2at6native12_GLOBAL__N_19CustomSumEEEEE10hipError_tPvRmT0_T1_jT2_SQ_T4_T3_P12ihipStream_tbEUlT_E_NS1_11comp_targetILNS1_3genE3ELNS1_11target_archE908ELNS1_3gpuE7ELNS1_3repE0EEENS1_30default_config_static_selectorELNS0_4arch9wavefront6targetE0EEEvSP_
; %bb.0:
	.section	.rodata,"a",@progbits
	.p2align	6, 0x0
	.amdhsa_kernel _ZN7rocprim17ROCPRIM_400000_NS6detail17trampoline_kernelINS0_14default_configENS1_32segmented_reduce_config_selectorIdEEZNS1_21segmented_reduce_implIS3_PKdPdPKldN6hipcub16HIPCUB_304000_NS6detail27convert_result_type_wrapperIS8_S9_N2at6native12_GLOBAL__N_19CustomSumEEEEE10hipError_tPvRmT0_T1_jT2_SQ_T4_T3_P12ihipStream_tbEUlT_E_NS1_11comp_targetILNS1_3genE3ELNS1_11target_archE908ELNS1_3gpuE7ELNS1_3repE0EEENS1_30default_config_static_selectorELNS0_4arch9wavefront6targetE0EEEvSP_
		.amdhsa_group_segment_fixed_size 0
		.amdhsa_private_segment_fixed_size 0
		.amdhsa_kernarg_size 56
		.amdhsa_user_sgpr_count 15
		.amdhsa_user_sgpr_dispatch_ptr 0
		.amdhsa_user_sgpr_queue_ptr 0
		.amdhsa_user_sgpr_kernarg_segment_ptr 1
		.amdhsa_user_sgpr_dispatch_id 0
		.amdhsa_user_sgpr_private_segment_size 0
		.amdhsa_wavefront_size32 1
		.amdhsa_uses_dynamic_stack 0
		.amdhsa_enable_private_segment 0
		.amdhsa_system_sgpr_workgroup_id_x 1
		.amdhsa_system_sgpr_workgroup_id_y 0
		.amdhsa_system_sgpr_workgroup_id_z 0
		.amdhsa_system_sgpr_workgroup_info 0
		.amdhsa_system_vgpr_workitem_id 0
		.amdhsa_next_free_vgpr 1
		.amdhsa_next_free_sgpr 1
		.amdhsa_reserve_vcc 0
		.amdhsa_float_round_mode_32 0
		.amdhsa_float_round_mode_16_64 0
		.amdhsa_float_denorm_mode_32 3
		.amdhsa_float_denorm_mode_16_64 3
		.amdhsa_dx10_clamp 1
		.amdhsa_ieee_mode 1
		.amdhsa_fp16_overflow 0
		.amdhsa_workgroup_processor_mode 1
		.amdhsa_memory_ordered 1
		.amdhsa_forward_progress 0
		.amdhsa_shared_vgpr_count 0
		.amdhsa_exception_fp_ieee_invalid_op 0
		.amdhsa_exception_fp_denorm_src 0
		.amdhsa_exception_fp_ieee_div_zero 0
		.amdhsa_exception_fp_ieee_overflow 0
		.amdhsa_exception_fp_ieee_underflow 0
		.amdhsa_exception_fp_ieee_inexact 0
		.amdhsa_exception_int_div_zero 0
	.end_amdhsa_kernel
	.section	.text._ZN7rocprim17ROCPRIM_400000_NS6detail17trampoline_kernelINS0_14default_configENS1_32segmented_reduce_config_selectorIdEEZNS1_21segmented_reduce_implIS3_PKdPdPKldN6hipcub16HIPCUB_304000_NS6detail27convert_result_type_wrapperIS8_S9_N2at6native12_GLOBAL__N_19CustomSumEEEEE10hipError_tPvRmT0_T1_jT2_SQ_T4_T3_P12ihipStream_tbEUlT_E_NS1_11comp_targetILNS1_3genE3ELNS1_11target_archE908ELNS1_3gpuE7ELNS1_3repE0EEENS1_30default_config_static_selectorELNS0_4arch9wavefront6targetE0EEEvSP_,"axG",@progbits,_ZN7rocprim17ROCPRIM_400000_NS6detail17trampoline_kernelINS0_14default_configENS1_32segmented_reduce_config_selectorIdEEZNS1_21segmented_reduce_implIS3_PKdPdPKldN6hipcub16HIPCUB_304000_NS6detail27convert_result_type_wrapperIS8_S9_N2at6native12_GLOBAL__N_19CustomSumEEEEE10hipError_tPvRmT0_T1_jT2_SQ_T4_T3_P12ihipStream_tbEUlT_E_NS1_11comp_targetILNS1_3genE3ELNS1_11target_archE908ELNS1_3gpuE7ELNS1_3repE0EEENS1_30default_config_static_selectorELNS0_4arch9wavefront6targetE0EEEvSP_,comdat
.Lfunc_end157:
	.size	_ZN7rocprim17ROCPRIM_400000_NS6detail17trampoline_kernelINS0_14default_configENS1_32segmented_reduce_config_selectorIdEEZNS1_21segmented_reduce_implIS3_PKdPdPKldN6hipcub16HIPCUB_304000_NS6detail27convert_result_type_wrapperIS8_S9_N2at6native12_GLOBAL__N_19CustomSumEEEEE10hipError_tPvRmT0_T1_jT2_SQ_T4_T3_P12ihipStream_tbEUlT_E_NS1_11comp_targetILNS1_3genE3ELNS1_11target_archE908ELNS1_3gpuE7ELNS1_3repE0EEENS1_30default_config_static_selectorELNS0_4arch9wavefront6targetE0EEEvSP_, .Lfunc_end157-_ZN7rocprim17ROCPRIM_400000_NS6detail17trampoline_kernelINS0_14default_configENS1_32segmented_reduce_config_selectorIdEEZNS1_21segmented_reduce_implIS3_PKdPdPKldN6hipcub16HIPCUB_304000_NS6detail27convert_result_type_wrapperIS8_S9_N2at6native12_GLOBAL__N_19CustomSumEEEEE10hipError_tPvRmT0_T1_jT2_SQ_T4_T3_P12ihipStream_tbEUlT_E_NS1_11comp_targetILNS1_3genE3ELNS1_11target_archE908ELNS1_3gpuE7ELNS1_3repE0EEENS1_30default_config_static_selectorELNS0_4arch9wavefront6targetE0EEEvSP_
                                        ; -- End function
	.section	.AMDGPU.csdata,"",@progbits
; Kernel info:
; codeLenInByte = 0
; NumSgprs: 0
; NumVgprs: 0
; ScratchSize: 0
; MemoryBound: 0
; FloatMode: 240
; IeeeMode: 1
; LDSByteSize: 0 bytes/workgroup (compile time only)
; SGPRBlocks: 0
; VGPRBlocks: 0
; NumSGPRsForWavesPerEU: 1
; NumVGPRsForWavesPerEU: 1
; Occupancy: 16
; WaveLimiterHint : 0
; COMPUTE_PGM_RSRC2:SCRATCH_EN: 0
; COMPUTE_PGM_RSRC2:USER_SGPR: 15
; COMPUTE_PGM_RSRC2:TRAP_HANDLER: 0
; COMPUTE_PGM_RSRC2:TGID_X_EN: 1
; COMPUTE_PGM_RSRC2:TGID_Y_EN: 0
; COMPUTE_PGM_RSRC2:TGID_Z_EN: 0
; COMPUTE_PGM_RSRC2:TIDIG_COMP_CNT: 0
	.section	.text._ZN7rocprim17ROCPRIM_400000_NS6detail17trampoline_kernelINS0_14default_configENS1_32segmented_reduce_config_selectorIdEEZNS1_21segmented_reduce_implIS3_PKdPdPKldN6hipcub16HIPCUB_304000_NS6detail27convert_result_type_wrapperIS8_S9_N2at6native12_GLOBAL__N_19CustomSumEEEEE10hipError_tPvRmT0_T1_jT2_SQ_T4_T3_P12ihipStream_tbEUlT_E_NS1_11comp_targetILNS1_3genE2ELNS1_11target_archE906ELNS1_3gpuE6ELNS1_3repE0EEENS1_30default_config_static_selectorELNS0_4arch9wavefront6targetE0EEEvSP_,"axG",@progbits,_ZN7rocprim17ROCPRIM_400000_NS6detail17trampoline_kernelINS0_14default_configENS1_32segmented_reduce_config_selectorIdEEZNS1_21segmented_reduce_implIS3_PKdPdPKldN6hipcub16HIPCUB_304000_NS6detail27convert_result_type_wrapperIS8_S9_N2at6native12_GLOBAL__N_19CustomSumEEEEE10hipError_tPvRmT0_T1_jT2_SQ_T4_T3_P12ihipStream_tbEUlT_E_NS1_11comp_targetILNS1_3genE2ELNS1_11target_archE906ELNS1_3gpuE6ELNS1_3repE0EEENS1_30default_config_static_selectorELNS0_4arch9wavefront6targetE0EEEvSP_,comdat
	.globl	_ZN7rocprim17ROCPRIM_400000_NS6detail17trampoline_kernelINS0_14default_configENS1_32segmented_reduce_config_selectorIdEEZNS1_21segmented_reduce_implIS3_PKdPdPKldN6hipcub16HIPCUB_304000_NS6detail27convert_result_type_wrapperIS8_S9_N2at6native12_GLOBAL__N_19CustomSumEEEEE10hipError_tPvRmT0_T1_jT2_SQ_T4_T3_P12ihipStream_tbEUlT_E_NS1_11comp_targetILNS1_3genE2ELNS1_11target_archE906ELNS1_3gpuE6ELNS1_3repE0EEENS1_30default_config_static_selectorELNS0_4arch9wavefront6targetE0EEEvSP_ ; -- Begin function _ZN7rocprim17ROCPRIM_400000_NS6detail17trampoline_kernelINS0_14default_configENS1_32segmented_reduce_config_selectorIdEEZNS1_21segmented_reduce_implIS3_PKdPdPKldN6hipcub16HIPCUB_304000_NS6detail27convert_result_type_wrapperIS8_S9_N2at6native12_GLOBAL__N_19CustomSumEEEEE10hipError_tPvRmT0_T1_jT2_SQ_T4_T3_P12ihipStream_tbEUlT_E_NS1_11comp_targetILNS1_3genE2ELNS1_11target_archE906ELNS1_3gpuE6ELNS1_3repE0EEENS1_30default_config_static_selectorELNS0_4arch9wavefront6targetE0EEEvSP_
	.p2align	8
	.type	_ZN7rocprim17ROCPRIM_400000_NS6detail17trampoline_kernelINS0_14default_configENS1_32segmented_reduce_config_selectorIdEEZNS1_21segmented_reduce_implIS3_PKdPdPKldN6hipcub16HIPCUB_304000_NS6detail27convert_result_type_wrapperIS8_S9_N2at6native12_GLOBAL__N_19CustomSumEEEEE10hipError_tPvRmT0_T1_jT2_SQ_T4_T3_P12ihipStream_tbEUlT_E_NS1_11comp_targetILNS1_3genE2ELNS1_11target_archE906ELNS1_3gpuE6ELNS1_3repE0EEENS1_30default_config_static_selectorELNS0_4arch9wavefront6targetE0EEEvSP_,@function
_ZN7rocprim17ROCPRIM_400000_NS6detail17trampoline_kernelINS0_14default_configENS1_32segmented_reduce_config_selectorIdEEZNS1_21segmented_reduce_implIS3_PKdPdPKldN6hipcub16HIPCUB_304000_NS6detail27convert_result_type_wrapperIS8_S9_N2at6native12_GLOBAL__N_19CustomSumEEEEE10hipError_tPvRmT0_T1_jT2_SQ_T4_T3_P12ihipStream_tbEUlT_E_NS1_11comp_targetILNS1_3genE2ELNS1_11target_archE906ELNS1_3gpuE6ELNS1_3repE0EEENS1_30default_config_static_selectorELNS0_4arch9wavefront6targetE0EEEvSP_: ; @_ZN7rocprim17ROCPRIM_400000_NS6detail17trampoline_kernelINS0_14default_configENS1_32segmented_reduce_config_selectorIdEEZNS1_21segmented_reduce_implIS3_PKdPdPKldN6hipcub16HIPCUB_304000_NS6detail27convert_result_type_wrapperIS8_S9_N2at6native12_GLOBAL__N_19CustomSumEEEEE10hipError_tPvRmT0_T1_jT2_SQ_T4_T3_P12ihipStream_tbEUlT_E_NS1_11comp_targetILNS1_3genE2ELNS1_11target_archE906ELNS1_3gpuE6ELNS1_3repE0EEENS1_30default_config_static_selectorELNS0_4arch9wavefront6targetE0EEEvSP_
; %bb.0:
	.section	.rodata,"a",@progbits
	.p2align	6, 0x0
	.amdhsa_kernel _ZN7rocprim17ROCPRIM_400000_NS6detail17trampoline_kernelINS0_14default_configENS1_32segmented_reduce_config_selectorIdEEZNS1_21segmented_reduce_implIS3_PKdPdPKldN6hipcub16HIPCUB_304000_NS6detail27convert_result_type_wrapperIS8_S9_N2at6native12_GLOBAL__N_19CustomSumEEEEE10hipError_tPvRmT0_T1_jT2_SQ_T4_T3_P12ihipStream_tbEUlT_E_NS1_11comp_targetILNS1_3genE2ELNS1_11target_archE906ELNS1_3gpuE6ELNS1_3repE0EEENS1_30default_config_static_selectorELNS0_4arch9wavefront6targetE0EEEvSP_
		.amdhsa_group_segment_fixed_size 0
		.amdhsa_private_segment_fixed_size 0
		.amdhsa_kernarg_size 56
		.amdhsa_user_sgpr_count 15
		.amdhsa_user_sgpr_dispatch_ptr 0
		.amdhsa_user_sgpr_queue_ptr 0
		.amdhsa_user_sgpr_kernarg_segment_ptr 1
		.amdhsa_user_sgpr_dispatch_id 0
		.amdhsa_user_sgpr_private_segment_size 0
		.amdhsa_wavefront_size32 1
		.amdhsa_uses_dynamic_stack 0
		.amdhsa_enable_private_segment 0
		.amdhsa_system_sgpr_workgroup_id_x 1
		.amdhsa_system_sgpr_workgroup_id_y 0
		.amdhsa_system_sgpr_workgroup_id_z 0
		.amdhsa_system_sgpr_workgroup_info 0
		.amdhsa_system_vgpr_workitem_id 0
		.amdhsa_next_free_vgpr 1
		.amdhsa_next_free_sgpr 1
		.amdhsa_reserve_vcc 0
		.amdhsa_float_round_mode_32 0
		.amdhsa_float_round_mode_16_64 0
		.amdhsa_float_denorm_mode_32 3
		.amdhsa_float_denorm_mode_16_64 3
		.amdhsa_dx10_clamp 1
		.amdhsa_ieee_mode 1
		.amdhsa_fp16_overflow 0
		.amdhsa_workgroup_processor_mode 1
		.amdhsa_memory_ordered 1
		.amdhsa_forward_progress 0
		.amdhsa_shared_vgpr_count 0
		.amdhsa_exception_fp_ieee_invalid_op 0
		.amdhsa_exception_fp_denorm_src 0
		.amdhsa_exception_fp_ieee_div_zero 0
		.amdhsa_exception_fp_ieee_overflow 0
		.amdhsa_exception_fp_ieee_underflow 0
		.amdhsa_exception_fp_ieee_inexact 0
		.amdhsa_exception_int_div_zero 0
	.end_amdhsa_kernel
	.section	.text._ZN7rocprim17ROCPRIM_400000_NS6detail17trampoline_kernelINS0_14default_configENS1_32segmented_reduce_config_selectorIdEEZNS1_21segmented_reduce_implIS3_PKdPdPKldN6hipcub16HIPCUB_304000_NS6detail27convert_result_type_wrapperIS8_S9_N2at6native12_GLOBAL__N_19CustomSumEEEEE10hipError_tPvRmT0_T1_jT2_SQ_T4_T3_P12ihipStream_tbEUlT_E_NS1_11comp_targetILNS1_3genE2ELNS1_11target_archE906ELNS1_3gpuE6ELNS1_3repE0EEENS1_30default_config_static_selectorELNS0_4arch9wavefront6targetE0EEEvSP_,"axG",@progbits,_ZN7rocprim17ROCPRIM_400000_NS6detail17trampoline_kernelINS0_14default_configENS1_32segmented_reduce_config_selectorIdEEZNS1_21segmented_reduce_implIS3_PKdPdPKldN6hipcub16HIPCUB_304000_NS6detail27convert_result_type_wrapperIS8_S9_N2at6native12_GLOBAL__N_19CustomSumEEEEE10hipError_tPvRmT0_T1_jT2_SQ_T4_T3_P12ihipStream_tbEUlT_E_NS1_11comp_targetILNS1_3genE2ELNS1_11target_archE906ELNS1_3gpuE6ELNS1_3repE0EEENS1_30default_config_static_selectorELNS0_4arch9wavefront6targetE0EEEvSP_,comdat
.Lfunc_end158:
	.size	_ZN7rocprim17ROCPRIM_400000_NS6detail17trampoline_kernelINS0_14default_configENS1_32segmented_reduce_config_selectorIdEEZNS1_21segmented_reduce_implIS3_PKdPdPKldN6hipcub16HIPCUB_304000_NS6detail27convert_result_type_wrapperIS8_S9_N2at6native12_GLOBAL__N_19CustomSumEEEEE10hipError_tPvRmT0_T1_jT2_SQ_T4_T3_P12ihipStream_tbEUlT_E_NS1_11comp_targetILNS1_3genE2ELNS1_11target_archE906ELNS1_3gpuE6ELNS1_3repE0EEENS1_30default_config_static_selectorELNS0_4arch9wavefront6targetE0EEEvSP_, .Lfunc_end158-_ZN7rocprim17ROCPRIM_400000_NS6detail17trampoline_kernelINS0_14default_configENS1_32segmented_reduce_config_selectorIdEEZNS1_21segmented_reduce_implIS3_PKdPdPKldN6hipcub16HIPCUB_304000_NS6detail27convert_result_type_wrapperIS8_S9_N2at6native12_GLOBAL__N_19CustomSumEEEEE10hipError_tPvRmT0_T1_jT2_SQ_T4_T3_P12ihipStream_tbEUlT_E_NS1_11comp_targetILNS1_3genE2ELNS1_11target_archE906ELNS1_3gpuE6ELNS1_3repE0EEENS1_30default_config_static_selectorELNS0_4arch9wavefront6targetE0EEEvSP_
                                        ; -- End function
	.section	.AMDGPU.csdata,"",@progbits
; Kernel info:
; codeLenInByte = 0
; NumSgprs: 0
; NumVgprs: 0
; ScratchSize: 0
; MemoryBound: 0
; FloatMode: 240
; IeeeMode: 1
; LDSByteSize: 0 bytes/workgroup (compile time only)
; SGPRBlocks: 0
; VGPRBlocks: 0
; NumSGPRsForWavesPerEU: 1
; NumVGPRsForWavesPerEU: 1
; Occupancy: 16
; WaveLimiterHint : 0
; COMPUTE_PGM_RSRC2:SCRATCH_EN: 0
; COMPUTE_PGM_RSRC2:USER_SGPR: 15
; COMPUTE_PGM_RSRC2:TRAP_HANDLER: 0
; COMPUTE_PGM_RSRC2:TGID_X_EN: 1
; COMPUTE_PGM_RSRC2:TGID_Y_EN: 0
; COMPUTE_PGM_RSRC2:TGID_Z_EN: 0
; COMPUTE_PGM_RSRC2:TIDIG_COMP_CNT: 0
	.section	.text._ZN7rocprim17ROCPRIM_400000_NS6detail17trampoline_kernelINS0_14default_configENS1_32segmented_reduce_config_selectorIdEEZNS1_21segmented_reduce_implIS3_PKdPdPKldN6hipcub16HIPCUB_304000_NS6detail27convert_result_type_wrapperIS8_S9_N2at6native12_GLOBAL__N_19CustomSumEEEEE10hipError_tPvRmT0_T1_jT2_SQ_T4_T3_P12ihipStream_tbEUlT_E_NS1_11comp_targetILNS1_3genE9ELNS1_11target_archE1100ELNS1_3gpuE3ELNS1_3repE0EEENS1_30default_config_static_selectorELNS0_4arch9wavefront6targetE0EEEvSP_,"axG",@progbits,_ZN7rocprim17ROCPRIM_400000_NS6detail17trampoline_kernelINS0_14default_configENS1_32segmented_reduce_config_selectorIdEEZNS1_21segmented_reduce_implIS3_PKdPdPKldN6hipcub16HIPCUB_304000_NS6detail27convert_result_type_wrapperIS8_S9_N2at6native12_GLOBAL__N_19CustomSumEEEEE10hipError_tPvRmT0_T1_jT2_SQ_T4_T3_P12ihipStream_tbEUlT_E_NS1_11comp_targetILNS1_3genE9ELNS1_11target_archE1100ELNS1_3gpuE3ELNS1_3repE0EEENS1_30default_config_static_selectorELNS0_4arch9wavefront6targetE0EEEvSP_,comdat
	.globl	_ZN7rocprim17ROCPRIM_400000_NS6detail17trampoline_kernelINS0_14default_configENS1_32segmented_reduce_config_selectorIdEEZNS1_21segmented_reduce_implIS3_PKdPdPKldN6hipcub16HIPCUB_304000_NS6detail27convert_result_type_wrapperIS8_S9_N2at6native12_GLOBAL__N_19CustomSumEEEEE10hipError_tPvRmT0_T1_jT2_SQ_T4_T3_P12ihipStream_tbEUlT_E_NS1_11comp_targetILNS1_3genE9ELNS1_11target_archE1100ELNS1_3gpuE3ELNS1_3repE0EEENS1_30default_config_static_selectorELNS0_4arch9wavefront6targetE0EEEvSP_ ; -- Begin function _ZN7rocprim17ROCPRIM_400000_NS6detail17trampoline_kernelINS0_14default_configENS1_32segmented_reduce_config_selectorIdEEZNS1_21segmented_reduce_implIS3_PKdPdPKldN6hipcub16HIPCUB_304000_NS6detail27convert_result_type_wrapperIS8_S9_N2at6native12_GLOBAL__N_19CustomSumEEEEE10hipError_tPvRmT0_T1_jT2_SQ_T4_T3_P12ihipStream_tbEUlT_E_NS1_11comp_targetILNS1_3genE9ELNS1_11target_archE1100ELNS1_3gpuE3ELNS1_3repE0EEENS1_30default_config_static_selectorELNS0_4arch9wavefront6targetE0EEEvSP_
	.p2align	8
	.type	_ZN7rocprim17ROCPRIM_400000_NS6detail17trampoline_kernelINS0_14default_configENS1_32segmented_reduce_config_selectorIdEEZNS1_21segmented_reduce_implIS3_PKdPdPKldN6hipcub16HIPCUB_304000_NS6detail27convert_result_type_wrapperIS8_S9_N2at6native12_GLOBAL__N_19CustomSumEEEEE10hipError_tPvRmT0_T1_jT2_SQ_T4_T3_P12ihipStream_tbEUlT_E_NS1_11comp_targetILNS1_3genE9ELNS1_11target_archE1100ELNS1_3gpuE3ELNS1_3repE0EEENS1_30default_config_static_selectorELNS0_4arch9wavefront6targetE0EEEvSP_,@function
_ZN7rocprim17ROCPRIM_400000_NS6detail17trampoline_kernelINS0_14default_configENS1_32segmented_reduce_config_selectorIdEEZNS1_21segmented_reduce_implIS3_PKdPdPKldN6hipcub16HIPCUB_304000_NS6detail27convert_result_type_wrapperIS8_S9_N2at6native12_GLOBAL__N_19CustomSumEEEEE10hipError_tPvRmT0_T1_jT2_SQ_T4_T3_P12ihipStream_tbEUlT_E_NS1_11comp_targetILNS1_3genE9ELNS1_11target_archE1100ELNS1_3gpuE3ELNS1_3repE0EEENS1_30default_config_static_selectorELNS0_4arch9wavefront6targetE0EEEvSP_: ; @_ZN7rocprim17ROCPRIM_400000_NS6detail17trampoline_kernelINS0_14default_configENS1_32segmented_reduce_config_selectorIdEEZNS1_21segmented_reduce_implIS3_PKdPdPKldN6hipcub16HIPCUB_304000_NS6detail27convert_result_type_wrapperIS8_S9_N2at6native12_GLOBAL__N_19CustomSumEEEEE10hipError_tPvRmT0_T1_jT2_SQ_T4_T3_P12ihipStream_tbEUlT_E_NS1_11comp_targetILNS1_3genE9ELNS1_11target_archE1100ELNS1_3gpuE3ELNS1_3repE0EEENS1_30default_config_static_selectorELNS0_4arch9wavefront6targetE0EEEvSP_
; %bb.0:
	s_clause 0x2
	s_load_b256 s[16:23], s[0:1], 0x0
	s_load_b64 s[2:3], s[0:1], 0x20
	s_load_b64 s[24:25], s[0:1], 0x30
	s_mov_b32 s14, s15
	s_mov_b32 s15, 0
	s_waitcnt lgkmcnt(0)
	s_lshl_b64 s[20:21], s[20:21], 3
	s_delay_alu instid0(SALU_CYCLE_1) | instskip(SKIP_4) | instid1(SALU_CYCLE_1)
	s_add_u32 s0, s22, s20
	s_addc_u32 s1, s23, s21
	s_add_u32 s2, s2, s20
	s_addc_u32 s3, s3, s21
	s_lshl_b64 s[22:23], s[14:15], 3
	s_add_u32 s0, s0, s22
	s_addc_u32 s1, s1, s23
	s_add_u32 s2, s2, s22
	s_addc_u32 s3, s3, s23
	s_load_b64 s[28:29], s[0:1], 0x0
	s_load_b64 s[26:27], s[2:3], 0x0
	s_waitcnt lgkmcnt(0)
	v_cmp_gt_i64_e64 s0, s[26:27], s[28:29]
	s_delay_alu instid0(VALU_DEP_1)
	s_and_b32 vcc_lo, exec_lo, s0
	v_cmp_eq_u32_e64 s0, 0, v0
	s_cbranch_vccnz .LBB159_3
; %bb.1:
	s_delay_alu instid0(VALU_DEP_1)
	s_and_b32 s15, s0, exec_lo
	s_cbranch_execz .LBB159_4
; %bb.2:
	v_dual_mov_b32 v3, s24 :: v_dual_mov_b32 v4, s25
	s_and_saveexec_b32 s0, s15
	s_cbranch_execnz .LBB159_83
	s_branch .LBB159_84
.LBB159_3:
.LBB159_4:
	s_add_u32 s0, s28, 0x1000
	s_addc_u32 s1, s29, 0
	s_delay_alu instid0(SALU_CYCLE_1) | instskip(NEXT) | instid1(VALU_DEP_1)
	v_cmp_le_i64_e64 s2, s[0:1], s[26:27]
	s_and_b32 vcc_lo, exec_lo, s2
	s_cbranch_vccz .LBB159_45
; %bb.5:
	s_lshl_b64 s[2:3], s[28:29], 3
	v_lshlrev_b32_e32 v37, 3, v0
	s_add_u32 s4, s16, s2
	s_addc_u32 s5, s17, s3
	s_clause 0x1
	global_load_b64 v[3:4], v37, s[4:5]
	global_load_b64 v[1:2], v37, s[4:5] offset:2048
	v_add_co_u32 v35, s4, s4, v37
	s_delay_alu instid0(VALU_DEP_1) | instskip(SKIP_1) | instid1(VALU_DEP_2)
	v_add_co_ci_u32_e64 v36, null, s5, 0, s4
	s_add_u32 s4, s28, 0x2000
	v_add_co_u32 v5, vcc_lo, v35, 0x2000
	s_delay_alu instid0(VALU_DEP_2)
	v_add_co_ci_u32_e32 v6, vcc_lo, 0, v36, vcc_lo
	v_add_co_u32 v7, vcc_lo, 0x1000, v35
	v_add_co_ci_u32_e32 v8, vcc_lo, 0, v36, vcc_lo
	s_clause 0x2
	global_load_b64 v[11:12], v[5:6], off offset:-4096
	global_load_b64 v[7:8], v[7:8], off offset:2048
	global_load_b64 v[9:10], v[5:6], off
	v_add_co_u32 v5, vcc_lo, 0x2000, v35
	v_add_co_ci_u32_e32 v6, vcc_lo, 0, v36, vcc_lo
	v_add_co_u32 v15, vcc_lo, v35, 0x4000
	v_add_co_ci_u32_e32 v16, vcc_lo, 0, v36, vcc_lo
	global_load_b64 v[5:6], v[5:6], off offset:2048
	v_add_co_u32 v13, vcc_lo, 0x3000, v35
	global_load_b64 v[17:18], v[15:16], off offset:-4096
	v_add_co_ci_u32_e32 v14, vcc_lo, 0, v36, vcc_lo
	s_clause 0x1
	global_load_b64 v[13:14], v[13:14], off offset:2048
	global_load_b64 v[15:16], v[15:16], off
	v_add_co_u32 v19, vcc_lo, 0x4000, v35
	v_add_co_ci_u32_e32 v20, vcc_lo, 0, v36, vcc_lo
	v_add_co_u32 v27, vcc_lo, v35, 0x6000
	v_add_co_ci_u32_e32 v28, vcc_lo, 0, v36, vcc_lo
	global_load_b64 v[25:26], v[19:20], off offset:2048
	v_add_co_u32 v33, vcc_lo, 0x7000, v35
	global_load_b64 v[23:24], v[27:28], off offset:-4096
	v_add_co_ci_u32_e32 v34, vcc_lo, 0, v36, vcc_lo
	v_add_co_u32 v29, vcc_lo, 0x5000, v35
	v_add_co_ci_u32_e32 v30, vcc_lo, 0, v36, vcc_lo
	s_addc_u32 s5, s29, 0
	s_delay_alu instid0(SALU_CYCLE_1) | instskip(SKIP_4) | instid1(VALU_DEP_1)
	v_cmp_ge_i64_e64 s4, s[4:5], s[26:27]
	global_load_b64 v[31:32], v[29:30], off offset:2048
	s_waitcnt vmcnt(10)
	v_add_f64 v[21:22], v[3:4], v[1:2]
	s_waitcnt vmcnt(9)
	v_add_f64 v[21:22], v[21:22], v[11:12]
	s_waitcnt vmcnt(8)
	s_delay_alu instid0(VALU_DEP_1)
	v_add_f64 v[29:30], v[21:22], v[7:8]
	s_clause 0x1
	global_load_b64 v[21:22], v[27:28], off
	global_load_b64 v[19:20], v[33:34], off offset:2048
	s_waitcnt vmcnt(9)
	v_add_f64 v[27:28], v[29:30], v[9:10]
	v_add_co_u32 v29, vcc_lo, 0x6000, v35
	v_add_co_ci_u32_e32 v30, vcc_lo, 0, v36, vcc_lo
	s_and_b32 vcc_lo, exec_lo, s4
	global_load_b64 v[29:30], v[29:30], off offset:2048
	s_waitcnt vmcnt(9)
	v_add_f64 v[35:36], v[27:28], v[5:6]
	global_load_b64 v[27:28], v[33:34], off
	s_waitcnt vmcnt(9)
	v_add_f64 v[33:34], v[35:36], v[17:18]
	s_waitcnt vmcnt(8)
	s_delay_alu instid0(VALU_DEP_1) | instskip(SKIP_1) | instid1(VALU_DEP_1)
	v_add_f64 v[33:34], v[33:34], v[13:14]
	s_waitcnt vmcnt(7)
	v_add_f64 v[33:34], v[33:34], v[15:16]
	s_waitcnt vmcnt(6)
	s_delay_alu instid0(VALU_DEP_1) | instskip(SKIP_1) | instid1(VALU_DEP_1)
	v_add_f64 v[33:34], v[33:34], v[25:26]
	;; [unrolled: 5-line block ×4, first 2 shown]
	s_waitcnt vmcnt(0)
	v_add_f64 v[33:34], v[33:34], v[27:28]
	s_delay_alu instid0(VALU_DEP_1)
	v_add_f64 v[33:34], v[33:34], v[19:20]
	s_cbranch_vccnz .LBB159_8
; %bb.6:
	s_add_u32 s2, s16, s2
	s_addc_u32 s3, s17, s3
	v_add_co_u32 v1, s2, s2, v37
	s_delay_alu instid0(VALU_DEP_1) | instskip(NEXT) | instid1(VALU_DEP_2)
	v_add_co_ci_u32_e64 v2, null, s3, 0, s2
	v_add_co_u32 v35, vcc_lo, 0x8000, v1
	s_delay_alu instid0(VALU_DEP_2)
	v_add_co_ci_u32_e32 v36, vcc_lo, 0, v2, vcc_lo
.LBB159_7:                              ; =>This Inner Loop Header: Depth=1
	s_clause 0x1
	global_load_b64 v[3:4], v[35:36], off
	global_load_b64 v[1:2], v[35:36], off offset:2048
	v_add_co_u32 v5, vcc_lo, v35, 0x2000
	v_add_co_ci_u32_e32 v6, vcc_lo, 0, v36, vcc_lo
	v_add_co_u32 v7, vcc_lo, 0x1000, v35
	v_add_co_ci_u32_e32 v8, vcc_lo, 0, v36, vcc_lo
	s_clause 0x2
	global_load_b64 v[11:12], v[5:6], off offset:-4096
	global_load_b64 v[7:8], v[7:8], off offset:2048
	global_load_b64 v[9:10], v[5:6], off
	v_add_co_u32 v5, vcc_lo, 0x2000, v35
	v_add_co_ci_u32_e32 v6, vcc_lo, 0, v36, vcc_lo
	v_add_co_u32 v15, vcc_lo, v35, 0x4000
	v_add_co_ci_u32_e32 v16, vcc_lo, 0, v36, vcc_lo
	global_load_b64 v[5:6], v[5:6], off offset:2048
	v_add_co_u32 v13, vcc_lo, 0x3000, v35
	global_load_b64 v[17:18], v[15:16], off offset:-4096
	v_add_co_ci_u32_e32 v14, vcc_lo, 0, v36, vcc_lo
	s_clause 0x1
	global_load_b64 v[13:14], v[13:14], off offset:2048
	global_load_b64 v[15:16], v[15:16], off
	v_add_co_u32 v19, vcc_lo, v35, 0x6000
	v_add_co_ci_u32_e32 v20, vcc_lo, 0, v36, vcc_lo
	s_clause 0x1
	global_load_b64 v[23:24], v[19:20], off offset:-4096
	global_load_b64 v[21:22], v[19:20], off
	v_add_co_u32 v25, vcc_lo, 0x4000, v35
	v_add_co_ci_u32_e32 v26, vcc_lo, 0, v36, vcc_lo
	v_add_co_u32 v27, vcc_lo, 0x5000, v35
	v_add_co_ci_u32_e32 v28, vcc_lo, 0, v36, vcc_lo
	global_load_b64 v[25:26], v[25:26], off offset:2048
	s_mov_b64 s[2:3], s[0:1]
	global_load_b64 v[31:32], v[27:28], off offset:2048
	v_add_co_u32 v27, vcc_lo, 0x6000, v35
	v_add_co_ci_u32_e32 v28, vcc_lo, 0, v36, vcc_lo
	s_add_u32 s0, s2, 0x1000
	s_addc_u32 s1, s3, 0
	s_add_u32 s2, s2, 0x2000
	global_load_b64 v[29:30], v[27:28], off offset:2048
	s_addc_u32 s3, s3, 0
	s_delay_alu instid0(SALU_CYCLE_1)
	v_cmp_lt_i64_e64 s2, s[2:3], s[26:27]
	s_waitcnt vmcnt(13)
	v_add_f64 v[19:20], v[33:34], v[3:4]
	v_add_co_u32 v33, vcc_lo, 0x7000, v35
	v_add_co_ci_u32_e32 v34, vcc_lo, 0, v36, vcc_lo
	v_add_co_u32 v35, vcc_lo, 0x8000, v35
	v_add_co_ci_u32_e32 v36, vcc_lo, 0, v36, vcc_lo
	s_and_b32 vcc_lo, exec_lo, s2
	s_waitcnt vmcnt(12)
	v_add_f64 v[19:20], v[19:20], v[1:2]
	s_waitcnt vmcnt(11)
	s_delay_alu instid0(VALU_DEP_1) | instskip(SKIP_1) | instid1(VALU_DEP_1)
	v_add_f64 v[19:20], v[19:20], v[11:12]
	s_waitcnt vmcnt(10)
	v_add_f64 v[19:20], v[19:20], v[7:8]
	s_waitcnt vmcnt(9)
	s_delay_alu instid0(VALU_DEP_1) | instskip(SKIP_1) | instid1(VALU_DEP_1)
	v_add_f64 v[19:20], v[19:20], v[9:10]
	s_waitcnt vmcnt(8)
	v_add_f64 v[19:20], v[19:20], v[5:6]
	s_waitcnt vmcnt(7)
	s_delay_alu instid0(VALU_DEP_1)
	v_add_f64 v[38:39], v[19:20], v[17:18]
	s_clause 0x1
	global_load_b64 v[19:20], v[33:34], off offset:2048
	global_load_b64 v[27:28], v[33:34], off
	s_waitcnt vmcnt(8)
	v_add_f64 v[33:34], v[38:39], v[13:14]
	s_waitcnt vmcnt(7)
	s_delay_alu instid0(VALU_DEP_1) | instskip(SKIP_1) | instid1(VALU_DEP_1)
	v_add_f64 v[33:34], v[33:34], v[15:16]
	s_waitcnt vmcnt(4)
	v_add_f64 v[33:34], v[33:34], v[25:26]
	s_delay_alu instid0(VALU_DEP_1) | instskip(SKIP_1) | instid1(VALU_DEP_1)
	v_add_f64 v[33:34], v[33:34], v[23:24]
	s_waitcnt vmcnt(3)
	v_add_f64 v[33:34], v[33:34], v[31:32]
	;; [unrolled: 4-line block ×3, first 2 shown]
	s_waitcnt vmcnt(0)
	s_delay_alu instid0(VALU_DEP_1) | instskip(NEXT) | instid1(VALU_DEP_1)
	v_add_f64 v[33:34], v[33:34], v[27:28]
	v_add_f64 v[33:34], v[33:34], v[19:20]
	s_cbranch_vccnz .LBB159_7
.LBB159_8:
	s_sub_i32 s14, s26, s0
	s_lshl_b64 s[0:1], s[0:1], 3
	v_cmp_gt_u32_e32 vcc_lo, s14, v0
	s_add_u32 s30, s16, s0
	s_addc_u32 s31, s17, s1
	s_and_saveexec_b32 s0, vcc_lo
	s_cbranch_execz .LBB159_10
; %bb.9:
	global_load_b64 v[3:4], v37, s[30:31]
.LBB159_10:
	s_or_b32 exec_lo, exec_lo, s0
	v_or_b32_e32 v35, 0x100, v0
	s_delay_alu instid0(VALU_DEP_1) | instskip(NEXT) | instid1(VALU_DEP_1)
	v_cmp_gt_u32_e64 s0, s14, v35
	s_and_saveexec_b32 s1, s0
	s_cbranch_execz .LBB159_12
; %bb.11:
	global_load_b64 v[1:2], v37, s[30:31] offset:2048
.LBB159_12:
	s_or_b32 exec_lo, exec_lo, s1
	v_or_b32_e32 v35, 0x200, v0
	s_delay_alu instid0(VALU_DEP_1) | instskip(NEXT) | instid1(VALU_DEP_1)
	v_cmp_gt_u32_e64 s1, s14, v35
	s_and_saveexec_b32 s2, s1
	s_cbranch_execz .LBB159_14
; %bb.13:
	v_lshlrev_b32_e32 v11, 3, v35
	global_load_b64 v[11:12], v11, s[30:31]
.LBB159_14:
	s_or_b32 exec_lo, exec_lo, s2
	v_or_b32_e32 v35, 0x300, v0
	s_delay_alu instid0(VALU_DEP_1) | instskip(NEXT) | instid1(VALU_DEP_1)
	v_cmp_gt_u32_e64 s2, s14, v35
	s_and_saveexec_b32 s3, s2
	s_cbranch_execz .LBB159_16
; %bb.15:
	v_lshlrev_b32_e32 v7, 3, v35
	global_load_b64 v[7:8], v7, s[30:31]
.LBB159_16:
	;; [unrolled: 10-line block ×14, first 2 shown]
	s_or_b32 exec_lo, exec_lo, s33
	s_waitcnt vmcnt(0)
	v_add_f64 v[3:4], v[33:34], v[3:4]
	s_delay_alu instid0(VALU_DEP_1) | instskip(NEXT) | instid1(VALU_DEP_1)
	v_dual_cndmask_b32 v4, v34, v4 :: v_dual_cndmask_b32 v3, v33, v3
	v_add_f64 v[1:2], v[1:2], v[3:4]
	s_delay_alu instid0(VALU_DEP_1) | instskip(NEXT) | instid1(VALU_DEP_2)
	v_cndmask_b32_e64 v2, v4, v2, s0
	v_cndmask_b32_e64 v1, v3, v1, s0
	s_mov_b32 s0, exec_lo
	s_delay_alu instid0(VALU_DEP_1) | instskip(NEXT) | instid1(VALU_DEP_1)
	v_add_f64 v[3:4], v[11:12], v[1:2]
	v_cndmask_b32_e64 v2, v2, v4, s1
	s_delay_alu instid0(VALU_DEP_2) | instskip(NEXT) | instid1(VALU_DEP_1)
	v_cndmask_b32_e64 v1, v1, v3, s1
	v_add_f64 v[3:4], v[7:8], v[1:2]
	s_delay_alu instid0(VALU_DEP_1) | instskip(NEXT) | instid1(VALU_DEP_2)
	v_cndmask_b32_e64 v2, v2, v4, s2
	v_cndmask_b32_e64 v1, v1, v3, s2
	s_delay_alu instid0(VALU_DEP_1) | instskip(NEXT) | instid1(VALU_DEP_1)
	v_add_f64 v[3:4], v[9:10], v[1:2]
	v_cndmask_b32_e64 v2, v2, v4, s3
	s_delay_alu instid0(VALU_DEP_2) | instskip(NEXT) | instid1(VALU_DEP_1)
	v_cndmask_b32_e64 v1, v1, v3, s3
	v_add_f64 v[3:4], v[5:6], v[1:2]
	s_delay_alu instid0(VALU_DEP_1) | instskip(NEXT) | instid1(VALU_DEP_2)
	v_cndmask_b32_e64 v2, v2, v4, s4
	v_cndmask_b32_e64 v1, v1, v3, s4
	;; [unrolled: 9-line block ×7, first 2 shown]
	s_delay_alu instid0(VALU_DEP_2) | instskip(NEXT) | instid1(VALU_DEP_2)
	v_mov_b32_dpp v3, v1 quad_perm:[1,0,3,2] row_mask:0xf bank_mask:0xf
	v_mov_b32_dpp v4, v2 quad_perm:[1,0,3,2] row_mask:0xf bank_mask:0xf
	s_delay_alu instid0(VALU_DEP_1) | instskip(NEXT) | instid1(VALU_DEP_1)
	v_add_f64 v[1:2], v[1:2], v[3:4]
	v_mov_b32_dpp v3, v1 quad_perm:[2,3,0,1] row_mask:0xf bank_mask:0xf
	s_delay_alu instid0(VALU_DEP_2) | instskip(NEXT) | instid1(VALU_DEP_1)
	v_mov_b32_dpp v4, v2 quad_perm:[2,3,0,1] row_mask:0xf bank_mask:0xf
	v_add_f64 v[1:2], v[1:2], v[3:4]
	s_delay_alu instid0(VALU_DEP_1) | instskip(NEXT) | instid1(VALU_DEP_2)
	v_mov_b32_dpp v3, v1 row_ror:4 row_mask:0xf bank_mask:0xf
	v_mov_b32_dpp v4, v2 row_ror:4 row_mask:0xf bank_mask:0xf
	s_delay_alu instid0(VALU_DEP_1) | instskip(NEXT) | instid1(VALU_DEP_1)
	v_add_f64 v[1:2], v[1:2], v[3:4]
	v_mov_b32_dpp v3, v1 row_ror:8 row_mask:0xf bank_mask:0xf
	s_delay_alu instid0(VALU_DEP_2) | instskip(NEXT) | instid1(VALU_DEP_1)
	v_mov_b32_dpp v4, v2 row_ror:8 row_mask:0xf bank_mask:0xf
	v_add_f64 v[1:2], v[1:2], v[3:4]
	ds_swizzle_b32 v3, v1 offset:swizzle(BROADCAST,32,15)
	ds_swizzle_b32 v4, v2 offset:swizzle(BROADCAST,32,15)
	s_waitcnt lgkmcnt(0)
	v_add_f64 v[1:2], v[1:2], v[3:4]
	v_mov_b32_e32 v3, 0
	ds_bpermute_b32 v1, v3, v1 offset:124
	ds_bpermute_b32 v2, v3, v2 offset:124
	v_mbcnt_lo_u32_b32 v3, -1, 0
	s_delay_alu instid0(VALU_DEP_1)
	v_cmpx_eq_u32_e32 0, v3
	s_cbranch_execz .LBB159_42
; %bb.41:
	v_lshrrev_b32_e32 v4, 2, v0
	s_delay_alu instid0(VALU_DEP_1)
	v_and_b32_e32 v4, 56, v4
	s_waitcnt lgkmcnt(0)
	ds_store_b64 v4, v[1:2]
.LBB159_42:
	s_or_b32 exec_lo, exec_lo, s0
	s_delay_alu instid0(SALU_CYCLE_1)
	s_mov_b32 s0, exec_lo
	s_waitcnt lgkmcnt(0)
	s_barrier
	buffer_gl0_inv
	v_cmpx_gt_u32_e32 32, v0
	s_cbranch_execz .LBB159_44
; %bb.43:
	v_and_b32_e32 v6, 7, v3
	s_delay_alu instid0(VALU_DEP_1) | instskip(SKIP_4) | instid1(VALU_DEP_2)
	v_lshlrev_b32_e32 v1, 3, v6
	v_cmp_ne_u32_e32 vcc_lo, 7, v6
	ds_load_b64 v[1:2], v1
	v_add_co_ci_u32_e32 v4, vcc_lo, 0, v3, vcc_lo
	v_cmp_gt_u32_e32 vcc_lo, 6, v6
	v_lshlrev_b32_e32 v5, 2, v4
	s_waitcnt lgkmcnt(0)
	ds_bpermute_b32 v4, v5, v1
	ds_bpermute_b32 v5, v5, v2
	s_waitcnt lgkmcnt(0)
	v_add_f64 v[1:2], v[1:2], v[4:5]
	v_cndmask_b32_e64 v4, 0, 1, vcc_lo
	v_cmp_gt_u32_e32 vcc_lo, 4, v6
	s_delay_alu instid0(VALU_DEP_2) | instskip(NEXT) | instid1(VALU_DEP_1)
	v_lshlrev_b32_e32 v4, 1, v4
	v_add_lshl_u32 v5, v4, v3, 2
	ds_bpermute_b32 v4, v5, v1
	ds_bpermute_b32 v5, v5, v2
	s_waitcnt lgkmcnt(0)
	v_add_f64 v[1:2], v[1:2], v[4:5]
	v_cndmask_b32_e64 v4, 0, 1, vcc_lo
	s_delay_alu instid0(VALU_DEP_1) | instskip(NEXT) | instid1(VALU_DEP_1)
	v_lshlrev_b32_e32 v4, 2, v4
	v_add_lshl_u32 v4, v4, v3, 2
	ds_bpermute_b32 v3, v4, v1
	ds_bpermute_b32 v4, v4, v2
	s_waitcnt lgkmcnt(0)
	v_add_f64 v[1:2], v[1:2], v[3:4]
.LBB159_44:
	s_or_b32 exec_lo, exec_lo, s0
	s_branch .LBB159_80
.LBB159_45:
                                        ; implicit-def: $vgpr1_vgpr2
	s_cbranch_execz .LBB159_80
; %bb.46:
	s_sub_i32 s1, s26, s28
	s_mov_b32 s2, exec_lo
                                        ; implicit-def: $vgpr3_vgpr4
	v_cmpx_gt_u32_e64 s1, v0
	s_cbranch_execz .LBB159_52
; %bb.47:
	v_add_co_u32 v1, s0, s28, v0
	s_delay_alu instid0(VALU_DEP_1) | instskip(SKIP_1) | instid1(VALU_DEP_1)
	v_add_co_ci_u32_e64 v2, null, s29, 0, s0
	s_mov_b32 s3, exec_lo
	v_lshlrev_b64 v[3:4], 3, v[1:2]
	s_delay_alu instid0(VALU_DEP_1) | instskip(NEXT) | instid1(VALU_DEP_2)
	v_add_co_u32 v5, vcc_lo, s16, v3
	v_add_co_ci_u32_e32 v6, vcc_lo, s17, v4, vcc_lo
	v_add_co_u32 v1, vcc_lo, 0x100, v1
	v_add_co_ci_u32_e32 v2, vcc_lo, 0, v2, vcc_lo
	global_load_b64 v[3:4], v[5:6], off
	v_cmpx_gt_i64_e64 s[26:27], v[1:2]
	s_cbranch_execz .LBB159_51
; %bb.48:
	v_add_co_u32 v5, vcc_lo, 0x800, v5
	v_add_co_ci_u32_e32 v6, vcc_lo, 0, v6, vcc_lo
	s_mov_b32 s4, 0
	.p2align	6
.LBB159_49:                             ; =>This Inner Loop Header: Depth=1
	global_load_b64 v[7:8], v[5:6], off
	v_add_co_u32 v1, vcc_lo, 0x100, v1
	v_add_co_ci_u32_e32 v2, vcc_lo, 0, v2, vcc_lo
	v_add_co_u32 v5, s0, 0x800, v5
	s_delay_alu instid0(VALU_DEP_1) | instskip(NEXT) | instid1(VALU_DEP_3)
	v_add_co_ci_u32_e64 v6, s0, 0, v6, s0
	v_cmp_le_i64_e32 vcc_lo, s[26:27], v[1:2]
	s_or_b32 s4, vcc_lo, s4
	s_waitcnt vmcnt(0)
	v_add_f64 v[3:4], v[3:4], v[7:8]
	s_and_not1_b32 exec_lo, exec_lo, s4
	s_cbranch_execnz .LBB159_49
; %bb.50:
	s_or_b32 exec_lo, exec_lo, s4
.LBB159_51:
	s_delay_alu instid0(SALU_CYCLE_1)
	s_or_b32 exec_lo, exec_lo, s3
.LBB159_52:
	s_delay_alu instid0(SALU_CYCLE_1)
	s_or_b32 exec_lo, exec_lo, s2
	v_mbcnt_lo_u32_b32 v7, -1, 0
	s_cmpk_lt_u32 s1, 0x100
	s_cbranch_scc0 .LBB159_74
; %bb.53:
	s_delay_alu instid0(VALU_DEP_1) | instskip(SKIP_1) | instid1(VALU_DEP_3)
	v_cmp_ne_u32_e32 vcc_lo, 31, v7
	s_waitcnt vmcnt(0)
	v_dual_mov_b32 v9, v4 :: v_dual_mov_b32 v10, v3
	v_add_co_ci_u32_e32 v1, vcc_lo, 0, v7, vcc_lo
	s_delay_alu instid0(VALU_DEP_1) | instskip(SKIP_3) | instid1(VALU_DEP_1)
	v_lshlrev_b32_e32 v1, 2, v1
	ds_bpermute_b32 v5, v1, v3
	ds_bpermute_b32 v6, v1, v4
	v_and_b32_e32 v1, 0xe0, v0
	v_sub_nc_u32_e64 v8, s1, v1 clamp
	v_add_nc_u32_e32 v1, 1, v7
	s_delay_alu instid0(VALU_DEP_1)
	v_cmp_lt_u32_e32 vcc_lo, v1, v8
	v_dual_mov_b32 v1, v3 :: v_dual_mov_b32 v2, v4
	s_and_saveexec_b32 s0, vcc_lo
	s_cbranch_execz .LBB159_55
; %bb.54:
	s_waitcnt lgkmcnt(0)
	v_add_f64 v[1:2], v[3:4], v[5:6]
	s_delay_alu instid0(VALU_DEP_1)
	v_dual_mov_b32 v9, v2 :: v_dual_mov_b32 v10, v1
.LBB159_55:
	s_or_b32 exec_lo, exec_lo, s0
	v_cmp_gt_u32_e32 vcc_lo, 30, v7
	v_add_nc_u32_e32 v11, 2, v7
	s_mov_b32 s0, exec_lo
	s_waitcnt lgkmcnt(1)
	v_cndmask_b32_e64 v5, 0, 1, vcc_lo
	s_delay_alu instid0(VALU_DEP_1) | instskip(SKIP_1) | instid1(VALU_DEP_1)
	v_lshlrev_b32_e32 v5, 1, v5
	s_waitcnt lgkmcnt(0)
	v_add_lshl_u32 v6, v5, v7, 2
	ds_bpermute_b32 v5, v6, v10
	ds_bpermute_b32 v6, v6, v9
	v_cmpx_lt_u32_e64 v11, v8
	s_cbranch_execz .LBB159_57
; %bb.56:
	s_waitcnt lgkmcnt(0)
	v_add_f64 v[1:2], v[1:2], v[5:6]
	s_delay_alu instid0(VALU_DEP_1)
	v_dual_mov_b32 v9, v2 :: v_dual_mov_b32 v10, v1
.LBB159_57:
	s_or_b32 exec_lo, exec_lo, s0
	v_cmp_gt_u32_e32 vcc_lo, 28, v7
	v_add_nc_u32_e32 v11, 4, v7
	s_mov_b32 s0, exec_lo
	s_waitcnt lgkmcnt(1)
	v_cndmask_b32_e64 v5, 0, 1, vcc_lo
	s_delay_alu instid0(VALU_DEP_1) | instskip(SKIP_1) | instid1(VALU_DEP_1)
	v_lshlrev_b32_e32 v5, 2, v5
	s_waitcnt lgkmcnt(0)
	v_add_lshl_u32 v6, v5, v7, 2
	ds_bpermute_b32 v5, v6, v10
	ds_bpermute_b32 v6, v6, v9
	v_cmpx_lt_u32_e64 v11, v8
	;; [unrolled: 20-line block ×3, first 2 shown]
	s_cbranch_execz .LBB159_61
; %bb.60:
	s_waitcnt lgkmcnt(0)
	v_add_f64 v[1:2], v[1:2], v[5:6]
	s_delay_alu instid0(VALU_DEP_1)
	v_dual_mov_b32 v9, v2 :: v_dual_mov_b32 v10, v1
.LBB159_61:
	s_or_b32 exec_lo, exec_lo, s0
	v_cmp_gt_u32_e32 vcc_lo, 16, v7
	s_mov_b32 s0, exec_lo
	s_waitcnt lgkmcnt(1)
	v_cndmask_b32_e64 v5, 0, 1, vcc_lo
	s_delay_alu instid0(VALU_DEP_1) | instskip(SKIP_1) | instid1(VALU_DEP_1)
	v_lshlrev_b32_e32 v5, 4, v5
	s_waitcnt lgkmcnt(0)
	v_add_lshl_u32 v6, v5, v7, 2
	ds_bpermute_b32 v5, v6, v10
	ds_bpermute_b32 v6, v6, v9
	v_add_nc_u32_e32 v9, 16, v7
	s_delay_alu instid0(VALU_DEP_1)
	v_cmpx_lt_u32_e64 v9, v8
	s_cbranch_execz .LBB159_63
; %bb.62:
	s_waitcnt lgkmcnt(0)
	v_add_f64 v[1:2], v[1:2], v[5:6]
.LBB159_63:
	s_or_b32 exec_lo, exec_lo, s0
	s_delay_alu instid0(SALU_CYCLE_1)
	s_mov_b32 s0, exec_lo
	v_cmpx_eq_u32_e32 0, v7
	s_cbranch_execz .LBB159_65
; %bb.64:
	s_waitcnt lgkmcnt(1)
	v_lshrrev_b32_e32 v5, 2, v0
	s_delay_alu instid0(VALU_DEP_1)
	v_and_b32_e32 v5, 56, v5
	ds_store_b64 v5, v[1:2]
.LBB159_65:
	s_or_b32 exec_lo, exec_lo, s0
	s_delay_alu instid0(SALU_CYCLE_1)
	s_mov_b32 s0, exec_lo
	s_waitcnt lgkmcnt(0)
	s_barrier
	buffer_gl0_inv
	v_cmpx_gt_u32_e32 8, v0
	s_cbranch_execz .LBB159_73
; %bb.66:
	v_lshlrev_b32_e32 v1, 3, v7
	v_and_b32_e32 v8, 7, v7
	s_add_i32 s1, s1, 31
	s_mov_b32 s2, exec_lo
	s_lshr_b32 s1, s1, 5
	ds_load_b64 v[1:2], v1
	v_cmp_ne_u32_e32 vcc_lo, 7, v8
	v_add_nc_u32_e32 v9, 1, v8
	v_add_co_ci_u32_e32 v5, vcc_lo, 0, v7, vcc_lo
	s_delay_alu instid0(VALU_DEP_1)
	v_lshlrev_b32_e32 v6, 2, v5
	s_waitcnt lgkmcnt(0)
	ds_bpermute_b32 v5, v6, v1
	ds_bpermute_b32 v6, v6, v2
	v_cmpx_gt_u32_e64 s1, v9
	s_cbranch_execz .LBB159_68
; %bb.67:
	s_waitcnt lgkmcnt(0)
	v_add_f64 v[1:2], v[1:2], v[5:6]
.LBB159_68:
	s_or_b32 exec_lo, exec_lo, s2
	v_cmp_gt_u32_e32 vcc_lo, 6, v8
	v_add_nc_u32_e32 v9, 2, v8
	s_mov_b32 s2, exec_lo
	s_waitcnt lgkmcnt(1)
	v_cndmask_b32_e64 v5, 0, 1, vcc_lo
	s_delay_alu instid0(VALU_DEP_1) | instskip(SKIP_1) | instid1(VALU_DEP_1)
	v_lshlrev_b32_e32 v5, 1, v5
	s_waitcnt lgkmcnt(0)
	v_add_lshl_u32 v6, v5, v7, 2
	ds_bpermute_b32 v5, v6, v1
	ds_bpermute_b32 v6, v6, v2
	v_cmpx_gt_u32_e64 s1, v9
	s_cbranch_execz .LBB159_70
; %bb.69:
	s_waitcnt lgkmcnt(0)
	v_add_f64 v[1:2], v[1:2], v[5:6]
.LBB159_70:
	s_or_b32 exec_lo, exec_lo, s2
	v_cmp_gt_u32_e32 vcc_lo, 4, v8
	v_add_nc_u32_e32 v8, 4, v8
	s_waitcnt lgkmcnt(1)
	v_cndmask_b32_e64 v5, 0, 1, vcc_lo
	s_delay_alu instid0(VALU_DEP_2) | instskip(NEXT) | instid1(VALU_DEP_2)
	v_cmp_gt_u32_e32 vcc_lo, s1, v8
	v_lshlrev_b32_e32 v5, 2, v5
	s_waitcnt lgkmcnt(0)
	s_delay_alu instid0(VALU_DEP_1)
	v_add_lshl_u32 v6, v5, v7, 2
	ds_bpermute_b32 v5, v6, v1
	ds_bpermute_b32 v6, v6, v2
	s_and_saveexec_b32 s1, vcc_lo
	s_cbranch_execz .LBB159_72
; %bb.71:
	s_waitcnt lgkmcnt(0)
	v_add_f64 v[1:2], v[1:2], v[5:6]
.LBB159_72:
	s_or_b32 exec_lo, exec_lo, s1
.LBB159_73:
	s_delay_alu instid0(SALU_CYCLE_1)
	s_or_b32 exec_lo, exec_lo, s0
	s_branch .LBB159_80
.LBB159_74:
                                        ; implicit-def: $vgpr1_vgpr2
	s_cbranch_execz .LBB159_80
; %bb.75:
	s_waitcnt vmcnt(0)
	s_delay_alu instid0(VALU_DEP_2) | instskip(NEXT) | instid1(VALU_DEP_3)
	v_mov_b32_dpp v1, v3 quad_perm:[1,0,3,2] row_mask:0xf bank_mask:0xf
	v_mov_b32_dpp v2, v4 quad_perm:[1,0,3,2] row_mask:0xf bank_mask:0xf
	s_mov_b32 s0, exec_lo
	s_delay_alu instid0(VALU_DEP_1) | instskip(NEXT) | instid1(VALU_DEP_1)
	v_add_f64 v[1:2], v[3:4], v[1:2]
	v_mov_b32_dpp v3, v1 quad_perm:[2,3,0,1] row_mask:0xf bank_mask:0xf
	s_delay_alu instid0(VALU_DEP_2) | instskip(NEXT) | instid1(VALU_DEP_1)
	v_mov_b32_dpp v4, v2 quad_perm:[2,3,0,1] row_mask:0xf bank_mask:0xf
	v_add_f64 v[1:2], v[1:2], v[3:4]
	s_delay_alu instid0(VALU_DEP_1) | instskip(NEXT) | instid1(VALU_DEP_2)
	v_mov_b32_dpp v3, v1 row_ror:4 row_mask:0xf bank_mask:0xf
	v_mov_b32_dpp v4, v2 row_ror:4 row_mask:0xf bank_mask:0xf
	s_delay_alu instid0(VALU_DEP_1) | instskip(NEXT) | instid1(VALU_DEP_1)
	v_add_f64 v[1:2], v[1:2], v[3:4]
	v_mov_b32_dpp v3, v1 row_ror:8 row_mask:0xf bank_mask:0xf
	s_delay_alu instid0(VALU_DEP_2) | instskip(NEXT) | instid1(VALU_DEP_1)
	v_mov_b32_dpp v4, v2 row_ror:8 row_mask:0xf bank_mask:0xf
	v_add_f64 v[1:2], v[1:2], v[3:4]
	ds_swizzle_b32 v3, v1 offset:swizzle(BROADCAST,32,15)
	ds_swizzle_b32 v4, v2 offset:swizzle(BROADCAST,32,15)
	s_waitcnt lgkmcnt(0)
	v_add_f64 v[1:2], v[1:2], v[3:4]
	v_mov_b32_e32 v3, 0
	ds_bpermute_b32 v1, v3, v1 offset:124
	ds_bpermute_b32 v2, v3, v2 offset:124
	v_cmpx_eq_u32_e32 0, v7
	s_cbranch_execz .LBB159_77
; %bb.76:
	v_lshrrev_b32_e32 v3, 2, v0
	s_delay_alu instid0(VALU_DEP_1)
	v_and_b32_e32 v3, 56, v3
	s_waitcnt lgkmcnt(0)
	ds_store_b64 v3, v[1:2]
.LBB159_77:
	s_or_b32 exec_lo, exec_lo, s0
	s_delay_alu instid0(SALU_CYCLE_1)
	s_mov_b32 s0, exec_lo
	s_waitcnt lgkmcnt(0)
	s_barrier
	buffer_gl0_inv
	v_cmpx_gt_u32_e32 32, v0
	s_cbranch_execz .LBB159_79
; %bb.78:
	v_and_b32_e32 v5, 7, v7
	s_delay_alu instid0(VALU_DEP_1) | instskip(SKIP_4) | instid1(VALU_DEP_2)
	v_lshlrev_b32_e32 v1, 3, v5
	v_cmp_ne_u32_e32 vcc_lo, 7, v5
	ds_load_b64 v[1:2], v1
	v_add_co_ci_u32_e32 v3, vcc_lo, 0, v7, vcc_lo
	v_cmp_gt_u32_e32 vcc_lo, 6, v5
	v_lshlrev_b32_e32 v4, 2, v3
	s_waitcnt lgkmcnt(0)
	ds_bpermute_b32 v3, v4, v1
	ds_bpermute_b32 v4, v4, v2
	s_waitcnt lgkmcnt(0)
	v_add_f64 v[1:2], v[1:2], v[3:4]
	v_cndmask_b32_e64 v3, 0, 1, vcc_lo
	v_cmp_gt_u32_e32 vcc_lo, 4, v5
	s_delay_alu instid0(VALU_DEP_2) | instskip(NEXT) | instid1(VALU_DEP_1)
	v_lshlrev_b32_e32 v3, 1, v3
	v_add_lshl_u32 v4, v3, v7, 2
	ds_bpermute_b32 v3, v4, v1
	ds_bpermute_b32 v4, v4, v2
	s_waitcnt lgkmcnt(0)
	v_add_f64 v[1:2], v[1:2], v[3:4]
	v_cndmask_b32_e64 v3, 0, 1, vcc_lo
	s_delay_alu instid0(VALU_DEP_1) | instskip(NEXT) | instid1(VALU_DEP_1)
	v_lshlrev_b32_e32 v3, 2, v3
	v_add_lshl_u32 v4, v3, v7, 2
	ds_bpermute_b32 v3, v4, v1
	ds_bpermute_b32 v4, v4, v2
	s_waitcnt lgkmcnt(0)
	v_add_f64 v[1:2], v[1:2], v[3:4]
.LBB159_79:
	s_or_b32 exec_lo, exec_lo, s0
.LBB159_80:
	s_delay_alu instid0(SALU_CYCLE_1)
	s_mov_b32 s0, exec_lo
                                        ; implicit-def: $vgpr3_vgpr4
	v_cmpx_eq_u32_e32 0, v0
	s_cbranch_execz .LBB159_82
; %bb.81:
	s_waitcnt vmcnt(0)
	s_delay_alu instid0(VALU_DEP_2)
	v_add_f64 v[3:4], s[24:25], v[1:2]
	s_or_b32 s15, s15, exec_lo
.LBB159_82:
	s_or_b32 exec_lo, exec_lo, s0
	s_and_saveexec_b32 s0, s15
	s_cbranch_execz .LBB159_84
.LBB159_83:
	s_add_u32 s0, s18, s20
	v_mov_b32_e32 v0, 0
	s_addc_u32 s1, s19, s21
	s_add_u32 s0, s0, s22
	s_addc_u32 s1, s1, s23
	s_waitcnt vmcnt(0)
	global_store_b64 v0, v[3:4], s[0:1]
.LBB159_84:
	s_nop 0
	s_sendmsg sendmsg(MSG_DEALLOC_VGPRS)
	s_endpgm
	.section	.rodata,"a",@progbits
	.p2align	6, 0x0
	.amdhsa_kernel _ZN7rocprim17ROCPRIM_400000_NS6detail17trampoline_kernelINS0_14default_configENS1_32segmented_reduce_config_selectorIdEEZNS1_21segmented_reduce_implIS3_PKdPdPKldN6hipcub16HIPCUB_304000_NS6detail27convert_result_type_wrapperIS8_S9_N2at6native12_GLOBAL__N_19CustomSumEEEEE10hipError_tPvRmT0_T1_jT2_SQ_T4_T3_P12ihipStream_tbEUlT_E_NS1_11comp_targetILNS1_3genE9ELNS1_11target_archE1100ELNS1_3gpuE3ELNS1_3repE0EEENS1_30default_config_static_selectorELNS0_4arch9wavefront6targetE0EEEvSP_
		.amdhsa_group_segment_fixed_size 64
		.amdhsa_private_segment_fixed_size 0
		.amdhsa_kernarg_size 56
		.amdhsa_user_sgpr_count 15
		.amdhsa_user_sgpr_dispatch_ptr 0
		.amdhsa_user_sgpr_queue_ptr 0
		.amdhsa_user_sgpr_kernarg_segment_ptr 1
		.amdhsa_user_sgpr_dispatch_id 0
		.amdhsa_user_sgpr_private_segment_size 0
		.amdhsa_wavefront_size32 1
		.amdhsa_uses_dynamic_stack 0
		.amdhsa_enable_private_segment 0
		.amdhsa_system_sgpr_workgroup_id_x 1
		.amdhsa_system_sgpr_workgroup_id_y 0
		.amdhsa_system_sgpr_workgroup_id_z 0
		.amdhsa_system_sgpr_workgroup_info 0
		.amdhsa_system_vgpr_workitem_id 0
		.amdhsa_next_free_vgpr 40
		.amdhsa_next_free_sgpr 34
		.amdhsa_reserve_vcc 1
		.amdhsa_float_round_mode_32 0
		.amdhsa_float_round_mode_16_64 0
		.amdhsa_float_denorm_mode_32 3
		.amdhsa_float_denorm_mode_16_64 3
		.amdhsa_dx10_clamp 1
		.amdhsa_ieee_mode 1
		.amdhsa_fp16_overflow 0
		.amdhsa_workgroup_processor_mode 1
		.amdhsa_memory_ordered 1
		.amdhsa_forward_progress 0
		.amdhsa_shared_vgpr_count 0
		.amdhsa_exception_fp_ieee_invalid_op 0
		.amdhsa_exception_fp_denorm_src 0
		.amdhsa_exception_fp_ieee_div_zero 0
		.amdhsa_exception_fp_ieee_overflow 0
		.amdhsa_exception_fp_ieee_underflow 0
		.amdhsa_exception_fp_ieee_inexact 0
		.amdhsa_exception_int_div_zero 0
	.end_amdhsa_kernel
	.section	.text._ZN7rocprim17ROCPRIM_400000_NS6detail17trampoline_kernelINS0_14default_configENS1_32segmented_reduce_config_selectorIdEEZNS1_21segmented_reduce_implIS3_PKdPdPKldN6hipcub16HIPCUB_304000_NS6detail27convert_result_type_wrapperIS8_S9_N2at6native12_GLOBAL__N_19CustomSumEEEEE10hipError_tPvRmT0_T1_jT2_SQ_T4_T3_P12ihipStream_tbEUlT_E_NS1_11comp_targetILNS1_3genE9ELNS1_11target_archE1100ELNS1_3gpuE3ELNS1_3repE0EEENS1_30default_config_static_selectorELNS0_4arch9wavefront6targetE0EEEvSP_,"axG",@progbits,_ZN7rocprim17ROCPRIM_400000_NS6detail17trampoline_kernelINS0_14default_configENS1_32segmented_reduce_config_selectorIdEEZNS1_21segmented_reduce_implIS3_PKdPdPKldN6hipcub16HIPCUB_304000_NS6detail27convert_result_type_wrapperIS8_S9_N2at6native12_GLOBAL__N_19CustomSumEEEEE10hipError_tPvRmT0_T1_jT2_SQ_T4_T3_P12ihipStream_tbEUlT_E_NS1_11comp_targetILNS1_3genE9ELNS1_11target_archE1100ELNS1_3gpuE3ELNS1_3repE0EEENS1_30default_config_static_selectorELNS0_4arch9wavefront6targetE0EEEvSP_,comdat
.Lfunc_end159:
	.size	_ZN7rocprim17ROCPRIM_400000_NS6detail17trampoline_kernelINS0_14default_configENS1_32segmented_reduce_config_selectorIdEEZNS1_21segmented_reduce_implIS3_PKdPdPKldN6hipcub16HIPCUB_304000_NS6detail27convert_result_type_wrapperIS8_S9_N2at6native12_GLOBAL__N_19CustomSumEEEEE10hipError_tPvRmT0_T1_jT2_SQ_T4_T3_P12ihipStream_tbEUlT_E_NS1_11comp_targetILNS1_3genE9ELNS1_11target_archE1100ELNS1_3gpuE3ELNS1_3repE0EEENS1_30default_config_static_selectorELNS0_4arch9wavefront6targetE0EEEvSP_, .Lfunc_end159-_ZN7rocprim17ROCPRIM_400000_NS6detail17trampoline_kernelINS0_14default_configENS1_32segmented_reduce_config_selectorIdEEZNS1_21segmented_reduce_implIS3_PKdPdPKldN6hipcub16HIPCUB_304000_NS6detail27convert_result_type_wrapperIS8_S9_N2at6native12_GLOBAL__N_19CustomSumEEEEE10hipError_tPvRmT0_T1_jT2_SQ_T4_T3_P12ihipStream_tbEUlT_E_NS1_11comp_targetILNS1_3genE9ELNS1_11target_archE1100ELNS1_3gpuE3ELNS1_3repE0EEENS1_30default_config_static_selectorELNS0_4arch9wavefront6targetE0EEEvSP_
                                        ; -- End function
	.section	.AMDGPU.csdata,"",@progbits
; Kernel info:
; codeLenInByte = 4636
; NumSgprs: 36
; NumVgprs: 40
; ScratchSize: 0
; MemoryBound: 0
; FloatMode: 240
; IeeeMode: 1
; LDSByteSize: 64 bytes/workgroup (compile time only)
; SGPRBlocks: 4
; VGPRBlocks: 4
; NumSGPRsForWavesPerEU: 36
; NumVGPRsForWavesPerEU: 40
; Occupancy: 16
; WaveLimiterHint : 1
; COMPUTE_PGM_RSRC2:SCRATCH_EN: 0
; COMPUTE_PGM_RSRC2:USER_SGPR: 15
; COMPUTE_PGM_RSRC2:TRAP_HANDLER: 0
; COMPUTE_PGM_RSRC2:TGID_X_EN: 1
; COMPUTE_PGM_RSRC2:TGID_Y_EN: 0
; COMPUTE_PGM_RSRC2:TGID_Z_EN: 0
; COMPUTE_PGM_RSRC2:TIDIG_COMP_CNT: 0
	.section	.text._ZN7rocprim17ROCPRIM_400000_NS6detail17trampoline_kernelINS0_14default_configENS1_32segmented_reduce_config_selectorIdEEZNS1_21segmented_reduce_implIS3_PKdPdPKldN6hipcub16HIPCUB_304000_NS6detail27convert_result_type_wrapperIS8_S9_N2at6native12_GLOBAL__N_19CustomSumEEEEE10hipError_tPvRmT0_T1_jT2_SQ_T4_T3_P12ihipStream_tbEUlT_E_NS1_11comp_targetILNS1_3genE8ELNS1_11target_archE1030ELNS1_3gpuE2ELNS1_3repE0EEENS1_30default_config_static_selectorELNS0_4arch9wavefront6targetE0EEEvSP_,"axG",@progbits,_ZN7rocprim17ROCPRIM_400000_NS6detail17trampoline_kernelINS0_14default_configENS1_32segmented_reduce_config_selectorIdEEZNS1_21segmented_reduce_implIS3_PKdPdPKldN6hipcub16HIPCUB_304000_NS6detail27convert_result_type_wrapperIS8_S9_N2at6native12_GLOBAL__N_19CustomSumEEEEE10hipError_tPvRmT0_T1_jT2_SQ_T4_T3_P12ihipStream_tbEUlT_E_NS1_11comp_targetILNS1_3genE8ELNS1_11target_archE1030ELNS1_3gpuE2ELNS1_3repE0EEENS1_30default_config_static_selectorELNS0_4arch9wavefront6targetE0EEEvSP_,comdat
	.globl	_ZN7rocprim17ROCPRIM_400000_NS6detail17trampoline_kernelINS0_14default_configENS1_32segmented_reduce_config_selectorIdEEZNS1_21segmented_reduce_implIS3_PKdPdPKldN6hipcub16HIPCUB_304000_NS6detail27convert_result_type_wrapperIS8_S9_N2at6native12_GLOBAL__N_19CustomSumEEEEE10hipError_tPvRmT0_T1_jT2_SQ_T4_T3_P12ihipStream_tbEUlT_E_NS1_11comp_targetILNS1_3genE8ELNS1_11target_archE1030ELNS1_3gpuE2ELNS1_3repE0EEENS1_30default_config_static_selectorELNS0_4arch9wavefront6targetE0EEEvSP_ ; -- Begin function _ZN7rocprim17ROCPRIM_400000_NS6detail17trampoline_kernelINS0_14default_configENS1_32segmented_reduce_config_selectorIdEEZNS1_21segmented_reduce_implIS3_PKdPdPKldN6hipcub16HIPCUB_304000_NS6detail27convert_result_type_wrapperIS8_S9_N2at6native12_GLOBAL__N_19CustomSumEEEEE10hipError_tPvRmT0_T1_jT2_SQ_T4_T3_P12ihipStream_tbEUlT_E_NS1_11comp_targetILNS1_3genE8ELNS1_11target_archE1030ELNS1_3gpuE2ELNS1_3repE0EEENS1_30default_config_static_selectorELNS0_4arch9wavefront6targetE0EEEvSP_
	.p2align	8
	.type	_ZN7rocprim17ROCPRIM_400000_NS6detail17trampoline_kernelINS0_14default_configENS1_32segmented_reduce_config_selectorIdEEZNS1_21segmented_reduce_implIS3_PKdPdPKldN6hipcub16HIPCUB_304000_NS6detail27convert_result_type_wrapperIS8_S9_N2at6native12_GLOBAL__N_19CustomSumEEEEE10hipError_tPvRmT0_T1_jT2_SQ_T4_T3_P12ihipStream_tbEUlT_E_NS1_11comp_targetILNS1_3genE8ELNS1_11target_archE1030ELNS1_3gpuE2ELNS1_3repE0EEENS1_30default_config_static_selectorELNS0_4arch9wavefront6targetE0EEEvSP_,@function
_ZN7rocprim17ROCPRIM_400000_NS6detail17trampoline_kernelINS0_14default_configENS1_32segmented_reduce_config_selectorIdEEZNS1_21segmented_reduce_implIS3_PKdPdPKldN6hipcub16HIPCUB_304000_NS6detail27convert_result_type_wrapperIS8_S9_N2at6native12_GLOBAL__N_19CustomSumEEEEE10hipError_tPvRmT0_T1_jT2_SQ_T4_T3_P12ihipStream_tbEUlT_E_NS1_11comp_targetILNS1_3genE8ELNS1_11target_archE1030ELNS1_3gpuE2ELNS1_3repE0EEENS1_30default_config_static_selectorELNS0_4arch9wavefront6targetE0EEEvSP_: ; @_ZN7rocprim17ROCPRIM_400000_NS6detail17trampoline_kernelINS0_14default_configENS1_32segmented_reduce_config_selectorIdEEZNS1_21segmented_reduce_implIS3_PKdPdPKldN6hipcub16HIPCUB_304000_NS6detail27convert_result_type_wrapperIS8_S9_N2at6native12_GLOBAL__N_19CustomSumEEEEE10hipError_tPvRmT0_T1_jT2_SQ_T4_T3_P12ihipStream_tbEUlT_E_NS1_11comp_targetILNS1_3genE8ELNS1_11target_archE1030ELNS1_3gpuE2ELNS1_3repE0EEENS1_30default_config_static_selectorELNS0_4arch9wavefront6targetE0EEEvSP_
; %bb.0:
	.section	.rodata,"a",@progbits
	.p2align	6, 0x0
	.amdhsa_kernel _ZN7rocprim17ROCPRIM_400000_NS6detail17trampoline_kernelINS0_14default_configENS1_32segmented_reduce_config_selectorIdEEZNS1_21segmented_reduce_implIS3_PKdPdPKldN6hipcub16HIPCUB_304000_NS6detail27convert_result_type_wrapperIS8_S9_N2at6native12_GLOBAL__N_19CustomSumEEEEE10hipError_tPvRmT0_T1_jT2_SQ_T4_T3_P12ihipStream_tbEUlT_E_NS1_11comp_targetILNS1_3genE8ELNS1_11target_archE1030ELNS1_3gpuE2ELNS1_3repE0EEENS1_30default_config_static_selectorELNS0_4arch9wavefront6targetE0EEEvSP_
		.amdhsa_group_segment_fixed_size 0
		.amdhsa_private_segment_fixed_size 0
		.amdhsa_kernarg_size 56
		.amdhsa_user_sgpr_count 15
		.amdhsa_user_sgpr_dispatch_ptr 0
		.amdhsa_user_sgpr_queue_ptr 0
		.amdhsa_user_sgpr_kernarg_segment_ptr 1
		.amdhsa_user_sgpr_dispatch_id 0
		.amdhsa_user_sgpr_private_segment_size 0
		.amdhsa_wavefront_size32 1
		.amdhsa_uses_dynamic_stack 0
		.amdhsa_enable_private_segment 0
		.amdhsa_system_sgpr_workgroup_id_x 1
		.amdhsa_system_sgpr_workgroup_id_y 0
		.amdhsa_system_sgpr_workgroup_id_z 0
		.amdhsa_system_sgpr_workgroup_info 0
		.amdhsa_system_vgpr_workitem_id 0
		.amdhsa_next_free_vgpr 1
		.amdhsa_next_free_sgpr 1
		.amdhsa_reserve_vcc 0
		.amdhsa_float_round_mode_32 0
		.amdhsa_float_round_mode_16_64 0
		.amdhsa_float_denorm_mode_32 3
		.amdhsa_float_denorm_mode_16_64 3
		.amdhsa_dx10_clamp 1
		.amdhsa_ieee_mode 1
		.amdhsa_fp16_overflow 0
		.amdhsa_workgroup_processor_mode 1
		.amdhsa_memory_ordered 1
		.amdhsa_forward_progress 0
		.amdhsa_shared_vgpr_count 0
		.amdhsa_exception_fp_ieee_invalid_op 0
		.amdhsa_exception_fp_denorm_src 0
		.amdhsa_exception_fp_ieee_div_zero 0
		.amdhsa_exception_fp_ieee_overflow 0
		.amdhsa_exception_fp_ieee_underflow 0
		.amdhsa_exception_fp_ieee_inexact 0
		.amdhsa_exception_int_div_zero 0
	.end_amdhsa_kernel
	.section	.text._ZN7rocprim17ROCPRIM_400000_NS6detail17trampoline_kernelINS0_14default_configENS1_32segmented_reduce_config_selectorIdEEZNS1_21segmented_reduce_implIS3_PKdPdPKldN6hipcub16HIPCUB_304000_NS6detail27convert_result_type_wrapperIS8_S9_N2at6native12_GLOBAL__N_19CustomSumEEEEE10hipError_tPvRmT0_T1_jT2_SQ_T4_T3_P12ihipStream_tbEUlT_E_NS1_11comp_targetILNS1_3genE8ELNS1_11target_archE1030ELNS1_3gpuE2ELNS1_3repE0EEENS1_30default_config_static_selectorELNS0_4arch9wavefront6targetE0EEEvSP_,"axG",@progbits,_ZN7rocprim17ROCPRIM_400000_NS6detail17trampoline_kernelINS0_14default_configENS1_32segmented_reduce_config_selectorIdEEZNS1_21segmented_reduce_implIS3_PKdPdPKldN6hipcub16HIPCUB_304000_NS6detail27convert_result_type_wrapperIS8_S9_N2at6native12_GLOBAL__N_19CustomSumEEEEE10hipError_tPvRmT0_T1_jT2_SQ_T4_T3_P12ihipStream_tbEUlT_E_NS1_11comp_targetILNS1_3genE8ELNS1_11target_archE1030ELNS1_3gpuE2ELNS1_3repE0EEENS1_30default_config_static_selectorELNS0_4arch9wavefront6targetE0EEEvSP_,comdat
.Lfunc_end160:
	.size	_ZN7rocprim17ROCPRIM_400000_NS6detail17trampoline_kernelINS0_14default_configENS1_32segmented_reduce_config_selectorIdEEZNS1_21segmented_reduce_implIS3_PKdPdPKldN6hipcub16HIPCUB_304000_NS6detail27convert_result_type_wrapperIS8_S9_N2at6native12_GLOBAL__N_19CustomSumEEEEE10hipError_tPvRmT0_T1_jT2_SQ_T4_T3_P12ihipStream_tbEUlT_E_NS1_11comp_targetILNS1_3genE8ELNS1_11target_archE1030ELNS1_3gpuE2ELNS1_3repE0EEENS1_30default_config_static_selectorELNS0_4arch9wavefront6targetE0EEEvSP_, .Lfunc_end160-_ZN7rocprim17ROCPRIM_400000_NS6detail17trampoline_kernelINS0_14default_configENS1_32segmented_reduce_config_selectorIdEEZNS1_21segmented_reduce_implIS3_PKdPdPKldN6hipcub16HIPCUB_304000_NS6detail27convert_result_type_wrapperIS8_S9_N2at6native12_GLOBAL__N_19CustomSumEEEEE10hipError_tPvRmT0_T1_jT2_SQ_T4_T3_P12ihipStream_tbEUlT_E_NS1_11comp_targetILNS1_3genE8ELNS1_11target_archE1030ELNS1_3gpuE2ELNS1_3repE0EEENS1_30default_config_static_selectorELNS0_4arch9wavefront6targetE0EEEvSP_
                                        ; -- End function
	.section	.AMDGPU.csdata,"",@progbits
; Kernel info:
; codeLenInByte = 0
; NumSgprs: 0
; NumVgprs: 0
; ScratchSize: 0
; MemoryBound: 0
; FloatMode: 240
; IeeeMode: 1
; LDSByteSize: 0 bytes/workgroup (compile time only)
; SGPRBlocks: 0
; VGPRBlocks: 0
; NumSGPRsForWavesPerEU: 1
; NumVGPRsForWavesPerEU: 1
; Occupancy: 16
; WaveLimiterHint : 0
; COMPUTE_PGM_RSRC2:SCRATCH_EN: 0
; COMPUTE_PGM_RSRC2:USER_SGPR: 15
; COMPUTE_PGM_RSRC2:TRAP_HANDLER: 0
; COMPUTE_PGM_RSRC2:TGID_X_EN: 1
; COMPUTE_PGM_RSRC2:TGID_Y_EN: 0
; COMPUTE_PGM_RSRC2:TGID_Z_EN: 0
; COMPUTE_PGM_RSRC2:TIDIG_COMP_CNT: 0
	.section	.text._ZN2at6native12_GLOBAL__N_119post_sum_div_kernelIdlEEvPT_PKT0_lbS3_,"axG",@progbits,_ZN2at6native12_GLOBAL__N_119post_sum_div_kernelIdlEEvPT_PKT0_lbS3_,comdat
	.globl	_ZN2at6native12_GLOBAL__N_119post_sum_div_kernelIdlEEvPT_PKT0_lbS3_ ; -- Begin function _ZN2at6native12_GLOBAL__N_119post_sum_div_kernelIdlEEvPT_PKT0_lbS3_
	.p2align	8
	.type	_ZN2at6native12_GLOBAL__N_119post_sum_div_kernelIdlEEvPT_PKT0_lbS3_,@function
_ZN2at6native12_GLOBAL__N_119post_sum_div_kernelIdlEEvPT_PKT0_lbS3_: ; @_ZN2at6native12_GLOBAL__N_119post_sum_div_kernelIdlEEvPT_PKT0_lbS3_
; %bb.0:
	s_clause 0x1
	s_load_b32 s6, s[0:1], 0x34
	s_load_b64 s[2:3], s[0:1], 0x10
	v_mov_b32_e32 v1, 0
	s_add_u32 s4, s0, 40
	s_addc_u32 s5, s1, 0
	s_waitcnt lgkmcnt(0)
	s_and_b32 s8, s6, 0xffff
	s_mov_b32 s6, exec_lo
	v_mad_u64_u32 v[2:3], null, s8, s15, v[0:1]
	s_delay_alu instid0(VALU_DEP_1)
	v_cmpx_gt_i64_e64 s[2:3], v[2:3]
	s_cbranch_execz .LBB161_12
; %bb.1:
	s_load_b32 s9, s[0:1], 0x18
	s_load_b32 s10, s[4:5], 0x0
	s_clause 0x1
	s_load_b64 s[12:13], s[0:1], 0x20
	s_load_b128 s[4:7], s[0:1], 0x0
	v_dual_mov_b32 v0, v1 :: v_dual_mov_b32 v1, v2
	s_mov_b32 s1, 0
                                        ; implicit-def: $sgpr11
                                        ; implicit-def: $sgpr14
	s_waitcnt lgkmcnt(0)
	s_bitcmp1_b32 s9, 0
	s_mul_i32 s10, s10, s8
	s_cselect_b32 s9, s13, 0x7ff80000
	s_cselect_b32 s8, s12, 0
	s_mov_b32 s12, s10
                                        ; implicit-def: $sgpr13
	s_branch .LBB161_4
.LBB161_2:                              ;   in Loop: Header=BB161_4 Depth=1
	s_or_b32 exec_lo, exec_lo, s0
	v_add_co_u32 v2, vcc_lo, v2, s10
	v_add_co_ci_u32_e32 v3, vcc_lo, 0, v3, vcc_lo
	v_add_co_u32 v0, s0, v0, 0
	s_delay_alu instid0(VALU_DEP_1) | instskip(NEXT) | instid1(VALU_DEP_3)
	v_add_co_ci_u32_e64 v1, s0, s12, v1, s0
	v_cmp_le_i64_e32 vcc_lo, s[2:3], v[2:3]
	s_and_not1_b32 s0, s14, exec_lo
	s_and_not1_b32 s13, s13, exec_lo
	s_and_b32 s14, vcc_lo, exec_lo
	s_delay_alu instid0(SALU_CYCLE_1)
	s_or_b32 s14, s0, s14
.LBB161_3:                              ;   in Loop: Header=BB161_4 Depth=1
	s_or_b32 exec_lo, exec_lo, s15
	s_delay_alu instid0(SALU_CYCLE_1) | instskip(NEXT) | instid1(SALU_CYCLE_1)
	s_and_b32 s0, exec_lo, s14
	s_or_b32 s1, s0, s1
	s_and_not1_b32 s0, s11, exec_lo
	s_and_b32 s11, s13, exec_lo
	s_delay_alu instid0(SALU_CYCLE_1)
	s_or_b32 s11, s0, s11
	s_and_not1_b32 exec_lo, exec_lo, s1
	s_cbranch_execz .LBB161_11
.LBB161_4:                              ; =>This Inner Loop Header: Depth=1
	v_ashrrev_i64 v[4:5], 29, v[0:1]
	s_or_b32 s13, s13, exec_lo
	s_or_b32 s14, s14, exec_lo
	s_mov_b32 s15, exec_lo
	s_delay_alu instid0(VALU_DEP_1) | instskip(NEXT) | instid1(VALU_DEP_2)
	v_add_co_u32 v4, vcc_lo, s6, v4
	v_add_co_ci_u32_e32 v5, vcc_lo, s7, v5, vcc_lo
	global_load_b64 v[6:7], v[4:5], off
	s_waitcnt vmcnt(0)
	v_cmpx_lt_i64_e32 -1, v[6:7]
	s_cbranch_execz .LBB161_3
; %bb.5:                                ;   in Loop: Header=BB161_4 Depth=1
	v_ashrrev_i32_e32 v5, 31, v1
	v_mov_b32_e32 v4, v1
	v_dual_mov_b32 v8, s8 :: v_dual_mov_b32 v9, s9
	s_mov_b32 s16, -1
	s_delay_alu instid0(VALU_DEP_2) | instskip(NEXT) | instid1(VALU_DEP_1)
	v_lshlrev_b64 v[4:5], 3, v[4:5]
	v_add_co_u32 v4, s0, s4, v4
	s_delay_alu instid0(VALU_DEP_1)
	v_add_co_ci_u32_e64 v5, s0, s5, v5, s0
	s_mov_b32 s0, exec_lo
	v_cmpx_ne_u64_e32 0, v[6:7]
	s_cbranch_execz .LBB161_9
; %bb.6:                                ;   in Loop: Header=BB161_4 Depth=1
	global_load_b64 v[10:11], v[4:5], off
	s_mov_b32 s16, 0
	s_mov_b32 s17, exec_lo
                                        ; implicit-def: $vgpr8_vgpr9
	s_waitcnt vmcnt(0)
	v_cmpx_o_f64_e32 v[10:11], v[10:11]
	s_cbranch_execz .LBB161_8
; %bb.7:                                ;   in Loop: Header=BB161_4 Depth=1
	v_cvt_f64_u32_e32 v[7:8], v7
	v_cvt_f64_u32_e32 v[12:13], v6
	s_mov_b32 s16, exec_lo
	s_delay_alu instid0(VALU_DEP_2) | instskip(NEXT) | instid1(VALU_DEP_1)
	v_ldexp_f64 v[6:7], v[7:8], 32
	v_add_f64 v[6:7], v[6:7], v[12:13]
	s_delay_alu instid0(VALU_DEP_1) | instskip(NEXT) | instid1(VALU_DEP_1)
	v_div_scale_f64 v[8:9], null, v[6:7], v[6:7], v[10:11]
	v_rcp_f64_e32 v[12:13], v[8:9]
	s_waitcnt_depctr 0xfff
	v_fma_f64 v[14:15], -v[8:9], v[12:13], 1.0
	s_delay_alu instid0(VALU_DEP_1) | instskip(NEXT) | instid1(VALU_DEP_1)
	v_fma_f64 v[12:13], v[12:13], v[14:15], v[12:13]
	v_fma_f64 v[14:15], -v[8:9], v[12:13], 1.0
	s_delay_alu instid0(VALU_DEP_1) | instskip(SKIP_1) | instid1(VALU_DEP_1)
	v_fma_f64 v[12:13], v[12:13], v[14:15], v[12:13]
	v_div_scale_f64 v[14:15], vcc_lo, v[10:11], v[6:7], v[10:11]
	v_mul_f64 v[16:17], v[14:15], v[12:13]
	s_delay_alu instid0(VALU_DEP_1) | instskip(NEXT) | instid1(VALU_DEP_1)
	v_fma_f64 v[8:9], -v[8:9], v[16:17], v[14:15]
	v_div_fmas_f64 v[8:9], v[8:9], v[12:13], v[16:17]
	s_delay_alu instid0(VALU_DEP_1)
	v_div_fixup_f64 v[8:9], v[8:9], v[6:7], v[10:11]
.LBB161_8:                              ;   in Loop: Header=BB161_4 Depth=1
	s_or_b32 exec_lo, exec_lo, s17
	s_delay_alu instid0(SALU_CYCLE_1)
	s_or_not1_b32 s16, s16, exec_lo
.LBB161_9:                              ;   in Loop: Header=BB161_4 Depth=1
	s_or_b32 exec_lo, exec_lo, s0
	s_and_saveexec_b32 s0, s16
	s_cbranch_execz .LBB161_2
; %bb.10:                               ;   in Loop: Header=BB161_4 Depth=1
	global_store_b64 v[4:5], v[8:9], off
	s_branch .LBB161_2
.LBB161_11:
	s_or_b32 exec_lo, exec_lo, s1
	s_and_saveexec_b32 s0, s11
	s_delay_alu instid0(SALU_CYCLE_1)
	s_xor_b32 s0, exec_lo, s0
	s_cbranch_execnz .LBB161_13
.LBB161_12:
	s_nop 0
	s_sendmsg sendmsg(MSG_DEALLOC_VGPRS)
	s_endpgm
.LBB161_13:
	s_cbranch_execnz .LBB161_15
; %bb.14:
	; divergent unreachable
	s_nop 0
	s_sendmsg sendmsg(MSG_DEALLOC_VGPRS)
	s_endpgm
.LBB161_15:
	s_trap 2
	s_sendmsg_rtn_b32 s0, sendmsg(MSG_RTN_GET_DOORBELL)
	s_mov_b32 ttmp2, m0
	s_waitcnt lgkmcnt(0)
	s_and_b32 s0, s0, 0x3ff
	s_delay_alu instid0(SALU_CYCLE_1) | instskip(NEXT) | instid1(SALU_CYCLE_1)
	s_bitset1_b32 s0, 10
	s_mov_b32 m0, s0
	s_sendmsg sendmsg(MSG_INTERRUPT)
	s_mov_b32 m0, ttmp2
.LBB161_16:                             ; =>This Inner Loop Header: Depth=1
	s_sethalt 5
	s_branch .LBB161_16
	.section	.rodata,"a",@progbits
	.p2align	6, 0x0
	.amdhsa_kernel _ZN2at6native12_GLOBAL__N_119post_sum_div_kernelIdlEEvPT_PKT0_lbS3_
		.amdhsa_group_segment_fixed_size 0
		.amdhsa_private_segment_fixed_size 0
		.amdhsa_kernarg_size 296
		.amdhsa_user_sgpr_count 15
		.amdhsa_user_sgpr_dispatch_ptr 0
		.amdhsa_user_sgpr_queue_ptr 0
		.amdhsa_user_sgpr_kernarg_segment_ptr 1
		.amdhsa_user_sgpr_dispatch_id 0
		.amdhsa_user_sgpr_private_segment_size 0
		.amdhsa_wavefront_size32 1
		.amdhsa_uses_dynamic_stack 0
		.amdhsa_enable_private_segment 0
		.amdhsa_system_sgpr_workgroup_id_x 1
		.amdhsa_system_sgpr_workgroup_id_y 0
		.amdhsa_system_sgpr_workgroup_id_z 0
		.amdhsa_system_sgpr_workgroup_info 0
		.amdhsa_system_vgpr_workitem_id 0
		.amdhsa_next_free_vgpr 18
		.amdhsa_next_free_sgpr 18
		.amdhsa_reserve_vcc 1
		.amdhsa_float_round_mode_32 0
		.amdhsa_float_round_mode_16_64 0
		.amdhsa_float_denorm_mode_32 3
		.amdhsa_float_denorm_mode_16_64 3
		.amdhsa_dx10_clamp 1
		.amdhsa_ieee_mode 1
		.amdhsa_fp16_overflow 0
		.amdhsa_workgroup_processor_mode 1
		.amdhsa_memory_ordered 1
		.amdhsa_forward_progress 0
		.amdhsa_shared_vgpr_count 0
		.amdhsa_exception_fp_ieee_invalid_op 0
		.amdhsa_exception_fp_denorm_src 0
		.amdhsa_exception_fp_ieee_div_zero 0
		.amdhsa_exception_fp_ieee_overflow 0
		.amdhsa_exception_fp_ieee_underflow 0
		.amdhsa_exception_fp_ieee_inexact 0
		.amdhsa_exception_int_div_zero 0
	.end_amdhsa_kernel
	.section	.text._ZN2at6native12_GLOBAL__N_119post_sum_div_kernelIdlEEvPT_PKT0_lbS3_,"axG",@progbits,_ZN2at6native12_GLOBAL__N_119post_sum_div_kernelIdlEEvPT_PKT0_lbS3_,comdat
.Lfunc_end161:
	.size	_ZN2at6native12_GLOBAL__N_119post_sum_div_kernelIdlEEvPT_PKT0_lbS3_, .Lfunc_end161-_ZN2at6native12_GLOBAL__N_119post_sum_div_kernelIdlEEvPT_PKT0_lbS3_
                                        ; -- End function
	.section	.AMDGPU.csdata,"",@progbits
; Kernel info:
; codeLenInByte = 676
; NumSgprs: 20
; NumVgprs: 18
; ScratchSize: 0
; MemoryBound: 0
; FloatMode: 240
; IeeeMode: 1
; LDSByteSize: 0 bytes/workgroup (compile time only)
; SGPRBlocks: 2
; VGPRBlocks: 2
; NumSGPRsForWavesPerEU: 20
; NumVGPRsForWavesPerEU: 18
; Occupancy: 16
; WaveLimiterHint : 0
; COMPUTE_PGM_RSRC2:SCRATCH_EN: 0
; COMPUTE_PGM_RSRC2:USER_SGPR: 15
; COMPUTE_PGM_RSRC2:TRAP_HANDLER: 0
; COMPUTE_PGM_RSRC2:TGID_X_EN: 1
; COMPUTE_PGM_RSRC2:TGID_Y_EN: 0
; COMPUTE_PGM_RSRC2:TGID_Z_EN: 0
; COMPUTE_PGM_RSRC2:TIDIG_COMP_CNT: 0
	.section	.text._ZN7rocprim17ROCPRIM_400000_NS6detail17trampoline_kernelINS0_14default_configENS1_32segmented_reduce_config_selectorIdEEZNS1_21segmented_reduce_implIS3_PKdPdPKldN6hipcub16HIPCUB_304000_NS6detail27convert_result_type_wrapperIS8_S9_N2at6native12_GLOBAL__N_19CustomMinEEEEE10hipError_tPvRmT0_T1_jT2_SQ_T4_T3_P12ihipStream_tbEUlT_E_NS1_11comp_targetILNS1_3genE0ELNS1_11target_archE4294967295ELNS1_3gpuE0ELNS1_3repE0EEENS1_30default_config_static_selectorELNS0_4arch9wavefront6targetE0EEEvSP_,"axG",@progbits,_ZN7rocprim17ROCPRIM_400000_NS6detail17trampoline_kernelINS0_14default_configENS1_32segmented_reduce_config_selectorIdEEZNS1_21segmented_reduce_implIS3_PKdPdPKldN6hipcub16HIPCUB_304000_NS6detail27convert_result_type_wrapperIS8_S9_N2at6native12_GLOBAL__N_19CustomMinEEEEE10hipError_tPvRmT0_T1_jT2_SQ_T4_T3_P12ihipStream_tbEUlT_E_NS1_11comp_targetILNS1_3genE0ELNS1_11target_archE4294967295ELNS1_3gpuE0ELNS1_3repE0EEENS1_30default_config_static_selectorELNS0_4arch9wavefront6targetE0EEEvSP_,comdat
	.globl	_ZN7rocprim17ROCPRIM_400000_NS6detail17trampoline_kernelINS0_14default_configENS1_32segmented_reduce_config_selectorIdEEZNS1_21segmented_reduce_implIS3_PKdPdPKldN6hipcub16HIPCUB_304000_NS6detail27convert_result_type_wrapperIS8_S9_N2at6native12_GLOBAL__N_19CustomMinEEEEE10hipError_tPvRmT0_T1_jT2_SQ_T4_T3_P12ihipStream_tbEUlT_E_NS1_11comp_targetILNS1_3genE0ELNS1_11target_archE4294967295ELNS1_3gpuE0ELNS1_3repE0EEENS1_30default_config_static_selectorELNS0_4arch9wavefront6targetE0EEEvSP_ ; -- Begin function _ZN7rocprim17ROCPRIM_400000_NS6detail17trampoline_kernelINS0_14default_configENS1_32segmented_reduce_config_selectorIdEEZNS1_21segmented_reduce_implIS3_PKdPdPKldN6hipcub16HIPCUB_304000_NS6detail27convert_result_type_wrapperIS8_S9_N2at6native12_GLOBAL__N_19CustomMinEEEEE10hipError_tPvRmT0_T1_jT2_SQ_T4_T3_P12ihipStream_tbEUlT_E_NS1_11comp_targetILNS1_3genE0ELNS1_11target_archE4294967295ELNS1_3gpuE0ELNS1_3repE0EEENS1_30default_config_static_selectorELNS0_4arch9wavefront6targetE0EEEvSP_
	.p2align	8
	.type	_ZN7rocprim17ROCPRIM_400000_NS6detail17trampoline_kernelINS0_14default_configENS1_32segmented_reduce_config_selectorIdEEZNS1_21segmented_reduce_implIS3_PKdPdPKldN6hipcub16HIPCUB_304000_NS6detail27convert_result_type_wrapperIS8_S9_N2at6native12_GLOBAL__N_19CustomMinEEEEE10hipError_tPvRmT0_T1_jT2_SQ_T4_T3_P12ihipStream_tbEUlT_E_NS1_11comp_targetILNS1_3genE0ELNS1_11target_archE4294967295ELNS1_3gpuE0ELNS1_3repE0EEENS1_30default_config_static_selectorELNS0_4arch9wavefront6targetE0EEEvSP_,@function
_ZN7rocprim17ROCPRIM_400000_NS6detail17trampoline_kernelINS0_14default_configENS1_32segmented_reduce_config_selectorIdEEZNS1_21segmented_reduce_implIS3_PKdPdPKldN6hipcub16HIPCUB_304000_NS6detail27convert_result_type_wrapperIS8_S9_N2at6native12_GLOBAL__N_19CustomMinEEEEE10hipError_tPvRmT0_T1_jT2_SQ_T4_T3_P12ihipStream_tbEUlT_E_NS1_11comp_targetILNS1_3genE0ELNS1_11target_archE4294967295ELNS1_3gpuE0ELNS1_3repE0EEENS1_30default_config_static_selectorELNS0_4arch9wavefront6targetE0EEEvSP_: ; @_ZN7rocprim17ROCPRIM_400000_NS6detail17trampoline_kernelINS0_14default_configENS1_32segmented_reduce_config_selectorIdEEZNS1_21segmented_reduce_implIS3_PKdPdPKldN6hipcub16HIPCUB_304000_NS6detail27convert_result_type_wrapperIS8_S9_N2at6native12_GLOBAL__N_19CustomMinEEEEE10hipError_tPvRmT0_T1_jT2_SQ_T4_T3_P12ihipStream_tbEUlT_E_NS1_11comp_targetILNS1_3genE0ELNS1_11target_archE4294967295ELNS1_3gpuE0ELNS1_3repE0EEENS1_30default_config_static_selectorELNS0_4arch9wavefront6targetE0EEEvSP_
; %bb.0:
	.section	.rodata,"a",@progbits
	.p2align	6, 0x0
	.amdhsa_kernel _ZN7rocprim17ROCPRIM_400000_NS6detail17trampoline_kernelINS0_14default_configENS1_32segmented_reduce_config_selectorIdEEZNS1_21segmented_reduce_implIS3_PKdPdPKldN6hipcub16HIPCUB_304000_NS6detail27convert_result_type_wrapperIS8_S9_N2at6native12_GLOBAL__N_19CustomMinEEEEE10hipError_tPvRmT0_T1_jT2_SQ_T4_T3_P12ihipStream_tbEUlT_E_NS1_11comp_targetILNS1_3genE0ELNS1_11target_archE4294967295ELNS1_3gpuE0ELNS1_3repE0EEENS1_30default_config_static_selectorELNS0_4arch9wavefront6targetE0EEEvSP_
		.amdhsa_group_segment_fixed_size 0
		.amdhsa_private_segment_fixed_size 0
		.amdhsa_kernarg_size 56
		.amdhsa_user_sgpr_count 15
		.amdhsa_user_sgpr_dispatch_ptr 0
		.amdhsa_user_sgpr_queue_ptr 0
		.amdhsa_user_sgpr_kernarg_segment_ptr 1
		.amdhsa_user_sgpr_dispatch_id 0
		.amdhsa_user_sgpr_private_segment_size 0
		.amdhsa_wavefront_size32 1
		.amdhsa_uses_dynamic_stack 0
		.amdhsa_enable_private_segment 0
		.amdhsa_system_sgpr_workgroup_id_x 1
		.amdhsa_system_sgpr_workgroup_id_y 0
		.amdhsa_system_sgpr_workgroup_id_z 0
		.amdhsa_system_sgpr_workgroup_info 0
		.amdhsa_system_vgpr_workitem_id 0
		.amdhsa_next_free_vgpr 1
		.amdhsa_next_free_sgpr 1
		.amdhsa_reserve_vcc 0
		.amdhsa_float_round_mode_32 0
		.amdhsa_float_round_mode_16_64 0
		.amdhsa_float_denorm_mode_32 3
		.amdhsa_float_denorm_mode_16_64 3
		.amdhsa_dx10_clamp 1
		.amdhsa_ieee_mode 1
		.amdhsa_fp16_overflow 0
		.amdhsa_workgroup_processor_mode 1
		.amdhsa_memory_ordered 1
		.amdhsa_forward_progress 0
		.amdhsa_shared_vgpr_count 0
		.amdhsa_exception_fp_ieee_invalid_op 0
		.amdhsa_exception_fp_denorm_src 0
		.amdhsa_exception_fp_ieee_div_zero 0
		.amdhsa_exception_fp_ieee_overflow 0
		.amdhsa_exception_fp_ieee_underflow 0
		.amdhsa_exception_fp_ieee_inexact 0
		.amdhsa_exception_int_div_zero 0
	.end_amdhsa_kernel
	.section	.text._ZN7rocprim17ROCPRIM_400000_NS6detail17trampoline_kernelINS0_14default_configENS1_32segmented_reduce_config_selectorIdEEZNS1_21segmented_reduce_implIS3_PKdPdPKldN6hipcub16HIPCUB_304000_NS6detail27convert_result_type_wrapperIS8_S9_N2at6native12_GLOBAL__N_19CustomMinEEEEE10hipError_tPvRmT0_T1_jT2_SQ_T4_T3_P12ihipStream_tbEUlT_E_NS1_11comp_targetILNS1_3genE0ELNS1_11target_archE4294967295ELNS1_3gpuE0ELNS1_3repE0EEENS1_30default_config_static_selectorELNS0_4arch9wavefront6targetE0EEEvSP_,"axG",@progbits,_ZN7rocprim17ROCPRIM_400000_NS6detail17trampoline_kernelINS0_14default_configENS1_32segmented_reduce_config_selectorIdEEZNS1_21segmented_reduce_implIS3_PKdPdPKldN6hipcub16HIPCUB_304000_NS6detail27convert_result_type_wrapperIS8_S9_N2at6native12_GLOBAL__N_19CustomMinEEEEE10hipError_tPvRmT0_T1_jT2_SQ_T4_T3_P12ihipStream_tbEUlT_E_NS1_11comp_targetILNS1_3genE0ELNS1_11target_archE4294967295ELNS1_3gpuE0ELNS1_3repE0EEENS1_30default_config_static_selectorELNS0_4arch9wavefront6targetE0EEEvSP_,comdat
.Lfunc_end162:
	.size	_ZN7rocprim17ROCPRIM_400000_NS6detail17trampoline_kernelINS0_14default_configENS1_32segmented_reduce_config_selectorIdEEZNS1_21segmented_reduce_implIS3_PKdPdPKldN6hipcub16HIPCUB_304000_NS6detail27convert_result_type_wrapperIS8_S9_N2at6native12_GLOBAL__N_19CustomMinEEEEE10hipError_tPvRmT0_T1_jT2_SQ_T4_T3_P12ihipStream_tbEUlT_E_NS1_11comp_targetILNS1_3genE0ELNS1_11target_archE4294967295ELNS1_3gpuE0ELNS1_3repE0EEENS1_30default_config_static_selectorELNS0_4arch9wavefront6targetE0EEEvSP_, .Lfunc_end162-_ZN7rocprim17ROCPRIM_400000_NS6detail17trampoline_kernelINS0_14default_configENS1_32segmented_reduce_config_selectorIdEEZNS1_21segmented_reduce_implIS3_PKdPdPKldN6hipcub16HIPCUB_304000_NS6detail27convert_result_type_wrapperIS8_S9_N2at6native12_GLOBAL__N_19CustomMinEEEEE10hipError_tPvRmT0_T1_jT2_SQ_T4_T3_P12ihipStream_tbEUlT_E_NS1_11comp_targetILNS1_3genE0ELNS1_11target_archE4294967295ELNS1_3gpuE0ELNS1_3repE0EEENS1_30default_config_static_selectorELNS0_4arch9wavefront6targetE0EEEvSP_
                                        ; -- End function
	.section	.AMDGPU.csdata,"",@progbits
; Kernel info:
; codeLenInByte = 0
; NumSgprs: 0
; NumVgprs: 0
; ScratchSize: 0
; MemoryBound: 0
; FloatMode: 240
; IeeeMode: 1
; LDSByteSize: 0 bytes/workgroup (compile time only)
; SGPRBlocks: 0
; VGPRBlocks: 0
; NumSGPRsForWavesPerEU: 1
; NumVGPRsForWavesPerEU: 1
; Occupancy: 16
; WaveLimiterHint : 0
; COMPUTE_PGM_RSRC2:SCRATCH_EN: 0
; COMPUTE_PGM_RSRC2:USER_SGPR: 15
; COMPUTE_PGM_RSRC2:TRAP_HANDLER: 0
; COMPUTE_PGM_RSRC2:TGID_X_EN: 1
; COMPUTE_PGM_RSRC2:TGID_Y_EN: 0
; COMPUTE_PGM_RSRC2:TGID_Z_EN: 0
; COMPUTE_PGM_RSRC2:TIDIG_COMP_CNT: 0
	.section	.text._ZN7rocprim17ROCPRIM_400000_NS6detail17trampoline_kernelINS0_14default_configENS1_32segmented_reduce_config_selectorIdEEZNS1_21segmented_reduce_implIS3_PKdPdPKldN6hipcub16HIPCUB_304000_NS6detail27convert_result_type_wrapperIS8_S9_N2at6native12_GLOBAL__N_19CustomMinEEEEE10hipError_tPvRmT0_T1_jT2_SQ_T4_T3_P12ihipStream_tbEUlT_E_NS1_11comp_targetILNS1_3genE5ELNS1_11target_archE942ELNS1_3gpuE9ELNS1_3repE0EEENS1_30default_config_static_selectorELNS0_4arch9wavefront6targetE0EEEvSP_,"axG",@progbits,_ZN7rocprim17ROCPRIM_400000_NS6detail17trampoline_kernelINS0_14default_configENS1_32segmented_reduce_config_selectorIdEEZNS1_21segmented_reduce_implIS3_PKdPdPKldN6hipcub16HIPCUB_304000_NS6detail27convert_result_type_wrapperIS8_S9_N2at6native12_GLOBAL__N_19CustomMinEEEEE10hipError_tPvRmT0_T1_jT2_SQ_T4_T3_P12ihipStream_tbEUlT_E_NS1_11comp_targetILNS1_3genE5ELNS1_11target_archE942ELNS1_3gpuE9ELNS1_3repE0EEENS1_30default_config_static_selectorELNS0_4arch9wavefront6targetE0EEEvSP_,comdat
	.globl	_ZN7rocprim17ROCPRIM_400000_NS6detail17trampoline_kernelINS0_14default_configENS1_32segmented_reduce_config_selectorIdEEZNS1_21segmented_reduce_implIS3_PKdPdPKldN6hipcub16HIPCUB_304000_NS6detail27convert_result_type_wrapperIS8_S9_N2at6native12_GLOBAL__N_19CustomMinEEEEE10hipError_tPvRmT0_T1_jT2_SQ_T4_T3_P12ihipStream_tbEUlT_E_NS1_11comp_targetILNS1_3genE5ELNS1_11target_archE942ELNS1_3gpuE9ELNS1_3repE0EEENS1_30default_config_static_selectorELNS0_4arch9wavefront6targetE0EEEvSP_ ; -- Begin function _ZN7rocprim17ROCPRIM_400000_NS6detail17trampoline_kernelINS0_14default_configENS1_32segmented_reduce_config_selectorIdEEZNS1_21segmented_reduce_implIS3_PKdPdPKldN6hipcub16HIPCUB_304000_NS6detail27convert_result_type_wrapperIS8_S9_N2at6native12_GLOBAL__N_19CustomMinEEEEE10hipError_tPvRmT0_T1_jT2_SQ_T4_T3_P12ihipStream_tbEUlT_E_NS1_11comp_targetILNS1_3genE5ELNS1_11target_archE942ELNS1_3gpuE9ELNS1_3repE0EEENS1_30default_config_static_selectorELNS0_4arch9wavefront6targetE0EEEvSP_
	.p2align	8
	.type	_ZN7rocprim17ROCPRIM_400000_NS6detail17trampoline_kernelINS0_14default_configENS1_32segmented_reduce_config_selectorIdEEZNS1_21segmented_reduce_implIS3_PKdPdPKldN6hipcub16HIPCUB_304000_NS6detail27convert_result_type_wrapperIS8_S9_N2at6native12_GLOBAL__N_19CustomMinEEEEE10hipError_tPvRmT0_T1_jT2_SQ_T4_T3_P12ihipStream_tbEUlT_E_NS1_11comp_targetILNS1_3genE5ELNS1_11target_archE942ELNS1_3gpuE9ELNS1_3repE0EEENS1_30default_config_static_selectorELNS0_4arch9wavefront6targetE0EEEvSP_,@function
_ZN7rocprim17ROCPRIM_400000_NS6detail17trampoline_kernelINS0_14default_configENS1_32segmented_reduce_config_selectorIdEEZNS1_21segmented_reduce_implIS3_PKdPdPKldN6hipcub16HIPCUB_304000_NS6detail27convert_result_type_wrapperIS8_S9_N2at6native12_GLOBAL__N_19CustomMinEEEEE10hipError_tPvRmT0_T1_jT2_SQ_T4_T3_P12ihipStream_tbEUlT_E_NS1_11comp_targetILNS1_3genE5ELNS1_11target_archE942ELNS1_3gpuE9ELNS1_3repE0EEENS1_30default_config_static_selectorELNS0_4arch9wavefront6targetE0EEEvSP_: ; @_ZN7rocprim17ROCPRIM_400000_NS6detail17trampoline_kernelINS0_14default_configENS1_32segmented_reduce_config_selectorIdEEZNS1_21segmented_reduce_implIS3_PKdPdPKldN6hipcub16HIPCUB_304000_NS6detail27convert_result_type_wrapperIS8_S9_N2at6native12_GLOBAL__N_19CustomMinEEEEE10hipError_tPvRmT0_T1_jT2_SQ_T4_T3_P12ihipStream_tbEUlT_E_NS1_11comp_targetILNS1_3genE5ELNS1_11target_archE942ELNS1_3gpuE9ELNS1_3repE0EEENS1_30default_config_static_selectorELNS0_4arch9wavefront6targetE0EEEvSP_
; %bb.0:
	.section	.rodata,"a",@progbits
	.p2align	6, 0x0
	.amdhsa_kernel _ZN7rocprim17ROCPRIM_400000_NS6detail17trampoline_kernelINS0_14default_configENS1_32segmented_reduce_config_selectorIdEEZNS1_21segmented_reduce_implIS3_PKdPdPKldN6hipcub16HIPCUB_304000_NS6detail27convert_result_type_wrapperIS8_S9_N2at6native12_GLOBAL__N_19CustomMinEEEEE10hipError_tPvRmT0_T1_jT2_SQ_T4_T3_P12ihipStream_tbEUlT_E_NS1_11comp_targetILNS1_3genE5ELNS1_11target_archE942ELNS1_3gpuE9ELNS1_3repE0EEENS1_30default_config_static_selectorELNS0_4arch9wavefront6targetE0EEEvSP_
		.amdhsa_group_segment_fixed_size 0
		.amdhsa_private_segment_fixed_size 0
		.amdhsa_kernarg_size 56
		.amdhsa_user_sgpr_count 15
		.amdhsa_user_sgpr_dispatch_ptr 0
		.amdhsa_user_sgpr_queue_ptr 0
		.amdhsa_user_sgpr_kernarg_segment_ptr 1
		.amdhsa_user_sgpr_dispatch_id 0
		.amdhsa_user_sgpr_private_segment_size 0
		.amdhsa_wavefront_size32 1
		.amdhsa_uses_dynamic_stack 0
		.amdhsa_enable_private_segment 0
		.amdhsa_system_sgpr_workgroup_id_x 1
		.amdhsa_system_sgpr_workgroup_id_y 0
		.amdhsa_system_sgpr_workgroup_id_z 0
		.amdhsa_system_sgpr_workgroup_info 0
		.amdhsa_system_vgpr_workitem_id 0
		.amdhsa_next_free_vgpr 1
		.amdhsa_next_free_sgpr 1
		.amdhsa_reserve_vcc 0
		.amdhsa_float_round_mode_32 0
		.amdhsa_float_round_mode_16_64 0
		.amdhsa_float_denorm_mode_32 3
		.amdhsa_float_denorm_mode_16_64 3
		.amdhsa_dx10_clamp 1
		.amdhsa_ieee_mode 1
		.amdhsa_fp16_overflow 0
		.amdhsa_workgroup_processor_mode 1
		.amdhsa_memory_ordered 1
		.amdhsa_forward_progress 0
		.amdhsa_shared_vgpr_count 0
		.amdhsa_exception_fp_ieee_invalid_op 0
		.amdhsa_exception_fp_denorm_src 0
		.amdhsa_exception_fp_ieee_div_zero 0
		.amdhsa_exception_fp_ieee_overflow 0
		.amdhsa_exception_fp_ieee_underflow 0
		.amdhsa_exception_fp_ieee_inexact 0
		.amdhsa_exception_int_div_zero 0
	.end_amdhsa_kernel
	.section	.text._ZN7rocprim17ROCPRIM_400000_NS6detail17trampoline_kernelINS0_14default_configENS1_32segmented_reduce_config_selectorIdEEZNS1_21segmented_reduce_implIS3_PKdPdPKldN6hipcub16HIPCUB_304000_NS6detail27convert_result_type_wrapperIS8_S9_N2at6native12_GLOBAL__N_19CustomMinEEEEE10hipError_tPvRmT0_T1_jT2_SQ_T4_T3_P12ihipStream_tbEUlT_E_NS1_11comp_targetILNS1_3genE5ELNS1_11target_archE942ELNS1_3gpuE9ELNS1_3repE0EEENS1_30default_config_static_selectorELNS0_4arch9wavefront6targetE0EEEvSP_,"axG",@progbits,_ZN7rocprim17ROCPRIM_400000_NS6detail17trampoline_kernelINS0_14default_configENS1_32segmented_reduce_config_selectorIdEEZNS1_21segmented_reduce_implIS3_PKdPdPKldN6hipcub16HIPCUB_304000_NS6detail27convert_result_type_wrapperIS8_S9_N2at6native12_GLOBAL__N_19CustomMinEEEEE10hipError_tPvRmT0_T1_jT2_SQ_T4_T3_P12ihipStream_tbEUlT_E_NS1_11comp_targetILNS1_3genE5ELNS1_11target_archE942ELNS1_3gpuE9ELNS1_3repE0EEENS1_30default_config_static_selectorELNS0_4arch9wavefront6targetE0EEEvSP_,comdat
.Lfunc_end163:
	.size	_ZN7rocprim17ROCPRIM_400000_NS6detail17trampoline_kernelINS0_14default_configENS1_32segmented_reduce_config_selectorIdEEZNS1_21segmented_reduce_implIS3_PKdPdPKldN6hipcub16HIPCUB_304000_NS6detail27convert_result_type_wrapperIS8_S9_N2at6native12_GLOBAL__N_19CustomMinEEEEE10hipError_tPvRmT0_T1_jT2_SQ_T4_T3_P12ihipStream_tbEUlT_E_NS1_11comp_targetILNS1_3genE5ELNS1_11target_archE942ELNS1_3gpuE9ELNS1_3repE0EEENS1_30default_config_static_selectorELNS0_4arch9wavefront6targetE0EEEvSP_, .Lfunc_end163-_ZN7rocprim17ROCPRIM_400000_NS6detail17trampoline_kernelINS0_14default_configENS1_32segmented_reduce_config_selectorIdEEZNS1_21segmented_reduce_implIS3_PKdPdPKldN6hipcub16HIPCUB_304000_NS6detail27convert_result_type_wrapperIS8_S9_N2at6native12_GLOBAL__N_19CustomMinEEEEE10hipError_tPvRmT0_T1_jT2_SQ_T4_T3_P12ihipStream_tbEUlT_E_NS1_11comp_targetILNS1_3genE5ELNS1_11target_archE942ELNS1_3gpuE9ELNS1_3repE0EEENS1_30default_config_static_selectorELNS0_4arch9wavefront6targetE0EEEvSP_
                                        ; -- End function
	.section	.AMDGPU.csdata,"",@progbits
; Kernel info:
; codeLenInByte = 0
; NumSgprs: 0
; NumVgprs: 0
; ScratchSize: 0
; MemoryBound: 0
; FloatMode: 240
; IeeeMode: 1
; LDSByteSize: 0 bytes/workgroup (compile time only)
; SGPRBlocks: 0
; VGPRBlocks: 0
; NumSGPRsForWavesPerEU: 1
; NumVGPRsForWavesPerEU: 1
; Occupancy: 16
; WaveLimiterHint : 0
; COMPUTE_PGM_RSRC2:SCRATCH_EN: 0
; COMPUTE_PGM_RSRC2:USER_SGPR: 15
; COMPUTE_PGM_RSRC2:TRAP_HANDLER: 0
; COMPUTE_PGM_RSRC2:TGID_X_EN: 1
; COMPUTE_PGM_RSRC2:TGID_Y_EN: 0
; COMPUTE_PGM_RSRC2:TGID_Z_EN: 0
; COMPUTE_PGM_RSRC2:TIDIG_COMP_CNT: 0
	.section	.text._ZN7rocprim17ROCPRIM_400000_NS6detail17trampoline_kernelINS0_14default_configENS1_32segmented_reduce_config_selectorIdEEZNS1_21segmented_reduce_implIS3_PKdPdPKldN6hipcub16HIPCUB_304000_NS6detail27convert_result_type_wrapperIS8_S9_N2at6native12_GLOBAL__N_19CustomMinEEEEE10hipError_tPvRmT0_T1_jT2_SQ_T4_T3_P12ihipStream_tbEUlT_E_NS1_11comp_targetILNS1_3genE10ELNS1_11target_archE1201ELNS1_3gpuE5ELNS1_3repE0EEENS1_30default_config_static_selectorELNS0_4arch9wavefront6targetE0EEEvSP_,"axG",@progbits,_ZN7rocprim17ROCPRIM_400000_NS6detail17trampoline_kernelINS0_14default_configENS1_32segmented_reduce_config_selectorIdEEZNS1_21segmented_reduce_implIS3_PKdPdPKldN6hipcub16HIPCUB_304000_NS6detail27convert_result_type_wrapperIS8_S9_N2at6native12_GLOBAL__N_19CustomMinEEEEE10hipError_tPvRmT0_T1_jT2_SQ_T4_T3_P12ihipStream_tbEUlT_E_NS1_11comp_targetILNS1_3genE10ELNS1_11target_archE1201ELNS1_3gpuE5ELNS1_3repE0EEENS1_30default_config_static_selectorELNS0_4arch9wavefront6targetE0EEEvSP_,comdat
	.globl	_ZN7rocprim17ROCPRIM_400000_NS6detail17trampoline_kernelINS0_14default_configENS1_32segmented_reduce_config_selectorIdEEZNS1_21segmented_reduce_implIS3_PKdPdPKldN6hipcub16HIPCUB_304000_NS6detail27convert_result_type_wrapperIS8_S9_N2at6native12_GLOBAL__N_19CustomMinEEEEE10hipError_tPvRmT0_T1_jT2_SQ_T4_T3_P12ihipStream_tbEUlT_E_NS1_11comp_targetILNS1_3genE10ELNS1_11target_archE1201ELNS1_3gpuE5ELNS1_3repE0EEENS1_30default_config_static_selectorELNS0_4arch9wavefront6targetE0EEEvSP_ ; -- Begin function _ZN7rocprim17ROCPRIM_400000_NS6detail17trampoline_kernelINS0_14default_configENS1_32segmented_reduce_config_selectorIdEEZNS1_21segmented_reduce_implIS3_PKdPdPKldN6hipcub16HIPCUB_304000_NS6detail27convert_result_type_wrapperIS8_S9_N2at6native12_GLOBAL__N_19CustomMinEEEEE10hipError_tPvRmT0_T1_jT2_SQ_T4_T3_P12ihipStream_tbEUlT_E_NS1_11comp_targetILNS1_3genE10ELNS1_11target_archE1201ELNS1_3gpuE5ELNS1_3repE0EEENS1_30default_config_static_selectorELNS0_4arch9wavefront6targetE0EEEvSP_
	.p2align	8
	.type	_ZN7rocprim17ROCPRIM_400000_NS6detail17trampoline_kernelINS0_14default_configENS1_32segmented_reduce_config_selectorIdEEZNS1_21segmented_reduce_implIS3_PKdPdPKldN6hipcub16HIPCUB_304000_NS6detail27convert_result_type_wrapperIS8_S9_N2at6native12_GLOBAL__N_19CustomMinEEEEE10hipError_tPvRmT0_T1_jT2_SQ_T4_T3_P12ihipStream_tbEUlT_E_NS1_11comp_targetILNS1_3genE10ELNS1_11target_archE1201ELNS1_3gpuE5ELNS1_3repE0EEENS1_30default_config_static_selectorELNS0_4arch9wavefront6targetE0EEEvSP_,@function
_ZN7rocprim17ROCPRIM_400000_NS6detail17trampoline_kernelINS0_14default_configENS1_32segmented_reduce_config_selectorIdEEZNS1_21segmented_reduce_implIS3_PKdPdPKldN6hipcub16HIPCUB_304000_NS6detail27convert_result_type_wrapperIS8_S9_N2at6native12_GLOBAL__N_19CustomMinEEEEE10hipError_tPvRmT0_T1_jT2_SQ_T4_T3_P12ihipStream_tbEUlT_E_NS1_11comp_targetILNS1_3genE10ELNS1_11target_archE1201ELNS1_3gpuE5ELNS1_3repE0EEENS1_30default_config_static_selectorELNS0_4arch9wavefront6targetE0EEEvSP_: ; @_ZN7rocprim17ROCPRIM_400000_NS6detail17trampoline_kernelINS0_14default_configENS1_32segmented_reduce_config_selectorIdEEZNS1_21segmented_reduce_implIS3_PKdPdPKldN6hipcub16HIPCUB_304000_NS6detail27convert_result_type_wrapperIS8_S9_N2at6native12_GLOBAL__N_19CustomMinEEEEE10hipError_tPvRmT0_T1_jT2_SQ_T4_T3_P12ihipStream_tbEUlT_E_NS1_11comp_targetILNS1_3genE10ELNS1_11target_archE1201ELNS1_3gpuE5ELNS1_3repE0EEENS1_30default_config_static_selectorELNS0_4arch9wavefront6targetE0EEEvSP_
; %bb.0:
	.section	.rodata,"a",@progbits
	.p2align	6, 0x0
	.amdhsa_kernel _ZN7rocprim17ROCPRIM_400000_NS6detail17trampoline_kernelINS0_14default_configENS1_32segmented_reduce_config_selectorIdEEZNS1_21segmented_reduce_implIS3_PKdPdPKldN6hipcub16HIPCUB_304000_NS6detail27convert_result_type_wrapperIS8_S9_N2at6native12_GLOBAL__N_19CustomMinEEEEE10hipError_tPvRmT0_T1_jT2_SQ_T4_T3_P12ihipStream_tbEUlT_E_NS1_11comp_targetILNS1_3genE10ELNS1_11target_archE1201ELNS1_3gpuE5ELNS1_3repE0EEENS1_30default_config_static_selectorELNS0_4arch9wavefront6targetE0EEEvSP_
		.amdhsa_group_segment_fixed_size 0
		.amdhsa_private_segment_fixed_size 0
		.amdhsa_kernarg_size 56
		.amdhsa_user_sgpr_count 15
		.amdhsa_user_sgpr_dispatch_ptr 0
		.amdhsa_user_sgpr_queue_ptr 0
		.amdhsa_user_sgpr_kernarg_segment_ptr 1
		.amdhsa_user_sgpr_dispatch_id 0
		.amdhsa_user_sgpr_private_segment_size 0
		.amdhsa_wavefront_size32 1
		.amdhsa_uses_dynamic_stack 0
		.amdhsa_enable_private_segment 0
		.amdhsa_system_sgpr_workgroup_id_x 1
		.amdhsa_system_sgpr_workgroup_id_y 0
		.amdhsa_system_sgpr_workgroup_id_z 0
		.amdhsa_system_sgpr_workgroup_info 0
		.amdhsa_system_vgpr_workitem_id 0
		.amdhsa_next_free_vgpr 1
		.amdhsa_next_free_sgpr 1
		.amdhsa_reserve_vcc 0
		.amdhsa_float_round_mode_32 0
		.amdhsa_float_round_mode_16_64 0
		.amdhsa_float_denorm_mode_32 3
		.amdhsa_float_denorm_mode_16_64 3
		.amdhsa_dx10_clamp 1
		.amdhsa_ieee_mode 1
		.amdhsa_fp16_overflow 0
		.amdhsa_workgroup_processor_mode 1
		.amdhsa_memory_ordered 1
		.amdhsa_forward_progress 0
		.amdhsa_shared_vgpr_count 0
		.amdhsa_exception_fp_ieee_invalid_op 0
		.amdhsa_exception_fp_denorm_src 0
		.amdhsa_exception_fp_ieee_div_zero 0
		.amdhsa_exception_fp_ieee_overflow 0
		.amdhsa_exception_fp_ieee_underflow 0
		.amdhsa_exception_fp_ieee_inexact 0
		.amdhsa_exception_int_div_zero 0
	.end_amdhsa_kernel
	.section	.text._ZN7rocprim17ROCPRIM_400000_NS6detail17trampoline_kernelINS0_14default_configENS1_32segmented_reduce_config_selectorIdEEZNS1_21segmented_reduce_implIS3_PKdPdPKldN6hipcub16HIPCUB_304000_NS6detail27convert_result_type_wrapperIS8_S9_N2at6native12_GLOBAL__N_19CustomMinEEEEE10hipError_tPvRmT0_T1_jT2_SQ_T4_T3_P12ihipStream_tbEUlT_E_NS1_11comp_targetILNS1_3genE10ELNS1_11target_archE1201ELNS1_3gpuE5ELNS1_3repE0EEENS1_30default_config_static_selectorELNS0_4arch9wavefront6targetE0EEEvSP_,"axG",@progbits,_ZN7rocprim17ROCPRIM_400000_NS6detail17trampoline_kernelINS0_14default_configENS1_32segmented_reduce_config_selectorIdEEZNS1_21segmented_reduce_implIS3_PKdPdPKldN6hipcub16HIPCUB_304000_NS6detail27convert_result_type_wrapperIS8_S9_N2at6native12_GLOBAL__N_19CustomMinEEEEE10hipError_tPvRmT0_T1_jT2_SQ_T4_T3_P12ihipStream_tbEUlT_E_NS1_11comp_targetILNS1_3genE10ELNS1_11target_archE1201ELNS1_3gpuE5ELNS1_3repE0EEENS1_30default_config_static_selectorELNS0_4arch9wavefront6targetE0EEEvSP_,comdat
.Lfunc_end164:
	.size	_ZN7rocprim17ROCPRIM_400000_NS6detail17trampoline_kernelINS0_14default_configENS1_32segmented_reduce_config_selectorIdEEZNS1_21segmented_reduce_implIS3_PKdPdPKldN6hipcub16HIPCUB_304000_NS6detail27convert_result_type_wrapperIS8_S9_N2at6native12_GLOBAL__N_19CustomMinEEEEE10hipError_tPvRmT0_T1_jT2_SQ_T4_T3_P12ihipStream_tbEUlT_E_NS1_11comp_targetILNS1_3genE10ELNS1_11target_archE1201ELNS1_3gpuE5ELNS1_3repE0EEENS1_30default_config_static_selectorELNS0_4arch9wavefront6targetE0EEEvSP_, .Lfunc_end164-_ZN7rocprim17ROCPRIM_400000_NS6detail17trampoline_kernelINS0_14default_configENS1_32segmented_reduce_config_selectorIdEEZNS1_21segmented_reduce_implIS3_PKdPdPKldN6hipcub16HIPCUB_304000_NS6detail27convert_result_type_wrapperIS8_S9_N2at6native12_GLOBAL__N_19CustomMinEEEEE10hipError_tPvRmT0_T1_jT2_SQ_T4_T3_P12ihipStream_tbEUlT_E_NS1_11comp_targetILNS1_3genE10ELNS1_11target_archE1201ELNS1_3gpuE5ELNS1_3repE0EEENS1_30default_config_static_selectorELNS0_4arch9wavefront6targetE0EEEvSP_
                                        ; -- End function
	.section	.AMDGPU.csdata,"",@progbits
; Kernel info:
; codeLenInByte = 0
; NumSgprs: 0
; NumVgprs: 0
; ScratchSize: 0
; MemoryBound: 0
; FloatMode: 240
; IeeeMode: 1
; LDSByteSize: 0 bytes/workgroup (compile time only)
; SGPRBlocks: 0
; VGPRBlocks: 0
; NumSGPRsForWavesPerEU: 1
; NumVGPRsForWavesPerEU: 1
; Occupancy: 16
; WaveLimiterHint : 0
; COMPUTE_PGM_RSRC2:SCRATCH_EN: 0
; COMPUTE_PGM_RSRC2:USER_SGPR: 15
; COMPUTE_PGM_RSRC2:TRAP_HANDLER: 0
; COMPUTE_PGM_RSRC2:TGID_X_EN: 1
; COMPUTE_PGM_RSRC2:TGID_Y_EN: 0
; COMPUTE_PGM_RSRC2:TGID_Z_EN: 0
; COMPUTE_PGM_RSRC2:TIDIG_COMP_CNT: 0
	.section	.text._ZN7rocprim17ROCPRIM_400000_NS6detail17trampoline_kernelINS0_14default_configENS1_32segmented_reduce_config_selectorIdEEZNS1_21segmented_reduce_implIS3_PKdPdPKldN6hipcub16HIPCUB_304000_NS6detail27convert_result_type_wrapperIS8_S9_N2at6native12_GLOBAL__N_19CustomMinEEEEE10hipError_tPvRmT0_T1_jT2_SQ_T4_T3_P12ihipStream_tbEUlT_E_NS1_11comp_targetILNS1_3genE4ELNS1_11target_archE910ELNS1_3gpuE8ELNS1_3repE0EEENS1_30default_config_static_selectorELNS0_4arch9wavefront6targetE0EEEvSP_,"axG",@progbits,_ZN7rocprim17ROCPRIM_400000_NS6detail17trampoline_kernelINS0_14default_configENS1_32segmented_reduce_config_selectorIdEEZNS1_21segmented_reduce_implIS3_PKdPdPKldN6hipcub16HIPCUB_304000_NS6detail27convert_result_type_wrapperIS8_S9_N2at6native12_GLOBAL__N_19CustomMinEEEEE10hipError_tPvRmT0_T1_jT2_SQ_T4_T3_P12ihipStream_tbEUlT_E_NS1_11comp_targetILNS1_3genE4ELNS1_11target_archE910ELNS1_3gpuE8ELNS1_3repE0EEENS1_30default_config_static_selectorELNS0_4arch9wavefront6targetE0EEEvSP_,comdat
	.globl	_ZN7rocprim17ROCPRIM_400000_NS6detail17trampoline_kernelINS0_14default_configENS1_32segmented_reduce_config_selectorIdEEZNS1_21segmented_reduce_implIS3_PKdPdPKldN6hipcub16HIPCUB_304000_NS6detail27convert_result_type_wrapperIS8_S9_N2at6native12_GLOBAL__N_19CustomMinEEEEE10hipError_tPvRmT0_T1_jT2_SQ_T4_T3_P12ihipStream_tbEUlT_E_NS1_11comp_targetILNS1_3genE4ELNS1_11target_archE910ELNS1_3gpuE8ELNS1_3repE0EEENS1_30default_config_static_selectorELNS0_4arch9wavefront6targetE0EEEvSP_ ; -- Begin function _ZN7rocprim17ROCPRIM_400000_NS6detail17trampoline_kernelINS0_14default_configENS1_32segmented_reduce_config_selectorIdEEZNS1_21segmented_reduce_implIS3_PKdPdPKldN6hipcub16HIPCUB_304000_NS6detail27convert_result_type_wrapperIS8_S9_N2at6native12_GLOBAL__N_19CustomMinEEEEE10hipError_tPvRmT0_T1_jT2_SQ_T4_T3_P12ihipStream_tbEUlT_E_NS1_11comp_targetILNS1_3genE4ELNS1_11target_archE910ELNS1_3gpuE8ELNS1_3repE0EEENS1_30default_config_static_selectorELNS0_4arch9wavefront6targetE0EEEvSP_
	.p2align	8
	.type	_ZN7rocprim17ROCPRIM_400000_NS6detail17trampoline_kernelINS0_14default_configENS1_32segmented_reduce_config_selectorIdEEZNS1_21segmented_reduce_implIS3_PKdPdPKldN6hipcub16HIPCUB_304000_NS6detail27convert_result_type_wrapperIS8_S9_N2at6native12_GLOBAL__N_19CustomMinEEEEE10hipError_tPvRmT0_T1_jT2_SQ_T4_T3_P12ihipStream_tbEUlT_E_NS1_11comp_targetILNS1_3genE4ELNS1_11target_archE910ELNS1_3gpuE8ELNS1_3repE0EEENS1_30default_config_static_selectorELNS0_4arch9wavefront6targetE0EEEvSP_,@function
_ZN7rocprim17ROCPRIM_400000_NS6detail17trampoline_kernelINS0_14default_configENS1_32segmented_reduce_config_selectorIdEEZNS1_21segmented_reduce_implIS3_PKdPdPKldN6hipcub16HIPCUB_304000_NS6detail27convert_result_type_wrapperIS8_S9_N2at6native12_GLOBAL__N_19CustomMinEEEEE10hipError_tPvRmT0_T1_jT2_SQ_T4_T3_P12ihipStream_tbEUlT_E_NS1_11comp_targetILNS1_3genE4ELNS1_11target_archE910ELNS1_3gpuE8ELNS1_3repE0EEENS1_30default_config_static_selectorELNS0_4arch9wavefront6targetE0EEEvSP_: ; @_ZN7rocprim17ROCPRIM_400000_NS6detail17trampoline_kernelINS0_14default_configENS1_32segmented_reduce_config_selectorIdEEZNS1_21segmented_reduce_implIS3_PKdPdPKldN6hipcub16HIPCUB_304000_NS6detail27convert_result_type_wrapperIS8_S9_N2at6native12_GLOBAL__N_19CustomMinEEEEE10hipError_tPvRmT0_T1_jT2_SQ_T4_T3_P12ihipStream_tbEUlT_E_NS1_11comp_targetILNS1_3genE4ELNS1_11target_archE910ELNS1_3gpuE8ELNS1_3repE0EEENS1_30default_config_static_selectorELNS0_4arch9wavefront6targetE0EEEvSP_
; %bb.0:
	.section	.rodata,"a",@progbits
	.p2align	6, 0x0
	.amdhsa_kernel _ZN7rocprim17ROCPRIM_400000_NS6detail17trampoline_kernelINS0_14default_configENS1_32segmented_reduce_config_selectorIdEEZNS1_21segmented_reduce_implIS3_PKdPdPKldN6hipcub16HIPCUB_304000_NS6detail27convert_result_type_wrapperIS8_S9_N2at6native12_GLOBAL__N_19CustomMinEEEEE10hipError_tPvRmT0_T1_jT2_SQ_T4_T3_P12ihipStream_tbEUlT_E_NS1_11comp_targetILNS1_3genE4ELNS1_11target_archE910ELNS1_3gpuE8ELNS1_3repE0EEENS1_30default_config_static_selectorELNS0_4arch9wavefront6targetE0EEEvSP_
		.amdhsa_group_segment_fixed_size 0
		.amdhsa_private_segment_fixed_size 0
		.amdhsa_kernarg_size 56
		.amdhsa_user_sgpr_count 15
		.amdhsa_user_sgpr_dispatch_ptr 0
		.amdhsa_user_sgpr_queue_ptr 0
		.amdhsa_user_sgpr_kernarg_segment_ptr 1
		.amdhsa_user_sgpr_dispatch_id 0
		.amdhsa_user_sgpr_private_segment_size 0
		.amdhsa_wavefront_size32 1
		.amdhsa_uses_dynamic_stack 0
		.amdhsa_enable_private_segment 0
		.amdhsa_system_sgpr_workgroup_id_x 1
		.amdhsa_system_sgpr_workgroup_id_y 0
		.amdhsa_system_sgpr_workgroup_id_z 0
		.amdhsa_system_sgpr_workgroup_info 0
		.amdhsa_system_vgpr_workitem_id 0
		.amdhsa_next_free_vgpr 1
		.amdhsa_next_free_sgpr 1
		.amdhsa_reserve_vcc 0
		.amdhsa_float_round_mode_32 0
		.amdhsa_float_round_mode_16_64 0
		.amdhsa_float_denorm_mode_32 3
		.amdhsa_float_denorm_mode_16_64 3
		.amdhsa_dx10_clamp 1
		.amdhsa_ieee_mode 1
		.amdhsa_fp16_overflow 0
		.amdhsa_workgroup_processor_mode 1
		.amdhsa_memory_ordered 1
		.amdhsa_forward_progress 0
		.amdhsa_shared_vgpr_count 0
		.amdhsa_exception_fp_ieee_invalid_op 0
		.amdhsa_exception_fp_denorm_src 0
		.amdhsa_exception_fp_ieee_div_zero 0
		.amdhsa_exception_fp_ieee_overflow 0
		.amdhsa_exception_fp_ieee_underflow 0
		.amdhsa_exception_fp_ieee_inexact 0
		.amdhsa_exception_int_div_zero 0
	.end_amdhsa_kernel
	.section	.text._ZN7rocprim17ROCPRIM_400000_NS6detail17trampoline_kernelINS0_14default_configENS1_32segmented_reduce_config_selectorIdEEZNS1_21segmented_reduce_implIS3_PKdPdPKldN6hipcub16HIPCUB_304000_NS6detail27convert_result_type_wrapperIS8_S9_N2at6native12_GLOBAL__N_19CustomMinEEEEE10hipError_tPvRmT0_T1_jT2_SQ_T4_T3_P12ihipStream_tbEUlT_E_NS1_11comp_targetILNS1_3genE4ELNS1_11target_archE910ELNS1_3gpuE8ELNS1_3repE0EEENS1_30default_config_static_selectorELNS0_4arch9wavefront6targetE0EEEvSP_,"axG",@progbits,_ZN7rocprim17ROCPRIM_400000_NS6detail17trampoline_kernelINS0_14default_configENS1_32segmented_reduce_config_selectorIdEEZNS1_21segmented_reduce_implIS3_PKdPdPKldN6hipcub16HIPCUB_304000_NS6detail27convert_result_type_wrapperIS8_S9_N2at6native12_GLOBAL__N_19CustomMinEEEEE10hipError_tPvRmT0_T1_jT2_SQ_T4_T3_P12ihipStream_tbEUlT_E_NS1_11comp_targetILNS1_3genE4ELNS1_11target_archE910ELNS1_3gpuE8ELNS1_3repE0EEENS1_30default_config_static_selectorELNS0_4arch9wavefront6targetE0EEEvSP_,comdat
.Lfunc_end165:
	.size	_ZN7rocprim17ROCPRIM_400000_NS6detail17trampoline_kernelINS0_14default_configENS1_32segmented_reduce_config_selectorIdEEZNS1_21segmented_reduce_implIS3_PKdPdPKldN6hipcub16HIPCUB_304000_NS6detail27convert_result_type_wrapperIS8_S9_N2at6native12_GLOBAL__N_19CustomMinEEEEE10hipError_tPvRmT0_T1_jT2_SQ_T4_T3_P12ihipStream_tbEUlT_E_NS1_11comp_targetILNS1_3genE4ELNS1_11target_archE910ELNS1_3gpuE8ELNS1_3repE0EEENS1_30default_config_static_selectorELNS0_4arch9wavefront6targetE0EEEvSP_, .Lfunc_end165-_ZN7rocprim17ROCPRIM_400000_NS6detail17trampoline_kernelINS0_14default_configENS1_32segmented_reduce_config_selectorIdEEZNS1_21segmented_reduce_implIS3_PKdPdPKldN6hipcub16HIPCUB_304000_NS6detail27convert_result_type_wrapperIS8_S9_N2at6native12_GLOBAL__N_19CustomMinEEEEE10hipError_tPvRmT0_T1_jT2_SQ_T4_T3_P12ihipStream_tbEUlT_E_NS1_11comp_targetILNS1_3genE4ELNS1_11target_archE910ELNS1_3gpuE8ELNS1_3repE0EEENS1_30default_config_static_selectorELNS0_4arch9wavefront6targetE0EEEvSP_
                                        ; -- End function
	.section	.AMDGPU.csdata,"",@progbits
; Kernel info:
; codeLenInByte = 0
; NumSgprs: 0
; NumVgprs: 0
; ScratchSize: 0
; MemoryBound: 0
; FloatMode: 240
; IeeeMode: 1
; LDSByteSize: 0 bytes/workgroup (compile time only)
; SGPRBlocks: 0
; VGPRBlocks: 0
; NumSGPRsForWavesPerEU: 1
; NumVGPRsForWavesPerEU: 1
; Occupancy: 16
; WaveLimiterHint : 0
; COMPUTE_PGM_RSRC2:SCRATCH_EN: 0
; COMPUTE_PGM_RSRC2:USER_SGPR: 15
; COMPUTE_PGM_RSRC2:TRAP_HANDLER: 0
; COMPUTE_PGM_RSRC2:TGID_X_EN: 1
; COMPUTE_PGM_RSRC2:TGID_Y_EN: 0
; COMPUTE_PGM_RSRC2:TGID_Z_EN: 0
; COMPUTE_PGM_RSRC2:TIDIG_COMP_CNT: 0
	.section	.text._ZN7rocprim17ROCPRIM_400000_NS6detail17trampoline_kernelINS0_14default_configENS1_32segmented_reduce_config_selectorIdEEZNS1_21segmented_reduce_implIS3_PKdPdPKldN6hipcub16HIPCUB_304000_NS6detail27convert_result_type_wrapperIS8_S9_N2at6native12_GLOBAL__N_19CustomMinEEEEE10hipError_tPvRmT0_T1_jT2_SQ_T4_T3_P12ihipStream_tbEUlT_E_NS1_11comp_targetILNS1_3genE3ELNS1_11target_archE908ELNS1_3gpuE7ELNS1_3repE0EEENS1_30default_config_static_selectorELNS0_4arch9wavefront6targetE0EEEvSP_,"axG",@progbits,_ZN7rocprim17ROCPRIM_400000_NS6detail17trampoline_kernelINS0_14default_configENS1_32segmented_reduce_config_selectorIdEEZNS1_21segmented_reduce_implIS3_PKdPdPKldN6hipcub16HIPCUB_304000_NS6detail27convert_result_type_wrapperIS8_S9_N2at6native12_GLOBAL__N_19CustomMinEEEEE10hipError_tPvRmT0_T1_jT2_SQ_T4_T3_P12ihipStream_tbEUlT_E_NS1_11comp_targetILNS1_3genE3ELNS1_11target_archE908ELNS1_3gpuE7ELNS1_3repE0EEENS1_30default_config_static_selectorELNS0_4arch9wavefront6targetE0EEEvSP_,comdat
	.globl	_ZN7rocprim17ROCPRIM_400000_NS6detail17trampoline_kernelINS0_14default_configENS1_32segmented_reduce_config_selectorIdEEZNS1_21segmented_reduce_implIS3_PKdPdPKldN6hipcub16HIPCUB_304000_NS6detail27convert_result_type_wrapperIS8_S9_N2at6native12_GLOBAL__N_19CustomMinEEEEE10hipError_tPvRmT0_T1_jT2_SQ_T4_T3_P12ihipStream_tbEUlT_E_NS1_11comp_targetILNS1_3genE3ELNS1_11target_archE908ELNS1_3gpuE7ELNS1_3repE0EEENS1_30default_config_static_selectorELNS0_4arch9wavefront6targetE0EEEvSP_ ; -- Begin function _ZN7rocprim17ROCPRIM_400000_NS6detail17trampoline_kernelINS0_14default_configENS1_32segmented_reduce_config_selectorIdEEZNS1_21segmented_reduce_implIS3_PKdPdPKldN6hipcub16HIPCUB_304000_NS6detail27convert_result_type_wrapperIS8_S9_N2at6native12_GLOBAL__N_19CustomMinEEEEE10hipError_tPvRmT0_T1_jT2_SQ_T4_T3_P12ihipStream_tbEUlT_E_NS1_11comp_targetILNS1_3genE3ELNS1_11target_archE908ELNS1_3gpuE7ELNS1_3repE0EEENS1_30default_config_static_selectorELNS0_4arch9wavefront6targetE0EEEvSP_
	.p2align	8
	.type	_ZN7rocprim17ROCPRIM_400000_NS6detail17trampoline_kernelINS0_14default_configENS1_32segmented_reduce_config_selectorIdEEZNS1_21segmented_reduce_implIS3_PKdPdPKldN6hipcub16HIPCUB_304000_NS6detail27convert_result_type_wrapperIS8_S9_N2at6native12_GLOBAL__N_19CustomMinEEEEE10hipError_tPvRmT0_T1_jT2_SQ_T4_T3_P12ihipStream_tbEUlT_E_NS1_11comp_targetILNS1_3genE3ELNS1_11target_archE908ELNS1_3gpuE7ELNS1_3repE0EEENS1_30default_config_static_selectorELNS0_4arch9wavefront6targetE0EEEvSP_,@function
_ZN7rocprim17ROCPRIM_400000_NS6detail17trampoline_kernelINS0_14default_configENS1_32segmented_reduce_config_selectorIdEEZNS1_21segmented_reduce_implIS3_PKdPdPKldN6hipcub16HIPCUB_304000_NS6detail27convert_result_type_wrapperIS8_S9_N2at6native12_GLOBAL__N_19CustomMinEEEEE10hipError_tPvRmT0_T1_jT2_SQ_T4_T3_P12ihipStream_tbEUlT_E_NS1_11comp_targetILNS1_3genE3ELNS1_11target_archE908ELNS1_3gpuE7ELNS1_3repE0EEENS1_30default_config_static_selectorELNS0_4arch9wavefront6targetE0EEEvSP_: ; @_ZN7rocprim17ROCPRIM_400000_NS6detail17trampoline_kernelINS0_14default_configENS1_32segmented_reduce_config_selectorIdEEZNS1_21segmented_reduce_implIS3_PKdPdPKldN6hipcub16HIPCUB_304000_NS6detail27convert_result_type_wrapperIS8_S9_N2at6native12_GLOBAL__N_19CustomMinEEEEE10hipError_tPvRmT0_T1_jT2_SQ_T4_T3_P12ihipStream_tbEUlT_E_NS1_11comp_targetILNS1_3genE3ELNS1_11target_archE908ELNS1_3gpuE7ELNS1_3repE0EEENS1_30default_config_static_selectorELNS0_4arch9wavefront6targetE0EEEvSP_
; %bb.0:
	.section	.rodata,"a",@progbits
	.p2align	6, 0x0
	.amdhsa_kernel _ZN7rocprim17ROCPRIM_400000_NS6detail17trampoline_kernelINS0_14default_configENS1_32segmented_reduce_config_selectorIdEEZNS1_21segmented_reduce_implIS3_PKdPdPKldN6hipcub16HIPCUB_304000_NS6detail27convert_result_type_wrapperIS8_S9_N2at6native12_GLOBAL__N_19CustomMinEEEEE10hipError_tPvRmT0_T1_jT2_SQ_T4_T3_P12ihipStream_tbEUlT_E_NS1_11comp_targetILNS1_3genE3ELNS1_11target_archE908ELNS1_3gpuE7ELNS1_3repE0EEENS1_30default_config_static_selectorELNS0_4arch9wavefront6targetE0EEEvSP_
		.amdhsa_group_segment_fixed_size 0
		.amdhsa_private_segment_fixed_size 0
		.amdhsa_kernarg_size 56
		.amdhsa_user_sgpr_count 15
		.amdhsa_user_sgpr_dispatch_ptr 0
		.amdhsa_user_sgpr_queue_ptr 0
		.amdhsa_user_sgpr_kernarg_segment_ptr 1
		.amdhsa_user_sgpr_dispatch_id 0
		.amdhsa_user_sgpr_private_segment_size 0
		.amdhsa_wavefront_size32 1
		.amdhsa_uses_dynamic_stack 0
		.amdhsa_enable_private_segment 0
		.amdhsa_system_sgpr_workgroup_id_x 1
		.amdhsa_system_sgpr_workgroup_id_y 0
		.amdhsa_system_sgpr_workgroup_id_z 0
		.amdhsa_system_sgpr_workgroup_info 0
		.amdhsa_system_vgpr_workitem_id 0
		.amdhsa_next_free_vgpr 1
		.amdhsa_next_free_sgpr 1
		.amdhsa_reserve_vcc 0
		.amdhsa_float_round_mode_32 0
		.amdhsa_float_round_mode_16_64 0
		.amdhsa_float_denorm_mode_32 3
		.amdhsa_float_denorm_mode_16_64 3
		.amdhsa_dx10_clamp 1
		.amdhsa_ieee_mode 1
		.amdhsa_fp16_overflow 0
		.amdhsa_workgroup_processor_mode 1
		.amdhsa_memory_ordered 1
		.amdhsa_forward_progress 0
		.amdhsa_shared_vgpr_count 0
		.amdhsa_exception_fp_ieee_invalid_op 0
		.amdhsa_exception_fp_denorm_src 0
		.amdhsa_exception_fp_ieee_div_zero 0
		.amdhsa_exception_fp_ieee_overflow 0
		.amdhsa_exception_fp_ieee_underflow 0
		.amdhsa_exception_fp_ieee_inexact 0
		.amdhsa_exception_int_div_zero 0
	.end_amdhsa_kernel
	.section	.text._ZN7rocprim17ROCPRIM_400000_NS6detail17trampoline_kernelINS0_14default_configENS1_32segmented_reduce_config_selectorIdEEZNS1_21segmented_reduce_implIS3_PKdPdPKldN6hipcub16HIPCUB_304000_NS6detail27convert_result_type_wrapperIS8_S9_N2at6native12_GLOBAL__N_19CustomMinEEEEE10hipError_tPvRmT0_T1_jT2_SQ_T4_T3_P12ihipStream_tbEUlT_E_NS1_11comp_targetILNS1_3genE3ELNS1_11target_archE908ELNS1_3gpuE7ELNS1_3repE0EEENS1_30default_config_static_selectorELNS0_4arch9wavefront6targetE0EEEvSP_,"axG",@progbits,_ZN7rocprim17ROCPRIM_400000_NS6detail17trampoline_kernelINS0_14default_configENS1_32segmented_reduce_config_selectorIdEEZNS1_21segmented_reduce_implIS3_PKdPdPKldN6hipcub16HIPCUB_304000_NS6detail27convert_result_type_wrapperIS8_S9_N2at6native12_GLOBAL__N_19CustomMinEEEEE10hipError_tPvRmT0_T1_jT2_SQ_T4_T3_P12ihipStream_tbEUlT_E_NS1_11comp_targetILNS1_3genE3ELNS1_11target_archE908ELNS1_3gpuE7ELNS1_3repE0EEENS1_30default_config_static_selectorELNS0_4arch9wavefront6targetE0EEEvSP_,comdat
.Lfunc_end166:
	.size	_ZN7rocprim17ROCPRIM_400000_NS6detail17trampoline_kernelINS0_14default_configENS1_32segmented_reduce_config_selectorIdEEZNS1_21segmented_reduce_implIS3_PKdPdPKldN6hipcub16HIPCUB_304000_NS6detail27convert_result_type_wrapperIS8_S9_N2at6native12_GLOBAL__N_19CustomMinEEEEE10hipError_tPvRmT0_T1_jT2_SQ_T4_T3_P12ihipStream_tbEUlT_E_NS1_11comp_targetILNS1_3genE3ELNS1_11target_archE908ELNS1_3gpuE7ELNS1_3repE0EEENS1_30default_config_static_selectorELNS0_4arch9wavefront6targetE0EEEvSP_, .Lfunc_end166-_ZN7rocprim17ROCPRIM_400000_NS6detail17trampoline_kernelINS0_14default_configENS1_32segmented_reduce_config_selectorIdEEZNS1_21segmented_reduce_implIS3_PKdPdPKldN6hipcub16HIPCUB_304000_NS6detail27convert_result_type_wrapperIS8_S9_N2at6native12_GLOBAL__N_19CustomMinEEEEE10hipError_tPvRmT0_T1_jT2_SQ_T4_T3_P12ihipStream_tbEUlT_E_NS1_11comp_targetILNS1_3genE3ELNS1_11target_archE908ELNS1_3gpuE7ELNS1_3repE0EEENS1_30default_config_static_selectorELNS0_4arch9wavefront6targetE0EEEvSP_
                                        ; -- End function
	.section	.AMDGPU.csdata,"",@progbits
; Kernel info:
; codeLenInByte = 0
; NumSgprs: 0
; NumVgprs: 0
; ScratchSize: 0
; MemoryBound: 0
; FloatMode: 240
; IeeeMode: 1
; LDSByteSize: 0 bytes/workgroup (compile time only)
; SGPRBlocks: 0
; VGPRBlocks: 0
; NumSGPRsForWavesPerEU: 1
; NumVGPRsForWavesPerEU: 1
; Occupancy: 16
; WaveLimiterHint : 0
; COMPUTE_PGM_RSRC2:SCRATCH_EN: 0
; COMPUTE_PGM_RSRC2:USER_SGPR: 15
; COMPUTE_PGM_RSRC2:TRAP_HANDLER: 0
; COMPUTE_PGM_RSRC2:TGID_X_EN: 1
; COMPUTE_PGM_RSRC2:TGID_Y_EN: 0
; COMPUTE_PGM_RSRC2:TGID_Z_EN: 0
; COMPUTE_PGM_RSRC2:TIDIG_COMP_CNT: 0
	.section	.text._ZN7rocprim17ROCPRIM_400000_NS6detail17trampoline_kernelINS0_14default_configENS1_32segmented_reduce_config_selectorIdEEZNS1_21segmented_reduce_implIS3_PKdPdPKldN6hipcub16HIPCUB_304000_NS6detail27convert_result_type_wrapperIS8_S9_N2at6native12_GLOBAL__N_19CustomMinEEEEE10hipError_tPvRmT0_T1_jT2_SQ_T4_T3_P12ihipStream_tbEUlT_E_NS1_11comp_targetILNS1_3genE2ELNS1_11target_archE906ELNS1_3gpuE6ELNS1_3repE0EEENS1_30default_config_static_selectorELNS0_4arch9wavefront6targetE0EEEvSP_,"axG",@progbits,_ZN7rocprim17ROCPRIM_400000_NS6detail17trampoline_kernelINS0_14default_configENS1_32segmented_reduce_config_selectorIdEEZNS1_21segmented_reduce_implIS3_PKdPdPKldN6hipcub16HIPCUB_304000_NS6detail27convert_result_type_wrapperIS8_S9_N2at6native12_GLOBAL__N_19CustomMinEEEEE10hipError_tPvRmT0_T1_jT2_SQ_T4_T3_P12ihipStream_tbEUlT_E_NS1_11comp_targetILNS1_3genE2ELNS1_11target_archE906ELNS1_3gpuE6ELNS1_3repE0EEENS1_30default_config_static_selectorELNS0_4arch9wavefront6targetE0EEEvSP_,comdat
	.globl	_ZN7rocprim17ROCPRIM_400000_NS6detail17trampoline_kernelINS0_14default_configENS1_32segmented_reduce_config_selectorIdEEZNS1_21segmented_reduce_implIS3_PKdPdPKldN6hipcub16HIPCUB_304000_NS6detail27convert_result_type_wrapperIS8_S9_N2at6native12_GLOBAL__N_19CustomMinEEEEE10hipError_tPvRmT0_T1_jT2_SQ_T4_T3_P12ihipStream_tbEUlT_E_NS1_11comp_targetILNS1_3genE2ELNS1_11target_archE906ELNS1_3gpuE6ELNS1_3repE0EEENS1_30default_config_static_selectorELNS0_4arch9wavefront6targetE0EEEvSP_ ; -- Begin function _ZN7rocprim17ROCPRIM_400000_NS6detail17trampoline_kernelINS0_14default_configENS1_32segmented_reduce_config_selectorIdEEZNS1_21segmented_reduce_implIS3_PKdPdPKldN6hipcub16HIPCUB_304000_NS6detail27convert_result_type_wrapperIS8_S9_N2at6native12_GLOBAL__N_19CustomMinEEEEE10hipError_tPvRmT0_T1_jT2_SQ_T4_T3_P12ihipStream_tbEUlT_E_NS1_11comp_targetILNS1_3genE2ELNS1_11target_archE906ELNS1_3gpuE6ELNS1_3repE0EEENS1_30default_config_static_selectorELNS0_4arch9wavefront6targetE0EEEvSP_
	.p2align	8
	.type	_ZN7rocprim17ROCPRIM_400000_NS6detail17trampoline_kernelINS0_14default_configENS1_32segmented_reduce_config_selectorIdEEZNS1_21segmented_reduce_implIS3_PKdPdPKldN6hipcub16HIPCUB_304000_NS6detail27convert_result_type_wrapperIS8_S9_N2at6native12_GLOBAL__N_19CustomMinEEEEE10hipError_tPvRmT0_T1_jT2_SQ_T4_T3_P12ihipStream_tbEUlT_E_NS1_11comp_targetILNS1_3genE2ELNS1_11target_archE906ELNS1_3gpuE6ELNS1_3repE0EEENS1_30default_config_static_selectorELNS0_4arch9wavefront6targetE0EEEvSP_,@function
_ZN7rocprim17ROCPRIM_400000_NS6detail17trampoline_kernelINS0_14default_configENS1_32segmented_reduce_config_selectorIdEEZNS1_21segmented_reduce_implIS3_PKdPdPKldN6hipcub16HIPCUB_304000_NS6detail27convert_result_type_wrapperIS8_S9_N2at6native12_GLOBAL__N_19CustomMinEEEEE10hipError_tPvRmT0_T1_jT2_SQ_T4_T3_P12ihipStream_tbEUlT_E_NS1_11comp_targetILNS1_3genE2ELNS1_11target_archE906ELNS1_3gpuE6ELNS1_3repE0EEENS1_30default_config_static_selectorELNS0_4arch9wavefront6targetE0EEEvSP_: ; @_ZN7rocprim17ROCPRIM_400000_NS6detail17trampoline_kernelINS0_14default_configENS1_32segmented_reduce_config_selectorIdEEZNS1_21segmented_reduce_implIS3_PKdPdPKldN6hipcub16HIPCUB_304000_NS6detail27convert_result_type_wrapperIS8_S9_N2at6native12_GLOBAL__N_19CustomMinEEEEE10hipError_tPvRmT0_T1_jT2_SQ_T4_T3_P12ihipStream_tbEUlT_E_NS1_11comp_targetILNS1_3genE2ELNS1_11target_archE906ELNS1_3gpuE6ELNS1_3repE0EEENS1_30default_config_static_selectorELNS0_4arch9wavefront6targetE0EEEvSP_
; %bb.0:
	.section	.rodata,"a",@progbits
	.p2align	6, 0x0
	.amdhsa_kernel _ZN7rocprim17ROCPRIM_400000_NS6detail17trampoline_kernelINS0_14default_configENS1_32segmented_reduce_config_selectorIdEEZNS1_21segmented_reduce_implIS3_PKdPdPKldN6hipcub16HIPCUB_304000_NS6detail27convert_result_type_wrapperIS8_S9_N2at6native12_GLOBAL__N_19CustomMinEEEEE10hipError_tPvRmT0_T1_jT2_SQ_T4_T3_P12ihipStream_tbEUlT_E_NS1_11comp_targetILNS1_3genE2ELNS1_11target_archE906ELNS1_3gpuE6ELNS1_3repE0EEENS1_30default_config_static_selectorELNS0_4arch9wavefront6targetE0EEEvSP_
		.amdhsa_group_segment_fixed_size 0
		.amdhsa_private_segment_fixed_size 0
		.amdhsa_kernarg_size 56
		.amdhsa_user_sgpr_count 15
		.amdhsa_user_sgpr_dispatch_ptr 0
		.amdhsa_user_sgpr_queue_ptr 0
		.amdhsa_user_sgpr_kernarg_segment_ptr 1
		.amdhsa_user_sgpr_dispatch_id 0
		.amdhsa_user_sgpr_private_segment_size 0
		.amdhsa_wavefront_size32 1
		.amdhsa_uses_dynamic_stack 0
		.amdhsa_enable_private_segment 0
		.amdhsa_system_sgpr_workgroup_id_x 1
		.amdhsa_system_sgpr_workgroup_id_y 0
		.amdhsa_system_sgpr_workgroup_id_z 0
		.amdhsa_system_sgpr_workgroup_info 0
		.amdhsa_system_vgpr_workitem_id 0
		.amdhsa_next_free_vgpr 1
		.amdhsa_next_free_sgpr 1
		.amdhsa_reserve_vcc 0
		.amdhsa_float_round_mode_32 0
		.amdhsa_float_round_mode_16_64 0
		.amdhsa_float_denorm_mode_32 3
		.amdhsa_float_denorm_mode_16_64 3
		.amdhsa_dx10_clamp 1
		.amdhsa_ieee_mode 1
		.amdhsa_fp16_overflow 0
		.amdhsa_workgroup_processor_mode 1
		.amdhsa_memory_ordered 1
		.amdhsa_forward_progress 0
		.amdhsa_shared_vgpr_count 0
		.amdhsa_exception_fp_ieee_invalid_op 0
		.amdhsa_exception_fp_denorm_src 0
		.amdhsa_exception_fp_ieee_div_zero 0
		.amdhsa_exception_fp_ieee_overflow 0
		.amdhsa_exception_fp_ieee_underflow 0
		.amdhsa_exception_fp_ieee_inexact 0
		.amdhsa_exception_int_div_zero 0
	.end_amdhsa_kernel
	.section	.text._ZN7rocprim17ROCPRIM_400000_NS6detail17trampoline_kernelINS0_14default_configENS1_32segmented_reduce_config_selectorIdEEZNS1_21segmented_reduce_implIS3_PKdPdPKldN6hipcub16HIPCUB_304000_NS6detail27convert_result_type_wrapperIS8_S9_N2at6native12_GLOBAL__N_19CustomMinEEEEE10hipError_tPvRmT0_T1_jT2_SQ_T4_T3_P12ihipStream_tbEUlT_E_NS1_11comp_targetILNS1_3genE2ELNS1_11target_archE906ELNS1_3gpuE6ELNS1_3repE0EEENS1_30default_config_static_selectorELNS0_4arch9wavefront6targetE0EEEvSP_,"axG",@progbits,_ZN7rocprim17ROCPRIM_400000_NS6detail17trampoline_kernelINS0_14default_configENS1_32segmented_reduce_config_selectorIdEEZNS1_21segmented_reduce_implIS3_PKdPdPKldN6hipcub16HIPCUB_304000_NS6detail27convert_result_type_wrapperIS8_S9_N2at6native12_GLOBAL__N_19CustomMinEEEEE10hipError_tPvRmT0_T1_jT2_SQ_T4_T3_P12ihipStream_tbEUlT_E_NS1_11comp_targetILNS1_3genE2ELNS1_11target_archE906ELNS1_3gpuE6ELNS1_3repE0EEENS1_30default_config_static_selectorELNS0_4arch9wavefront6targetE0EEEvSP_,comdat
.Lfunc_end167:
	.size	_ZN7rocprim17ROCPRIM_400000_NS6detail17trampoline_kernelINS0_14default_configENS1_32segmented_reduce_config_selectorIdEEZNS1_21segmented_reduce_implIS3_PKdPdPKldN6hipcub16HIPCUB_304000_NS6detail27convert_result_type_wrapperIS8_S9_N2at6native12_GLOBAL__N_19CustomMinEEEEE10hipError_tPvRmT0_T1_jT2_SQ_T4_T3_P12ihipStream_tbEUlT_E_NS1_11comp_targetILNS1_3genE2ELNS1_11target_archE906ELNS1_3gpuE6ELNS1_3repE0EEENS1_30default_config_static_selectorELNS0_4arch9wavefront6targetE0EEEvSP_, .Lfunc_end167-_ZN7rocprim17ROCPRIM_400000_NS6detail17trampoline_kernelINS0_14default_configENS1_32segmented_reduce_config_selectorIdEEZNS1_21segmented_reduce_implIS3_PKdPdPKldN6hipcub16HIPCUB_304000_NS6detail27convert_result_type_wrapperIS8_S9_N2at6native12_GLOBAL__N_19CustomMinEEEEE10hipError_tPvRmT0_T1_jT2_SQ_T4_T3_P12ihipStream_tbEUlT_E_NS1_11comp_targetILNS1_3genE2ELNS1_11target_archE906ELNS1_3gpuE6ELNS1_3repE0EEENS1_30default_config_static_selectorELNS0_4arch9wavefront6targetE0EEEvSP_
                                        ; -- End function
	.section	.AMDGPU.csdata,"",@progbits
; Kernel info:
; codeLenInByte = 0
; NumSgprs: 0
; NumVgprs: 0
; ScratchSize: 0
; MemoryBound: 0
; FloatMode: 240
; IeeeMode: 1
; LDSByteSize: 0 bytes/workgroup (compile time only)
; SGPRBlocks: 0
; VGPRBlocks: 0
; NumSGPRsForWavesPerEU: 1
; NumVGPRsForWavesPerEU: 1
; Occupancy: 16
; WaveLimiterHint : 0
; COMPUTE_PGM_RSRC2:SCRATCH_EN: 0
; COMPUTE_PGM_RSRC2:USER_SGPR: 15
; COMPUTE_PGM_RSRC2:TRAP_HANDLER: 0
; COMPUTE_PGM_RSRC2:TGID_X_EN: 1
; COMPUTE_PGM_RSRC2:TGID_Y_EN: 0
; COMPUTE_PGM_RSRC2:TGID_Z_EN: 0
; COMPUTE_PGM_RSRC2:TIDIG_COMP_CNT: 0
	.section	.text._ZN7rocprim17ROCPRIM_400000_NS6detail17trampoline_kernelINS0_14default_configENS1_32segmented_reduce_config_selectorIdEEZNS1_21segmented_reduce_implIS3_PKdPdPKldN6hipcub16HIPCUB_304000_NS6detail27convert_result_type_wrapperIS8_S9_N2at6native12_GLOBAL__N_19CustomMinEEEEE10hipError_tPvRmT0_T1_jT2_SQ_T4_T3_P12ihipStream_tbEUlT_E_NS1_11comp_targetILNS1_3genE9ELNS1_11target_archE1100ELNS1_3gpuE3ELNS1_3repE0EEENS1_30default_config_static_selectorELNS0_4arch9wavefront6targetE0EEEvSP_,"axG",@progbits,_ZN7rocprim17ROCPRIM_400000_NS6detail17trampoline_kernelINS0_14default_configENS1_32segmented_reduce_config_selectorIdEEZNS1_21segmented_reduce_implIS3_PKdPdPKldN6hipcub16HIPCUB_304000_NS6detail27convert_result_type_wrapperIS8_S9_N2at6native12_GLOBAL__N_19CustomMinEEEEE10hipError_tPvRmT0_T1_jT2_SQ_T4_T3_P12ihipStream_tbEUlT_E_NS1_11comp_targetILNS1_3genE9ELNS1_11target_archE1100ELNS1_3gpuE3ELNS1_3repE0EEENS1_30default_config_static_selectorELNS0_4arch9wavefront6targetE0EEEvSP_,comdat
	.globl	_ZN7rocprim17ROCPRIM_400000_NS6detail17trampoline_kernelINS0_14default_configENS1_32segmented_reduce_config_selectorIdEEZNS1_21segmented_reduce_implIS3_PKdPdPKldN6hipcub16HIPCUB_304000_NS6detail27convert_result_type_wrapperIS8_S9_N2at6native12_GLOBAL__N_19CustomMinEEEEE10hipError_tPvRmT0_T1_jT2_SQ_T4_T3_P12ihipStream_tbEUlT_E_NS1_11comp_targetILNS1_3genE9ELNS1_11target_archE1100ELNS1_3gpuE3ELNS1_3repE0EEENS1_30default_config_static_selectorELNS0_4arch9wavefront6targetE0EEEvSP_ ; -- Begin function _ZN7rocprim17ROCPRIM_400000_NS6detail17trampoline_kernelINS0_14default_configENS1_32segmented_reduce_config_selectorIdEEZNS1_21segmented_reduce_implIS3_PKdPdPKldN6hipcub16HIPCUB_304000_NS6detail27convert_result_type_wrapperIS8_S9_N2at6native12_GLOBAL__N_19CustomMinEEEEE10hipError_tPvRmT0_T1_jT2_SQ_T4_T3_P12ihipStream_tbEUlT_E_NS1_11comp_targetILNS1_3genE9ELNS1_11target_archE1100ELNS1_3gpuE3ELNS1_3repE0EEENS1_30default_config_static_selectorELNS0_4arch9wavefront6targetE0EEEvSP_
	.p2align	8
	.type	_ZN7rocprim17ROCPRIM_400000_NS6detail17trampoline_kernelINS0_14default_configENS1_32segmented_reduce_config_selectorIdEEZNS1_21segmented_reduce_implIS3_PKdPdPKldN6hipcub16HIPCUB_304000_NS6detail27convert_result_type_wrapperIS8_S9_N2at6native12_GLOBAL__N_19CustomMinEEEEE10hipError_tPvRmT0_T1_jT2_SQ_T4_T3_P12ihipStream_tbEUlT_E_NS1_11comp_targetILNS1_3genE9ELNS1_11target_archE1100ELNS1_3gpuE3ELNS1_3repE0EEENS1_30default_config_static_selectorELNS0_4arch9wavefront6targetE0EEEvSP_,@function
_ZN7rocprim17ROCPRIM_400000_NS6detail17trampoline_kernelINS0_14default_configENS1_32segmented_reduce_config_selectorIdEEZNS1_21segmented_reduce_implIS3_PKdPdPKldN6hipcub16HIPCUB_304000_NS6detail27convert_result_type_wrapperIS8_S9_N2at6native12_GLOBAL__N_19CustomMinEEEEE10hipError_tPvRmT0_T1_jT2_SQ_T4_T3_P12ihipStream_tbEUlT_E_NS1_11comp_targetILNS1_3genE9ELNS1_11target_archE1100ELNS1_3gpuE3ELNS1_3repE0EEENS1_30default_config_static_selectorELNS0_4arch9wavefront6targetE0EEEvSP_: ; @_ZN7rocprim17ROCPRIM_400000_NS6detail17trampoline_kernelINS0_14default_configENS1_32segmented_reduce_config_selectorIdEEZNS1_21segmented_reduce_implIS3_PKdPdPKldN6hipcub16HIPCUB_304000_NS6detail27convert_result_type_wrapperIS8_S9_N2at6native12_GLOBAL__N_19CustomMinEEEEE10hipError_tPvRmT0_T1_jT2_SQ_T4_T3_P12ihipStream_tbEUlT_E_NS1_11comp_targetILNS1_3genE9ELNS1_11target_archE1100ELNS1_3gpuE3ELNS1_3repE0EEENS1_30default_config_static_selectorELNS0_4arch9wavefront6targetE0EEEvSP_
; %bb.0:
	s_mov_b32 s2, s15
	s_clause 0x2
	s_load_b256 s[4:11], s[0:1], 0x0
	s_load_b64 s[14:15], s[0:1], 0x20
	s_load_b64 s[12:13], s[0:1], 0x30
	s_mov_b32 s3, 0
	s_waitcnt lgkmcnt(0)
	s_lshl_b64 s[8:9], s[8:9], 3
	s_delay_alu instid0(SALU_CYCLE_1) | instskip(SKIP_4) | instid1(SALU_CYCLE_1)
	s_add_u32 s0, s10, s8
	s_addc_u32 s1, s11, s9
	s_add_u32 s14, s14, s8
	s_addc_u32 s15, s15, s9
	s_lshl_b64 s[10:11], s[2:3], 3
	s_add_u32 s0, s0, s10
	s_addc_u32 s1, s1, s11
	s_add_u32 s14, s14, s10
	s_addc_u32 s15, s15, s11
	s_load_b64 s[16:17], s[0:1], 0x0
	s_load_b64 s[14:15], s[14:15], 0x0
	s_waitcnt lgkmcnt(0)
	v_cmp_gt_i64_e64 s0, s[14:15], s[16:17]
	s_delay_alu instid0(VALU_DEP_1)
	s_and_b32 vcc_lo, exec_lo, s0
	v_cmp_eq_u32_e64 s0, 0, v0
	s_cbranch_vccnz .LBB168_3
; %bb.1:
	s_delay_alu instid0(VALU_DEP_1)
	s_and_b32 s3, s0, exec_lo
	s_cbranch_execz .LBB168_4
; %bb.2:
	v_dual_mov_b32 v3, s12 :: v_dual_mov_b32 v4, s13
	s_and_saveexec_b32 s0, s3
	s_cbranch_execnz .LBB168_373
	s_branch .LBB168_374
.LBB168_3:
.LBB168_4:
	s_add_u32 s0, s16, 0x1000
	s_addc_u32 s1, s17, 0
	s_delay_alu instid0(SALU_CYCLE_1) | instskip(NEXT) | instid1(VALU_DEP_1)
	v_cmp_le_i64_e64 s2, s[0:1], s[14:15]
	s_and_b32 vcc_lo, exec_lo, s2
	s_cbranch_vccz .LBB168_133
; %bb.5:
	v_lshlrev_b32_e32 v39, 3, v0
	s_lshl_b64 s[18:19], s[16:17], 3
	s_delay_alu instid0(SALU_CYCLE_1) | instskip(SKIP_1) | instid1(VALU_DEP_1)
	s_add_u32 s20, s4, s18
	s_addc_u32 s21, s5, s19
	v_add_co_u32 v13, s2, s20, v39
	s_delay_alu instid0(VALU_DEP_1) | instskip(SKIP_1) | instid1(VALU_DEP_2)
	v_add_co_ci_u32_e64 v14, null, s21, 0, s2
	s_mov_b32 s2, exec_lo
	v_add_co_u32 v1, vcc_lo, 0x1000, v13
	s_delay_alu instid0(VALU_DEP_2)
	v_add_co_ci_u32_e32 v2, vcc_lo, 0, v14, vcc_lo
	v_add_co_u32 v17, vcc_lo, v13, 0x2000
	v_add_co_ci_u32_e32 v18, vcc_lo, 0, v14, vcc_lo
	v_add_co_u32 v3, vcc_lo, 0x2000, v13
	v_add_co_ci_u32_e32 v4, vcc_lo, 0, v14, vcc_lo
	s_clause 0x4
	global_load_b64 v[25:26], v[17:18], off
	global_load_b64 v[33:34], v39, s[20:21]
	global_load_b64 v[29:30], v39, s[20:21] offset:2048
	global_load_b64 v[27:28], v[1:2], off offset:2048
	global_load_b64 v[23:24], v[3:4], off offset:2048
	v_add_co_u32 v1, vcc_lo, 0x3000, v13
	v_add_co_ci_u32_e32 v2, vcc_lo, 0, v14, vcc_lo
	v_add_co_u32 v3, vcc_lo, v13, 0x4000
	v_add_co_ci_u32_e32 v4, vcc_lo, 0, v14, vcc_lo
	;; [unrolled: 2-line block ×7, first 2 shown]
	s_clause 0xa
	global_load_b64 v[21:22], v[3:4], off offset:-4096
	global_load_b64 v[15:16], v[3:4], off
	global_load_b64 v[11:12], v[7:8], off offset:-4096
	global_load_b64 v[7:8], v[7:8], off
	global_load_b64 v[19:20], v[1:2], off offset:2048
	global_load_b64 v[13:14], v[5:6], off offset:2048
	;; [unrolled: 1-line block ×4, first 2 shown]
	global_load_b64 v[3:4], v[35:36], off
	global_load_b64 v[31:32], v[17:18], off offset:-4096
	global_load_b64 v[1:2], v[35:36], off offset:2048
	s_waitcnt vmcnt(14)
	v_dual_mov_b32 v17, v33 :: v_dual_mov_b32 v18, v34
	v_cmpx_o_f64_e32 v[33:34], v[33:34]
	s_cbranch_execz .LBB168_9
; %bb.6:
	s_waitcnt vmcnt(13)
	v_dual_mov_b32 v17, v29 :: v_dual_mov_b32 v18, v30
	s_mov_b32 s20, exec_lo
	v_cmpx_o_f64_e32 v[29:30], v[29:30]
; %bb.7:
	v_cmp_lt_f64_e32 vcc_lo, v[29:30], v[33:34]
	v_dual_cndmask_b32 v18, v34, v30 :: v_dual_cndmask_b32 v17, v33, v29
; %bb.8:
	s_or_b32 exec_lo, exec_lo, s20
.LBB168_9:
	s_delay_alu instid0(SALU_CYCLE_1) | instskip(NEXT) | instid1(SALU_CYCLE_1)
	s_or_b32 exec_lo, exec_lo, s2
	s_mov_b32 s2, exec_lo
	s_delay_alu instid0(VALU_DEP_1)
	v_cmpx_o_f64_e32 v[17:18], v[17:18]
	s_cbranch_execz .LBB168_13
; %bb.10:
	s_waitcnt vmcnt(1)
	v_dual_mov_b32 v36, v32 :: v_dual_mov_b32 v35, v31
	s_mov_b32 s20, exec_lo
	v_cmpx_o_f64_e32 v[31:32], v[31:32]
; %bb.11:
	v_cmp_lt_f64_e32 vcc_lo, v[31:32], v[17:18]
	v_dual_cndmask_b32 v36, v18, v32 :: v_dual_cndmask_b32 v35, v17, v31
; %bb.12:
	s_or_b32 exec_lo, exec_lo, s20
	s_delay_alu instid0(VALU_DEP_1)
	v_dual_mov_b32 v17, v35 :: v_dual_mov_b32 v18, v36
.LBB168_13:
	s_or_b32 exec_lo, exec_lo, s2
	s_delay_alu instid0(SALU_CYCLE_1) | instskip(NEXT) | instid1(VALU_DEP_1)
	s_mov_b32 s2, exec_lo
	v_cmpx_o_f64_e32 v[17:18], v[17:18]
	s_cbranch_execz .LBB168_17
; %bb.14:
	s_waitcnt vmcnt(12)
	v_dual_mov_b32 v36, v28 :: v_dual_mov_b32 v35, v27
	s_mov_b32 s20, exec_lo
	v_cmpx_o_f64_e32 v[27:28], v[27:28]
; %bb.15:
	v_cmp_lt_f64_e32 vcc_lo, v[27:28], v[17:18]
	v_dual_cndmask_b32 v36, v18, v28 :: v_dual_cndmask_b32 v35, v17, v27
; %bb.16:
	s_or_b32 exec_lo, exec_lo, s20
	s_delay_alu instid0(VALU_DEP_1)
	v_dual_mov_b32 v17, v35 :: v_dual_mov_b32 v18, v36
.LBB168_17:
	s_or_b32 exec_lo, exec_lo, s2
	s_delay_alu instid0(SALU_CYCLE_1) | instskip(NEXT) | instid1(VALU_DEP_1)
	s_mov_b32 s2, exec_lo
	v_cmpx_o_f64_e32 v[17:18], v[17:18]
	s_cbranch_execz .LBB168_21
; %bb.18:
	v_dual_mov_b32 v36, v26 :: v_dual_mov_b32 v35, v25
	s_mov_b32 s20, exec_lo
	v_cmpx_o_f64_e32 v[25:26], v[25:26]
; %bb.19:
	v_cmp_lt_f64_e32 vcc_lo, v[25:26], v[17:18]
	v_dual_cndmask_b32 v36, v18, v26 :: v_dual_cndmask_b32 v35, v17, v25
; %bb.20:
	s_or_b32 exec_lo, exec_lo, s20
	s_delay_alu instid0(VALU_DEP_1)
	v_dual_mov_b32 v17, v35 :: v_dual_mov_b32 v18, v36
.LBB168_21:
	s_or_b32 exec_lo, exec_lo, s2
	s_delay_alu instid0(SALU_CYCLE_1) | instskip(NEXT) | instid1(VALU_DEP_1)
	s_mov_b32 s2, exec_lo
	v_cmpx_o_f64_e32 v[17:18], v[17:18]
	s_cbranch_execz .LBB168_25
; %bb.22:
	s_waitcnt vmcnt(11)
	v_dual_mov_b32 v36, v24 :: v_dual_mov_b32 v35, v23
	s_mov_b32 s20, exec_lo
	v_cmpx_o_f64_e32 v[23:24], v[23:24]
; %bb.23:
	v_cmp_lt_f64_e32 vcc_lo, v[23:24], v[17:18]
	v_dual_cndmask_b32 v36, v18, v24 :: v_dual_cndmask_b32 v35, v17, v23
; %bb.24:
	s_or_b32 exec_lo, exec_lo, s20
	s_delay_alu instid0(VALU_DEP_1)
	v_dual_mov_b32 v17, v35 :: v_dual_mov_b32 v18, v36
.LBB168_25:
	s_or_b32 exec_lo, exec_lo, s2
	s_delay_alu instid0(SALU_CYCLE_1) | instskip(NEXT) | instid1(VALU_DEP_1)
	s_mov_b32 s2, exec_lo
	v_cmpx_o_f64_e32 v[17:18], v[17:18]
	s_cbranch_execz .LBB168_29
; %bb.26:
	s_waitcnt vmcnt(10)
	v_dual_mov_b32 v36, v22 :: v_dual_mov_b32 v35, v21
	s_mov_b32 s20, exec_lo
	v_cmpx_o_f64_e32 v[21:22], v[21:22]
; %bb.27:
	v_cmp_lt_f64_e32 vcc_lo, v[21:22], v[17:18]
	v_dual_cndmask_b32 v36, v18, v22 :: v_dual_cndmask_b32 v35, v17, v21
; %bb.28:
	s_or_b32 exec_lo, exec_lo, s20
	s_delay_alu instid0(VALU_DEP_1)
	v_dual_mov_b32 v17, v35 :: v_dual_mov_b32 v18, v36
.LBB168_29:
	;; [unrolled: 18-line block ×11, first 2 shown]
	s_or_b32 exec_lo, exec_lo, s2
	s_add_u32 s20, s16, 0x2000
	s_addc_u32 s21, s17, 0
	s_delay_alu instid0(SALU_CYCLE_1) | instskip(NEXT) | instid1(VALU_DEP_1)
	v_cmp_ge_i64_e64 s2, s[20:21], s[14:15]
	s_and_b32 vcc_lo, exec_lo, s2
	s_cbranch_vccnz .LBB168_135
; %bb.66:
	s_add_u32 s2, s4, s18
	s_addc_u32 s18, s5, s19
	s_waitcnt vmcnt(0)
	v_add_co_u32 v1, s2, s2, v39
	s_delay_alu instid0(VALU_DEP_1) | instskip(NEXT) | instid1(VALU_DEP_2)
	v_add_co_ci_u32_e64 v2, null, s18, 0, s2
	v_add_co_u32 v35, vcc_lo, 0x8000, v1
	s_delay_alu instid0(VALU_DEP_2)
	v_add_co_ci_u32_e32 v36, vcc_lo, 0, v2, vcc_lo
.LBB168_67:                             ; =>This Inner Loop Header: Depth=1
	s_waitcnt vmcnt(0)
	s_delay_alu instid0(VALU_DEP_2) | instskip(NEXT) | instid1(VALU_DEP_2)
	v_add_co_u32 v1, vcc_lo, 0x1000, v35
	v_add_co_ci_u32_e32 v2, vcc_lo, 0, v36, vcc_lo
	v_add_co_u32 v3, vcc_lo, v35, 0x2000
	v_add_co_ci_u32_e32 v4, vcc_lo, 0, v36, vcc_lo
	;; [unrolled: 2-line block ×6, first 2 shown]
	s_clause 0x8
	global_load_b64 v[29:30], v[35:36], off offset:2048
	global_load_b64 v[31:32], v[3:4], off offset:-4096
	global_load_b64 v[25:26], v[3:4], off
	global_load_b64 v[21:22], v[9:10], off offset:-4096
	global_load_b64 v[15:16], v[9:10], off
	global_load_b64 v[27:28], v[1:2], off offset:2048
	global_load_b64 v[23:24], v[5:6], off offset:2048
	;; [unrolled: 1-line block ×4, first 2 shown]
	v_add_co_u32 v1, vcc_lo, v35, 0x6000
	v_add_co_ci_u32_e32 v2, vcc_lo, 0, v36, vcc_lo
	v_add_co_u32 v3, vcc_lo, 0x5000, v35
	v_add_co_ci_u32_e32 v4, vcc_lo, 0, v36, vcc_lo
	;; [unrolled: 2-line block ×4, first 2 shown]
	s_clause 0x6
	global_load_b64 v[11:12], v[1:2], off offset:-4096
	global_load_b64 v[33:34], v[35:36], off
	global_load_b64 v[7:8], v[1:2], off
	global_load_b64 v[9:10], v[3:4], off offset:2048
	global_load_b64 v[5:6], v[5:6], off offset:2048
	global_load_b64 v[3:4], v[37:38], off
	global_load_b64 v[1:2], v[37:38], off offset:2048
	s_mov_b32 s2, exec_lo
	v_cmpx_o_f64_e32 v[17:18], v[17:18]
	s_cbranch_execz .LBB168_71
; %bb.68:                               ;   in Loop: Header=BB168_67 Depth=1
	s_waitcnt vmcnt(5)
	v_dual_mov_b32 v38, v34 :: v_dual_mov_b32 v37, v33
	s_mov_b32 s18, exec_lo
	v_cmpx_o_f64_e32 v[33:34], v[33:34]
; %bb.69:                               ;   in Loop: Header=BB168_67 Depth=1
	v_cmp_lt_f64_e32 vcc_lo, v[33:34], v[17:18]
	v_dual_cndmask_b32 v38, v18, v34 :: v_dual_cndmask_b32 v37, v17, v33
; %bb.70:                               ;   in Loop: Header=BB168_67 Depth=1
	s_or_b32 exec_lo, exec_lo, s18
	s_delay_alu instid0(VALU_DEP_1)
	v_dual_mov_b32 v17, v37 :: v_dual_mov_b32 v18, v38
.LBB168_71:                             ;   in Loop: Header=BB168_67 Depth=1
	s_or_b32 exec_lo, exec_lo, s2
	s_delay_alu instid0(SALU_CYCLE_1) | instskip(NEXT) | instid1(VALU_DEP_1)
	s_mov_b32 s2, exec_lo
	v_cmpx_o_f64_e32 v[17:18], v[17:18]
	s_cbranch_execz .LBB168_75
; %bb.72:                               ;   in Loop: Header=BB168_67 Depth=1
	s_waitcnt vmcnt(15)
	v_dual_mov_b32 v38, v30 :: v_dual_mov_b32 v37, v29
	s_mov_b32 s18, exec_lo
	v_cmpx_o_f64_e32 v[29:30], v[29:30]
; %bb.73:                               ;   in Loop: Header=BB168_67 Depth=1
	v_cmp_lt_f64_e32 vcc_lo, v[29:30], v[17:18]
	v_dual_cndmask_b32 v38, v18, v30 :: v_dual_cndmask_b32 v37, v17, v29
; %bb.74:                               ;   in Loop: Header=BB168_67 Depth=1
	s_or_b32 exec_lo, exec_lo, s18
	s_delay_alu instid0(VALU_DEP_1)
	v_dual_mov_b32 v17, v37 :: v_dual_mov_b32 v18, v38
.LBB168_75:                             ;   in Loop: Header=BB168_67 Depth=1
	s_or_b32 exec_lo, exec_lo, s2
	s_delay_alu instid0(SALU_CYCLE_1) | instskip(NEXT) | instid1(VALU_DEP_1)
	;; [unrolled: 18-line block ×8, first 2 shown]
	s_mov_b32 s2, exec_lo
	v_cmpx_o_f64_e32 v[17:18], v[17:18]
	s_cbranch_execz .LBB168_103
; %bb.100:                              ;   in Loop: Header=BB168_67 Depth=1
	s_waitcnt vmcnt(11)
	v_dual_mov_b32 v38, v16 :: v_dual_mov_b32 v37, v15
	s_mov_b32 s18, exec_lo
	v_cmpx_o_f64_e32 v[15:16], v[15:16]
; %bb.101:                              ;   in Loop: Header=BB168_67 Depth=1
	v_cmp_lt_f64_e32 vcc_lo, v[15:16], v[17:18]
	v_dual_cndmask_b32 v38, v18, v16 :: v_dual_cndmask_b32 v37, v17, v15
; %bb.102:                              ;   in Loop: Header=BB168_67 Depth=1
	s_or_b32 exec_lo, exec_lo, s18
	s_delay_alu instid0(VALU_DEP_1)
	v_dual_mov_b32 v17, v37 :: v_dual_mov_b32 v18, v38
.LBB168_103:                            ;   in Loop: Header=BB168_67 Depth=1
	s_or_b32 exec_lo, exec_lo, s2
	s_delay_alu instid0(SALU_CYCLE_1) | instskip(NEXT) | instid1(VALU_DEP_1)
	s_mov_b32 s2, exec_lo
	v_cmpx_o_f64_e32 v[17:18], v[17:18]
	s_cbranch_execz .LBB168_107
; %bb.104:                              ;   in Loop: Header=BB168_67 Depth=1
	s_waitcnt vmcnt(7)
	v_dual_mov_b32 v38, v14 :: v_dual_mov_b32 v37, v13
	s_mov_b32 s18, exec_lo
	v_cmpx_o_f64_e32 v[13:14], v[13:14]
; %bb.105:                              ;   in Loop: Header=BB168_67 Depth=1
	v_cmp_lt_f64_e32 vcc_lo, v[13:14], v[17:18]
	v_dual_cndmask_b32 v38, v18, v14 :: v_dual_cndmask_b32 v37, v17, v13
; %bb.106:                              ;   in Loop: Header=BB168_67 Depth=1
	s_or_b32 exec_lo, exec_lo, s18
	s_delay_alu instid0(VALU_DEP_1)
	v_dual_mov_b32 v17, v37 :: v_dual_mov_b32 v18, v38
.LBB168_107:                            ;   in Loop: Header=BB168_67 Depth=1
	s_or_b32 exec_lo, exec_lo, s2
	s_delay_alu instid0(SALU_CYCLE_1) | instskip(NEXT) | instid1(VALU_DEP_1)
	;; [unrolled: 18-line block ×7, first 2 shown]
	s_mov_b32 s2, exec_lo
	v_cmpx_o_f64_e32 v[17:18], v[17:18]
	s_cbranch_execz .LBB168_131
; %bb.128:                              ;   in Loop: Header=BB168_67 Depth=1
	s_waitcnt vmcnt(0)
	v_dual_mov_b32 v38, v2 :: v_dual_mov_b32 v37, v1
	s_mov_b32 s18, exec_lo
	v_cmpx_o_f64_e32 v[1:2], v[1:2]
; %bb.129:                              ;   in Loop: Header=BB168_67 Depth=1
	v_cmp_lt_f64_e32 vcc_lo, v[1:2], v[17:18]
	v_dual_cndmask_b32 v38, v18, v2 :: v_dual_cndmask_b32 v37, v17, v1
; %bb.130:                              ;   in Loop: Header=BB168_67 Depth=1
	s_or_b32 exec_lo, exec_lo, s18
	s_delay_alu instid0(VALU_DEP_1)
	v_dual_mov_b32 v17, v37 :: v_dual_mov_b32 v18, v38
.LBB168_131:                            ;   in Loop: Header=BB168_67 Depth=1
	s_or_b32 exec_lo, exec_lo, s2
	s_add_u32 s18, s0, 0x1000
	s_addc_u32 s19, s1, 0
	s_add_u32 s0, s0, 0x2000
	s_addc_u32 s1, s1, 0
	v_add_co_u32 v35, vcc_lo, 0x8000, v35
	v_cmp_lt_i64_e64 s0, s[0:1], s[14:15]
	v_add_co_ci_u32_e32 v36, vcc_lo, 0, v36, vcc_lo
	s_delay_alu instid0(VALU_DEP_2)
	s_and_b32 vcc_lo, exec_lo, s0
	s_cbranch_vccz .LBB168_134
; %bb.132:                              ;   in Loop: Header=BB168_67 Depth=1
	s_mov_b64 s[0:1], s[18:19]
	s_branch .LBB168_67
.LBB168_133:
                                        ; implicit-def: $vgpr1_vgpr2
	s_cbranch_execnz .LBB168_268
	s_branch .LBB168_366
.LBB168_134:
	s_mov_b64 s[0:1], s[18:19]
.LBB168_135:
	s_delay_alu instid0(SALU_CYCLE_1)
	s_sub_i32 s2, s14, s0
	s_lshl_b64 s[0:1], s[0:1], 3
	s_mov_b32 s18, exec_lo
	s_add_u32 s0, s4, s0
	s_addc_u32 s1, s5, s1
	v_cmpx_gt_u32_e64 s2, v0
	s_cbranch_execz .LBB168_137
; %bb.136:
	global_load_b64 v[33:34], v39, s[0:1]
.LBB168_137:
	s_or_b32 exec_lo, exec_lo, s18
	v_or_b32_e32 v49, 0x100, v0
	s_mov_b32 s18, exec_lo
	s_delay_alu instid0(VALU_DEP_1)
	v_cmpx_gt_u32_e64 s2, v49
	s_cbranch_execz .LBB168_139
; %bb.138:
	global_load_b64 v[29:30], v39, s[0:1] offset:2048
.LBB168_139:
	s_or_b32 exec_lo, exec_lo, s18
	v_or_b32_e32 v48, 0x200, v0
	s_mov_b32 s18, exec_lo
	s_delay_alu instid0(VALU_DEP_1)
	v_cmpx_gt_u32_e64 s2, v48
	s_cbranch_execz .LBB168_141
; %bb.140:
	s_waitcnt vmcnt(1)
	v_lshlrev_b32_e32 v31, 3, v48
	global_load_b64 v[31:32], v31, s[0:1]
.LBB168_141:
	s_or_b32 exec_lo, exec_lo, s18
	v_or_b32_e32 v47, 0x300, v0
	s_mov_b32 s18, exec_lo
	s_delay_alu instid0(VALU_DEP_1)
	v_cmpx_gt_u32_e64 s2, v47
	s_cbranch_execz .LBB168_143
; %bb.142:
	s_waitcnt vmcnt(10)
	v_lshlrev_b32_e32 v27, 3, v47
	global_load_b64 v[27:28], v27, s[0:1]
.LBB168_143:
	;; [unrolled: 11-line block ×14, first 2 shown]
	s_or_b32 exec_lo, exec_lo, s18
	v_cmp_o_f64_e32 vcc_lo, v[17:18], v[17:18]
	v_cmp_gt_u32_e64 s0, s2, v0
	s_delay_alu instid0(VALU_DEP_1) | instskip(NEXT) | instid1(SALU_CYCLE_1)
	s_and_b32 s1, s0, vcc_lo
	s_and_saveexec_b32 s0, s1
	s_cbranch_execz .LBB168_171
; %bb.168:
	s_mov_b32 s1, exec_lo
	s_waitcnt vmcnt(0)
	v_cmpx_o_f64_e32 v[33:34], v[33:34]
; %bb.169:
	v_cmp_lt_f64_e32 vcc_lo, v[33:34], v[17:18]
	v_dual_cndmask_b32 v34, v18, v34 :: v_dual_cndmask_b32 v33, v17, v33
; %bb.170:
	s_or_b32 exec_lo, exec_lo, s1
	s_delay_alu instid0(VALU_DEP_1)
	v_dual_mov_b32 v17, v33 :: v_dual_mov_b32 v18, v34
.LBB168_171:
	s_or_b32 exec_lo, exec_lo, s0
	s_delay_alu instid0(VALU_DEP_1) | instskip(SKIP_1) | instid1(VALU_DEP_1)
	v_cmp_o_f64_e32 vcc_lo, v[17:18], v[17:18]
	v_cmp_gt_u32_e64 s0, s2, v49
	s_and_b32 s1, s0, vcc_lo
	s_delay_alu instid0(SALU_CYCLE_1)
	s_and_saveexec_b32 s0, s1
	s_cbranch_execz .LBB168_175
; %bb.172:
	s_mov_b32 s1, exec_lo
	s_waitcnt vmcnt(0)
	v_cmpx_o_f64_e32 v[29:30], v[29:30]
; %bb.173:
	v_cmp_lt_f64_e32 vcc_lo, v[29:30], v[17:18]
	v_dual_cndmask_b32 v30, v18, v30 :: v_dual_cndmask_b32 v29, v17, v29
; %bb.174:
	s_or_b32 exec_lo, exec_lo, s1
	s_delay_alu instid0(VALU_DEP_1)
	v_dual_mov_b32 v17, v29 :: v_dual_mov_b32 v18, v30
.LBB168_175:
	s_or_b32 exec_lo, exec_lo, s0
	s_delay_alu instid0(VALU_DEP_1) | instskip(SKIP_1) | instid1(VALU_DEP_1)
	v_cmp_o_f64_e32 vcc_lo, v[17:18], v[17:18]
	v_cmp_gt_u32_e64 s0, s2, v48
	s_and_b32 s1, s0, vcc_lo
	s_delay_alu instid0(SALU_CYCLE_1)
	;; [unrolled: 20-line block ×15, first 2 shown]
	s_and_saveexec_b32 s0, s1
	s_cbranch_execz .LBB168_231
; %bb.228:
	s_mov_b32 s1, exec_lo
	s_waitcnt vmcnt(0)
	v_cmpx_o_f64_e32 v[1:2], v[1:2]
; %bb.229:
	v_cmp_lt_f64_e32 vcc_lo, v[1:2], v[17:18]
	v_dual_cndmask_b32 v2, v18, v2 :: v_dual_cndmask_b32 v1, v17, v1
; %bb.230:
	s_or_b32 exec_lo, exec_lo, s1
	s_delay_alu instid0(VALU_DEP_1)
	v_dual_mov_b32 v18, v2 :: v_dual_mov_b32 v17, v1
.LBB168_231:
	s_or_b32 exec_lo, exec_lo, s0
	s_waitcnt vmcnt(0)
	s_delay_alu instid0(VALU_DEP_1) | instskip(NEXT) | instid1(VALU_DEP_2)
	v_mov_b32_dpp v1, v17 quad_perm:[1,0,3,2] row_mask:0xf bank_mask:0xf
	v_mov_b32_dpp v2, v18 quad_perm:[1,0,3,2] row_mask:0xf bank_mask:0xf
	s_mov_b32 s0, exec_lo
	s_delay_alu instid0(VALU_DEP_1)
	v_cmpx_o_f64_e32 v[1:2], v[1:2]
	s_xor_b32 s0, exec_lo, s0
	s_cbranch_execz .LBB168_235
; %bb.232:
	s_mov_b32 s1, exec_lo
	v_cmpx_o_f64_e32 v[17:18], v[17:18]
; %bb.233:
	v_cmp_lt_f64_e32 vcc_lo, v[17:18], v[1:2]
	v_dual_cndmask_b32 v18, v2, v18 :: v_dual_cndmask_b32 v17, v1, v17
; %bb.234:
	s_or_b32 exec_lo, exec_lo, s1
	s_delay_alu instid0(VALU_DEP_1)
	v_dual_mov_b32 v1, v17 :: v_dual_mov_b32 v2, v18
.LBB168_235:
	s_or_b32 exec_lo, exec_lo, s0
	s_delay_alu instid0(VALU_DEP_1) | instskip(NEXT) | instid1(VALU_DEP_2)
	v_mov_b32_dpp v3, v1 quad_perm:[2,3,0,1] row_mask:0xf bank_mask:0xf
	v_mov_b32_dpp v4, v2 quad_perm:[2,3,0,1] row_mask:0xf bank_mask:0xf
	s_mov_b32 s0, exec_lo
	s_delay_alu instid0(VALU_DEP_1)
	v_cmpx_o_f64_e32 v[3:4], v[3:4]
	s_cbranch_execz .LBB168_239
; %bb.236:
	s_mov_b32 s1, exec_lo
	v_cmpx_o_f64_e32 v[1:2], v[1:2]
; %bb.237:
	v_cmp_lt_f64_e32 vcc_lo, v[1:2], v[3:4]
	v_dual_cndmask_b32 v2, v4, v2 :: v_dual_cndmask_b32 v1, v3, v1
; %bb.238:
	s_or_b32 exec_lo, exec_lo, s1
	s_delay_alu instid0(VALU_DEP_1)
	v_dual_mov_b32 v4, v2 :: v_dual_mov_b32 v3, v1
.LBB168_239:
	s_or_b32 exec_lo, exec_lo, s0
	s_delay_alu instid0(VALU_DEP_1) | instskip(NEXT) | instid1(VALU_DEP_2)
	v_mov_b32_dpp v1, v3 row_ror:4 row_mask:0xf bank_mask:0xf
	v_mov_b32_dpp v2, v4 row_ror:4 row_mask:0xf bank_mask:0xf
	s_mov_b32 s0, exec_lo
	s_delay_alu instid0(VALU_DEP_1)
	v_cmpx_o_f64_e32 v[1:2], v[1:2]
	s_cbranch_execz .LBB168_243
; %bb.240:
	s_mov_b32 s1, exec_lo
	v_cmpx_o_f64_e32 v[3:4], v[3:4]
; %bb.241:
	v_cmp_lt_f64_e32 vcc_lo, v[3:4], v[1:2]
	v_dual_cndmask_b32 v4, v2, v4 :: v_dual_cndmask_b32 v3, v1, v3
; %bb.242:
	s_or_b32 exec_lo, exec_lo, s1
	s_delay_alu instid0(VALU_DEP_1)
	v_dual_mov_b32 v1, v3 :: v_dual_mov_b32 v2, v4
.LBB168_243:
	s_or_b32 exec_lo, exec_lo, s0
	s_delay_alu instid0(VALU_DEP_1) | instskip(NEXT) | instid1(VALU_DEP_2)
	v_mov_b32_dpp v3, v1 row_ror:8 row_mask:0xf bank_mask:0xf
	v_mov_b32_dpp v4, v2 row_ror:8 row_mask:0xf bank_mask:0xf
	s_mov_b32 s0, exec_lo
	s_delay_alu instid0(VALU_DEP_1)
	v_cmpx_o_f64_e32 v[3:4], v[3:4]
	s_cbranch_execz .LBB168_247
; %bb.244:
	s_mov_b32 s1, exec_lo
	v_cmpx_o_f64_e32 v[1:2], v[1:2]
; %bb.245:
	v_cmp_lt_f64_e32 vcc_lo, v[1:2], v[3:4]
	v_dual_cndmask_b32 v2, v4, v2 :: v_dual_cndmask_b32 v1, v3, v1
; %bb.246:
	s_or_b32 exec_lo, exec_lo, s1
	s_delay_alu instid0(VALU_DEP_1)
	v_dual_mov_b32 v4, v2 :: v_dual_mov_b32 v3, v1
.LBB168_247:
	s_or_b32 exec_lo, exec_lo, s0
	ds_swizzle_b32 v1, v3 offset:swizzle(BROADCAST,32,15)
	ds_swizzle_b32 v2, v4 offset:swizzle(BROADCAST,32,15)
	s_mov_b32 s0, exec_lo
	s_waitcnt lgkmcnt(0)
	v_cmpx_o_f64_e32 v[1:2], v[1:2]
	s_cbranch_execz .LBB168_251
; %bb.248:
	s_mov_b32 s1, exec_lo
	v_cmpx_o_f64_e32 v[3:4], v[3:4]
; %bb.249:
	v_cmp_lt_f64_e32 vcc_lo, v[3:4], v[1:2]
	v_dual_cndmask_b32 v4, v2, v4 :: v_dual_cndmask_b32 v3, v1, v3
; %bb.250:
	s_or_b32 exec_lo, exec_lo, s1
	s_delay_alu instid0(VALU_DEP_1)
	v_dual_mov_b32 v1, v3 :: v_dual_mov_b32 v2, v4
.LBB168_251:
	s_or_b32 exec_lo, exec_lo, s0
	v_mov_b32_e32 v3, 0
	v_mbcnt_lo_u32_b32 v5, -1, 0
	s_mov_b32 s0, exec_lo
	ds_bpermute_b32 v1, v3, v1 offset:124
	ds_bpermute_b32 v2, v3, v2 offset:124
	v_cmpx_eq_u32_e32 0, v5
	s_cbranch_execz .LBB168_253
; %bb.252:
	v_lshrrev_b32_e32 v3, 2, v0
	s_delay_alu instid0(VALU_DEP_1)
	v_and_b32_e32 v3, 56, v3
	s_waitcnt lgkmcnt(0)
	ds_store_b64 v3, v[1:2]
.LBB168_253:
	s_or_b32 exec_lo, exec_lo, s0
	s_delay_alu instid0(SALU_CYCLE_1)
	s_mov_b32 s1, exec_lo
	s_waitcnt lgkmcnt(0)
	s_barrier
	buffer_gl0_inv
	v_cmpx_gt_u32_e32 32, v0
	s_cbranch_execz .LBB168_267
; %bb.254:
	v_and_b32_e32 v6, 7, v5
	s_delay_alu instid0(VALU_DEP_1) | instskip(SKIP_4) | instid1(VALU_DEP_1)
	v_lshlrev_b32_e32 v1, 3, v6
	v_cmp_ne_u32_e64 s0, 7, v6
	ds_load_b64 v[1:2], v1
	v_add_co_ci_u32_e64 v3, s0, 0, v5, s0
	s_mov_b32 s0, exec_lo
	v_lshlrev_b32_e32 v4, 2, v3
	s_waitcnt lgkmcnt(0)
	ds_bpermute_b32 v3, v4, v1
	ds_bpermute_b32 v4, v4, v2
	v_cmpx_o_f64_e32 v[1:2], v[1:2]
	s_cbranch_execz .LBB168_258
; %bb.255:
	s_mov_b32 s2, exec_lo
	s_waitcnt lgkmcnt(0)
	v_cmpx_o_f64_e32 v[3:4], v[3:4]
; %bb.256:
	v_cmp_gt_f64_e32 vcc_lo, v[1:2], v[3:4]
	v_dual_cndmask_b32 v4, v2, v4 :: v_dual_cndmask_b32 v3, v1, v3
; %bb.257:
	s_or_b32 exec_lo, exec_lo, s2
	s_delay_alu instid0(VALU_DEP_1)
	v_dual_mov_b32 v1, v3 :: v_dual_mov_b32 v2, v4
.LBB168_258:
	s_or_b32 exec_lo, exec_lo, s0
	v_cmp_gt_u32_e64 s0, 6, v6
	s_waitcnt lgkmcnt(1)
	s_delay_alu instid0(VALU_DEP_1) | instskip(SKIP_1) | instid1(VALU_DEP_1)
	v_cndmask_b32_e64 v3, 0, 1, s0
	s_mov_b32 s0, exec_lo
	v_lshlrev_b32_e32 v3, 1, v3
	s_waitcnt lgkmcnt(0)
	s_delay_alu instid0(VALU_DEP_1)
	v_add_lshl_u32 v4, v3, v5, 2
	ds_bpermute_b32 v3, v4, v1
	ds_bpermute_b32 v4, v4, v2
	v_cmpx_o_f64_e32 v[1:2], v[1:2]
	s_cbranch_execz .LBB168_262
; %bb.259:
	s_mov_b32 s2, exec_lo
	s_waitcnt lgkmcnt(0)
	v_cmpx_o_f64_e32 v[3:4], v[3:4]
; %bb.260:
	v_cmp_gt_f64_e32 vcc_lo, v[1:2], v[3:4]
	v_dual_cndmask_b32 v4, v2, v4 :: v_dual_cndmask_b32 v3, v1, v3
; %bb.261:
	s_or_b32 exec_lo, exec_lo, s2
	s_delay_alu instid0(VALU_DEP_1)
	v_dual_mov_b32 v1, v3 :: v_dual_mov_b32 v2, v4
.LBB168_262:
	s_or_b32 exec_lo, exec_lo, s0
	v_cmp_gt_u32_e64 s0, 4, v6
	s_waitcnt lgkmcnt(1)
	s_delay_alu instid0(VALU_DEP_1) | instskip(SKIP_1) | instid1(VALU_DEP_1)
	v_cndmask_b32_e64 v3, 0, 1, s0
	s_mov_b32 s0, exec_lo
	v_lshlrev_b32_e32 v3, 2, v3
	s_waitcnt lgkmcnt(0)
	s_delay_alu instid0(VALU_DEP_1)
	v_add_lshl_u32 v4, v3, v5, 2
	ds_bpermute_b32 v3, v4, v1
	ds_bpermute_b32 v4, v4, v2
	v_cmpx_o_f64_e32 v[1:2], v[1:2]
	s_cbranch_execz .LBB168_266
; %bb.263:
	s_mov_b32 s2, exec_lo
	s_waitcnt lgkmcnt(0)
	v_cmpx_o_f64_e32 v[3:4], v[3:4]
; %bb.264:
	v_cmp_gt_f64_e32 vcc_lo, v[1:2], v[3:4]
	v_dual_cndmask_b32 v4, v2, v4 :: v_dual_cndmask_b32 v3, v1, v3
; %bb.265:
	s_or_b32 exec_lo, exec_lo, s2
	s_delay_alu instid0(VALU_DEP_1)
	v_dual_mov_b32 v1, v3 :: v_dual_mov_b32 v2, v4
.LBB168_266:
	s_or_b32 exec_lo, exec_lo, s0
.LBB168_267:
	s_delay_alu instid0(SALU_CYCLE_1)
	s_or_b32 exec_lo, exec_lo, s1
	s_branch .LBB168_366
.LBB168_268:
	s_sub_i32 s1, s14, s16
	s_mov_b32 s2, exec_lo
                                        ; implicit-def: $vgpr3_vgpr4
	v_cmpx_gt_u32_e64 s1, v0
	s_cbranch_execz .LBB168_278
; %bb.269:
	v_add_co_u32 v1, s0, s16, v0
	s_delay_alu instid0(VALU_DEP_1) | instskip(SKIP_1) | instid1(VALU_DEP_1)
	v_add_co_ci_u32_e64 v2, null, s17, 0, s0
	s_waitcnt lgkmcnt(0)
	v_lshlrev_b64 v[3:4], 3, v[1:2]
	s_delay_alu instid0(VALU_DEP_1) | instskip(NEXT) | instid1(VALU_DEP_2)
	v_add_co_u32 v5, vcc_lo, s4, v3
	v_add_co_ci_u32_e32 v6, vcc_lo, s5, v4, vcc_lo
	v_add_co_u32 v1, vcc_lo, 0x100, v1
	v_add_co_ci_u32_e32 v2, vcc_lo, 0, v2, vcc_lo
	global_load_b64 v[3:4], v[5:6], off
	s_mov_b32 s4, exec_lo
	v_cmpx_gt_i64_e64 s[14:15], v[1:2]
	s_cbranch_execz .LBB168_277
; %bb.270:
	v_add_co_u32 v5, vcc_lo, 0x800, v5
	v_add_co_ci_u32_e32 v6, vcc_lo, 0, v6, vcc_lo
	s_mov_b32 s5, 0
	s_set_inst_prefetch_distance 0x1
	s_branch .LBB168_273
	.p2align	6
.LBB168_271:                            ;   in Loop: Header=BB168_273 Depth=1
	s_or_b32 exec_lo, exec_lo, s16
	s_delay_alu instid0(VALU_DEP_1)
	v_dual_mov_b32 v3, v7 :: v_dual_mov_b32 v4, v8
.LBB168_272:                            ;   in Loop: Header=BB168_273 Depth=1
	s_or_b32 exec_lo, exec_lo, s0
	v_add_co_u32 v1, vcc_lo, 0x100, v1
	v_add_co_ci_u32_e32 v2, vcc_lo, 0, v2, vcc_lo
	v_add_co_u32 v5, s0, 0x800, v5
	s_delay_alu instid0(VALU_DEP_1) | instskip(NEXT) | instid1(VALU_DEP_3)
	v_add_co_ci_u32_e64 v6, s0, 0, v6, s0
	v_cmp_le_i64_e32 vcc_lo, s[14:15], v[1:2]
	s_or_b32 s5, vcc_lo, s5
	s_delay_alu instid0(SALU_CYCLE_1)
	s_and_not1_b32 exec_lo, exec_lo, s5
	s_cbranch_execz .LBB168_276
.LBB168_273:                            ; =>This Inner Loop Header: Depth=1
	s_mov_b32 s0, exec_lo
	s_waitcnt vmcnt(0)
	v_cmpx_o_f64_e32 v[3:4], v[3:4]
	s_cbranch_execz .LBB168_272
; %bb.274:                              ;   in Loop: Header=BB168_273 Depth=1
	global_load_b64 v[7:8], v[5:6], off
	s_mov_b32 s16, exec_lo
	s_waitcnt vmcnt(0)
	v_cmpx_o_f64_e32 v[7:8], v[7:8]
	s_cbranch_execz .LBB168_271
; %bb.275:                              ;   in Loop: Header=BB168_273 Depth=1
	v_cmp_lt_f64_e32 vcc_lo, v[7:8], v[3:4]
	v_dual_cndmask_b32 v8, v4, v8 :: v_dual_cndmask_b32 v7, v3, v7
	s_branch .LBB168_271
.LBB168_276:
	s_set_inst_prefetch_distance 0x2
	s_or_b32 exec_lo, exec_lo, s5
.LBB168_277:
	s_delay_alu instid0(SALU_CYCLE_1)
	s_or_b32 exec_lo, exec_lo, s4
.LBB168_278:
	s_delay_alu instid0(SALU_CYCLE_1)
	s_or_b32 exec_lo, exec_lo, s2
	v_lshrrev_b32_e32 v10, 5, v0
	v_mbcnt_lo_u32_b32 v9, -1, 0
	s_cmpk_lt_u32 s1, 0x100
	s_mov_b32 s0, -1
	s_cbranch_scc0 .LBB168_328
; %bb.279:
	s_delay_alu instid0(VALU_DEP_1) | instskip(SKIP_3) | instid1(VALU_DEP_1)
	v_cmp_ne_u32_e32 vcc_lo, 31, v9
	s_waitcnt vmcnt(0) lgkmcnt(0)
	v_dual_mov_b32 v5, v3 :: v_dual_mov_b32 v6, v4
	v_add_co_ci_u32_e32 v1, vcc_lo, 0, v9, vcc_lo
	v_lshlrev_b32_e32 v1, 2, v1
	ds_bpermute_b32 v7, v1, v3
	ds_bpermute_b32 v8, v1, v4
	v_and_b32_e32 v1, 0xe0, v0
	s_delay_alu instid0(VALU_DEP_1) | instskip(SKIP_1) | instid1(VALU_DEP_1)
	v_sub_nc_u32_e64 v11, s1, v1 clamp
	v_add_nc_u32_e32 v1, 1, v9
	v_cmp_lt_u32_e32 vcc_lo, v1, v11
	v_dual_mov_b32 v1, v3 :: v_dual_mov_b32 v2, v4
	s_and_saveexec_b32 s0, vcc_lo
	s_cbranch_execz .LBB168_285
; %bb.280:
	v_dual_mov_b32 v6, v4 :: v_dual_mov_b32 v5, v3
	s_mov_b32 s2, exec_lo
	v_cmpx_o_f64_e32 v[3:4], v[3:4]
	s_cbranch_execz .LBB168_284
; %bb.281:
	s_mov_b32 s4, exec_lo
	s_waitcnt lgkmcnt(0)
	v_cmpx_o_f64_e32 v[7:8], v[7:8]
; %bb.282:
	v_cmp_gt_f64_e32 vcc_lo, v[3:4], v[7:8]
	v_dual_cndmask_b32 v8, v4, v8 :: v_dual_cndmask_b32 v7, v3, v7
; %bb.283:
	s_or_b32 exec_lo, exec_lo, s4
	s_delay_alu instid0(VALU_DEP_1)
	v_dual_mov_b32 v5, v7 :: v_dual_mov_b32 v6, v8
.LBB168_284:
	s_or_b32 exec_lo, exec_lo, s2
	s_delay_alu instid0(VALU_DEP_1)
	v_dual_mov_b32 v1, v5 :: v_dual_mov_b32 v2, v6
.LBB168_285:
	s_or_b32 exec_lo, exec_lo, s0
	v_cmp_gt_u32_e32 vcc_lo, 30, v9
	v_add_nc_u32_e32 v12, 2, v9
	s_mov_b32 s0, exec_lo
	s_waitcnt lgkmcnt(1)
	v_cndmask_b32_e64 v7, 0, 1, vcc_lo
	s_delay_alu instid0(VALU_DEP_1) | instskip(SKIP_1) | instid1(VALU_DEP_1)
	v_lshlrev_b32_e32 v7, 1, v7
	s_waitcnt lgkmcnt(0)
	v_add_lshl_u32 v8, v7, v9, 2
	ds_bpermute_b32 v7, v8, v5
	ds_bpermute_b32 v8, v8, v6
	v_cmpx_lt_u32_e64 v12, v11
	s_cbranch_execz .LBB168_291
; %bb.286:
	s_mov_b32 s2, exec_lo
	v_cmpx_o_f64_e32 v[1:2], v[1:2]
	s_cbranch_execz .LBB168_290
; %bb.287:
	s_mov_b32 s4, exec_lo
	s_waitcnt lgkmcnt(0)
	v_cmpx_o_f64_e32 v[7:8], v[7:8]
; %bb.288:
	v_cmp_gt_f64_e32 vcc_lo, v[1:2], v[7:8]
	v_dual_cndmask_b32 v8, v2, v8 :: v_dual_cndmask_b32 v7, v1, v7
; %bb.289:
	s_or_b32 exec_lo, exec_lo, s4
	s_delay_alu instid0(VALU_DEP_1)
	v_dual_mov_b32 v1, v7 :: v_dual_mov_b32 v2, v8
.LBB168_290:
	s_or_b32 exec_lo, exec_lo, s2
	s_delay_alu instid0(VALU_DEP_1)
	v_dual_mov_b32 v5, v1 :: v_dual_mov_b32 v6, v2
.LBB168_291:
	s_or_b32 exec_lo, exec_lo, s0
	v_cmp_gt_u32_e32 vcc_lo, 28, v9
	v_add_nc_u32_e32 v12, 4, v9
	s_mov_b32 s0, exec_lo
	s_waitcnt lgkmcnt(1)
	v_cndmask_b32_e64 v7, 0, 1, vcc_lo
	s_delay_alu instid0(VALU_DEP_1) | instskip(SKIP_1) | instid1(VALU_DEP_1)
	v_lshlrev_b32_e32 v7, 2, v7
	s_waitcnt lgkmcnt(0)
	v_add_lshl_u32 v8, v7, v9, 2
	ds_bpermute_b32 v7, v8, v5
	ds_bpermute_b32 v8, v8, v6
	v_cmpx_lt_u32_e64 v12, v11
	s_cbranch_execz .LBB168_297
; %bb.292:
	s_mov_b32 s2, exec_lo
	v_cmpx_o_f64_e32 v[1:2], v[1:2]
	s_cbranch_execz .LBB168_296
; %bb.293:
	s_mov_b32 s4, exec_lo
	s_waitcnt lgkmcnt(0)
	v_cmpx_o_f64_e32 v[7:8], v[7:8]
; %bb.294:
	v_cmp_gt_f64_e32 vcc_lo, v[1:2], v[7:8]
	v_dual_cndmask_b32 v8, v2, v8 :: v_dual_cndmask_b32 v7, v1, v7
; %bb.295:
	s_or_b32 exec_lo, exec_lo, s4
	s_delay_alu instid0(VALU_DEP_1)
	v_dual_mov_b32 v1, v7 :: v_dual_mov_b32 v2, v8
.LBB168_296:
	s_or_b32 exec_lo, exec_lo, s2
	s_delay_alu instid0(VALU_DEP_1)
	v_dual_mov_b32 v5, v1 :: v_dual_mov_b32 v6, v2
.LBB168_297:
	;; [unrolled: 34-line block ×3, first 2 shown]
	s_or_b32 exec_lo, exec_lo, s0
	v_cmp_o_f64_e32 vcc_lo, v[1:2], v[1:2]
	v_cmp_gt_u32_e64 s0, 16, v9
	s_waitcnt lgkmcnt(1)
	s_delay_alu instid0(VALU_DEP_1) | instskip(NEXT) | instid1(VALU_DEP_1)
	v_cndmask_b32_e64 v7, 0, 1, s0
	v_lshlrev_b32_e32 v7, 4, v7
	s_delay_alu instid0(VALU_DEP_1) | instskip(SKIP_3) | instid1(VALU_DEP_1)
	v_add_lshl_u32 v7, v7, v9, 2
	ds_bpermute_b32 v5, v7, v5
	ds_bpermute_b32 v6, v7, v6
	v_add_nc_u32_e32 v7, 16, v9
	v_cmp_lt_u32_e64 s0, v7, v11
	s_delay_alu instid0(VALU_DEP_1) | instskip(NEXT) | instid1(SALU_CYCLE_1)
	s_and_b32 s2, s0, vcc_lo
	s_and_saveexec_b32 s0, s2
	s_cbranch_execz .LBB168_307
; %bb.304:
	s_mov_b32 s2, exec_lo
	s_waitcnt lgkmcnt(0)
	v_cmpx_o_f64_e32 v[5:6], v[5:6]
; %bb.305:
	v_cmp_gt_f64_e32 vcc_lo, v[1:2], v[5:6]
	v_dual_cndmask_b32 v6, v2, v6 :: v_dual_cndmask_b32 v5, v1, v5
; %bb.306:
	s_or_b32 exec_lo, exec_lo, s2
	s_delay_alu instid0(VALU_DEP_1)
	v_dual_mov_b32 v1, v5 :: v_dual_mov_b32 v2, v6
.LBB168_307:
	s_or_b32 exec_lo, exec_lo, s0
	s_delay_alu instid0(SALU_CYCLE_1)
	s_mov_b32 s0, exec_lo
	v_cmpx_eq_u32_e32 0, v9
	s_cbranch_execz .LBB168_309
; %bb.308:
	s_waitcnt lgkmcnt(1)
	v_lshlrev_b32_e32 v5, 3, v10
	ds_store_b64 v5, v[1:2]
.LBB168_309:
	s_or_b32 exec_lo, exec_lo, s0
	s_delay_alu instid0(SALU_CYCLE_1)
	s_mov_b32 s2, exec_lo
	s_waitcnt lgkmcnt(0)
	s_barrier
	buffer_gl0_inv
	v_cmpx_gt_u32_e32 8, v0
	s_cbranch_execz .LBB168_327
; %bb.310:
	v_lshlrev_b32_e32 v1, 3, v9
	v_and_b32_e32 v7, 7, v9
	s_add_i32 s1, s1, 31
	s_mov_b32 s0, exec_lo
	s_lshr_b32 s1, s1, 5
	ds_load_b64 v[1:2], v1
	v_cmp_ne_u32_e32 vcc_lo, 7, v7
	v_add_nc_u32_e32 v8, 1, v7
	v_add_co_ci_u32_e32 v5, vcc_lo, 0, v9, vcc_lo
	s_delay_alu instid0(VALU_DEP_1)
	v_lshlrev_b32_e32 v6, 2, v5
	s_waitcnt lgkmcnt(0)
	ds_bpermute_b32 v5, v6, v1
	ds_bpermute_b32 v6, v6, v2
	v_cmpx_gt_u32_e64 s1, v8
	s_cbranch_execz .LBB168_316
; %bb.311:
	s_mov_b32 s4, exec_lo
	v_cmpx_o_f64_e32 v[1:2], v[1:2]
	s_cbranch_execz .LBB168_315
; %bb.312:
	s_mov_b32 s5, exec_lo
	s_waitcnt lgkmcnt(0)
	v_cmpx_o_f64_e32 v[5:6], v[5:6]
; %bb.313:
	v_cmp_gt_f64_e32 vcc_lo, v[1:2], v[5:6]
	v_dual_cndmask_b32 v6, v2, v6 :: v_dual_cndmask_b32 v5, v1, v5
; %bb.314:
	s_or_b32 exec_lo, exec_lo, s5
	s_delay_alu instid0(VALU_DEP_1)
	v_dual_mov_b32 v1, v5 :: v_dual_mov_b32 v2, v6
.LBB168_315:
	s_or_b32 exec_lo, exec_lo, s4
.LBB168_316:
	s_delay_alu instid0(SALU_CYCLE_1)
	s_or_b32 exec_lo, exec_lo, s0
	v_cmp_gt_u32_e32 vcc_lo, 6, v7
	v_add_nc_u32_e32 v8, 2, v7
	s_mov_b32 s0, exec_lo
	s_waitcnt lgkmcnt(1)
	v_cndmask_b32_e64 v5, 0, 1, vcc_lo
	s_delay_alu instid0(VALU_DEP_1) | instskip(SKIP_1) | instid1(VALU_DEP_1)
	v_lshlrev_b32_e32 v5, 1, v5
	s_waitcnt lgkmcnt(0)
	v_add_lshl_u32 v6, v5, v9, 2
	ds_bpermute_b32 v5, v6, v1
	ds_bpermute_b32 v6, v6, v2
	v_cmpx_gt_u32_e64 s1, v8
	s_cbranch_execz .LBB168_322
; %bb.317:
	s_mov_b32 s4, exec_lo
	v_cmpx_o_f64_e32 v[1:2], v[1:2]
	s_cbranch_execz .LBB168_321
; %bb.318:
	s_mov_b32 s5, exec_lo
	s_waitcnt lgkmcnt(0)
	v_cmpx_o_f64_e32 v[5:6], v[5:6]
; %bb.319:
	v_cmp_gt_f64_e32 vcc_lo, v[1:2], v[5:6]
	v_dual_cndmask_b32 v6, v2, v6 :: v_dual_cndmask_b32 v5, v1, v5
; %bb.320:
	s_or_b32 exec_lo, exec_lo, s5
	s_delay_alu instid0(VALU_DEP_1)
	v_dual_mov_b32 v1, v5 :: v_dual_mov_b32 v2, v6
.LBB168_321:
	s_or_b32 exec_lo, exec_lo, s4
.LBB168_322:
	s_delay_alu instid0(SALU_CYCLE_1) | instskip(NEXT) | instid1(VALU_DEP_1)
	s_or_b32 exec_lo, exec_lo, s0
	v_cmp_o_f64_e32 vcc_lo, v[1:2], v[1:2]
	v_cmp_gt_u32_e64 s0, 4, v7
	v_add_nc_u32_e32 v7, 4, v7
	s_waitcnt lgkmcnt(1)
	s_delay_alu instid0(VALU_DEP_2) | instskip(NEXT) | instid1(VALU_DEP_2)
	v_cndmask_b32_e64 v5, 0, 1, s0
	v_cmp_gt_u32_e64 s0, s1, v7
	s_delay_alu instid0(VALU_DEP_2) | instskip(SKIP_1) | instid1(VALU_DEP_1)
	v_lshlrev_b32_e32 v5, 2, v5
	s_waitcnt lgkmcnt(0)
	v_add_lshl_u32 v6, v5, v9, 2
	ds_bpermute_b32 v5, v6, v1
	ds_bpermute_b32 v6, v6, v2
	s_and_b32 s1, s0, vcc_lo
	s_delay_alu instid0(SALU_CYCLE_1)
	s_and_saveexec_b32 s0, s1
	s_cbranch_execz .LBB168_326
; %bb.323:
	s_mov_b32 s1, exec_lo
	s_waitcnt lgkmcnt(0)
	v_cmpx_o_f64_e32 v[5:6], v[5:6]
; %bb.324:
	v_cmp_gt_f64_e32 vcc_lo, v[1:2], v[5:6]
	v_dual_cndmask_b32 v6, v2, v6 :: v_dual_cndmask_b32 v5, v1, v5
; %bb.325:
	s_or_b32 exec_lo, exec_lo, s1
	s_delay_alu instid0(VALU_DEP_1)
	v_dual_mov_b32 v1, v5 :: v_dual_mov_b32 v2, v6
.LBB168_326:
	s_or_b32 exec_lo, exec_lo, s0
.LBB168_327:
	s_delay_alu instid0(SALU_CYCLE_1)
	s_or_b32 exec_lo, exec_lo, s2
	s_branch .LBB168_366
.LBB168_328:
                                        ; implicit-def: $vgpr1_vgpr2
	s_and_b32 vcc_lo, exec_lo, s0
	s_cbranch_vccz .LBB168_366
; %bb.329:
	s_waitcnt vmcnt(0) lgkmcnt(1)
	v_mov_b32_dpp v1, v3 quad_perm:[1,0,3,2] row_mask:0xf bank_mask:0xf
	s_waitcnt lgkmcnt(0)
	v_mov_b32_dpp v2, v4 quad_perm:[1,0,3,2] row_mask:0xf bank_mask:0xf
	s_mov_b32 s0, exec_lo
	s_delay_alu instid0(VALU_DEP_1)
	v_cmpx_o_f64_e32 v[1:2], v[1:2]
	s_cbranch_execz .LBB168_333
; %bb.330:
	s_mov_b32 s1, exec_lo
	v_cmpx_o_f64_e32 v[3:4], v[3:4]
; %bb.331:
	v_cmp_lt_f64_e32 vcc_lo, v[3:4], v[1:2]
	v_dual_cndmask_b32 v4, v2, v4 :: v_dual_cndmask_b32 v3, v1, v3
; %bb.332:
	s_or_b32 exec_lo, exec_lo, s1
	s_delay_alu instid0(VALU_DEP_1)
	v_dual_mov_b32 v1, v3 :: v_dual_mov_b32 v2, v4
.LBB168_333:
	s_or_b32 exec_lo, exec_lo, s0
	s_delay_alu instid0(VALU_DEP_1) | instskip(NEXT) | instid1(VALU_DEP_2)
	v_mov_b32_dpp v3, v1 quad_perm:[2,3,0,1] row_mask:0xf bank_mask:0xf
	v_mov_b32_dpp v4, v2 quad_perm:[2,3,0,1] row_mask:0xf bank_mask:0xf
	s_mov_b32 s0, exec_lo
	s_delay_alu instid0(VALU_DEP_1)
	v_cmpx_o_f64_e32 v[3:4], v[3:4]
	s_cbranch_execz .LBB168_337
; %bb.334:
	s_mov_b32 s1, exec_lo
	v_cmpx_o_f64_e32 v[1:2], v[1:2]
; %bb.335:
	v_cmp_lt_f64_e32 vcc_lo, v[1:2], v[3:4]
	v_dual_cndmask_b32 v2, v4, v2 :: v_dual_cndmask_b32 v1, v3, v1
; %bb.336:
	s_or_b32 exec_lo, exec_lo, s1
	s_delay_alu instid0(VALU_DEP_1)
	v_dual_mov_b32 v4, v2 :: v_dual_mov_b32 v3, v1
.LBB168_337:
	s_or_b32 exec_lo, exec_lo, s0
	s_delay_alu instid0(VALU_DEP_1) | instskip(NEXT) | instid1(VALU_DEP_2)
	v_mov_b32_dpp v1, v3 row_ror:4 row_mask:0xf bank_mask:0xf
	v_mov_b32_dpp v2, v4 row_ror:4 row_mask:0xf bank_mask:0xf
	s_mov_b32 s0, exec_lo
	s_delay_alu instid0(VALU_DEP_1)
	v_cmpx_o_f64_e32 v[1:2], v[1:2]
	s_cbranch_execz .LBB168_341
; %bb.338:
	s_mov_b32 s1, exec_lo
	v_cmpx_o_f64_e32 v[3:4], v[3:4]
; %bb.339:
	v_cmp_lt_f64_e32 vcc_lo, v[3:4], v[1:2]
	v_dual_cndmask_b32 v4, v2, v4 :: v_dual_cndmask_b32 v3, v1, v3
; %bb.340:
	s_or_b32 exec_lo, exec_lo, s1
	s_delay_alu instid0(VALU_DEP_1)
	v_dual_mov_b32 v1, v3 :: v_dual_mov_b32 v2, v4
.LBB168_341:
	s_or_b32 exec_lo, exec_lo, s0
	s_delay_alu instid0(VALU_DEP_1) | instskip(NEXT) | instid1(VALU_DEP_2)
	v_mov_b32_dpp v3, v1 row_ror:8 row_mask:0xf bank_mask:0xf
	v_mov_b32_dpp v4, v2 row_ror:8 row_mask:0xf bank_mask:0xf
	s_mov_b32 s0, exec_lo
	s_delay_alu instid0(VALU_DEP_1)
	v_cmpx_o_f64_e32 v[3:4], v[3:4]
	s_cbranch_execz .LBB168_345
; %bb.342:
	s_mov_b32 s1, exec_lo
	v_cmpx_o_f64_e32 v[1:2], v[1:2]
; %bb.343:
	v_cmp_lt_f64_e32 vcc_lo, v[1:2], v[3:4]
	v_dual_cndmask_b32 v2, v4, v2 :: v_dual_cndmask_b32 v1, v3, v1
; %bb.344:
	s_or_b32 exec_lo, exec_lo, s1
	s_delay_alu instid0(VALU_DEP_1)
	v_dual_mov_b32 v4, v2 :: v_dual_mov_b32 v3, v1
.LBB168_345:
	s_or_b32 exec_lo, exec_lo, s0
	ds_swizzle_b32 v1, v3 offset:swizzle(BROADCAST,32,15)
	ds_swizzle_b32 v2, v4 offset:swizzle(BROADCAST,32,15)
	s_mov_b32 s0, exec_lo
	s_waitcnt lgkmcnt(0)
	v_cmpx_o_f64_e32 v[1:2], v[1:2]
	s_cbranch_execz .LBB168_349
; %bb.346:
	s_mov_b32 s1, exec_lo
	v_cmpx_o_f64_e32 v[3:4], v[3:4]
; %bb.347:
	v_cmp_lt_f64_e32 vcc_lo, v[3:4], v[1:2]
	v_dual_cndmask_b32 v4, v2, v4 :: v_dual_cndmask_b32 v3, v1, v3
; %bb.348:
	s_or_b32 exec_lo, exec_lo, s1
	s_delay_alu instid0(VALU_DEP_1)
	v_dual_mov_b32 v1, v3 :: v_dual_mov_b32 v2, v4
.LBB168_349:
	s_or_b32 exec_lo, exec_lo, s0
	v_mov_b32_e32 v3, 0
	s_mov_b32 s0, exec_lo
	ds_bpermute_b32 v1, v3, v1 offset:124
	ds_bpermute_b32 v2, v3, v2 offset:124
	v_cmpx_eq_u32_e32 0, v9
	s_cbranch_execz .LBB168_351
; %bb.350:
	v_lshlrev_b32_e32 v3, 3, v10
	s_waitcnt lgkmcnt(0)
	ds_store_b64 v3, v[1:2]
.LBB168_351:
	s_or_b32 exec_lo, exec_lo, s0
	s_delay_alu instid0(SALU_CYCLE_1)
	s_mov_b32 s1, exec_lo
	s_waitcnt lgkmcnt(0)
	s_barrier
	buffer_gl0_inv
	v_cmpx_gt_u32_e32 32, v0
	s_cbranch_execz .LBB168_365
; %bb.352:
	v_and_b32_e32 v5, 7, v9
	s_delay_alu instid0(VALU_DEP_1) | instskip(SKIP_4) | instid1(VALU_DEP_1)
	v_lshlrev_b32_e32 v1, 3, v5
	v_cmp_ne_u32_e64 s0, 7, v5
	ds_load_b64 v[1:2], v1
	v_add_co_ci_u32_e64 v3, s0, 0, v9, s0
	s_mov_b32 s0, exec_lo
	v_lshlrev_b32_e32 v4, 2, v3
	s_waitcnt lgkmcnt(0)
	ds_bpermute_b32 v3, v4, v1
	ds_bpermute_b32 v4, v4, v2
	v_cmpx_o_f64_e32 v[1:2], v[1:2]
	s_cbranch_execz .LBB168_356
; %bb.353:
	s_mov_b32 s2, exec_lo
	s_waitcnt lgkmcnt(0)
	v_cmpx_o_f64_e32 v[3:4], v[3:4]
; %bb.354:
	v_cmp_gt_f64_e32 vcc_lo, v[1:2], v[3:4]
	v_dual_cndmask_b32 v4, v2, v4 :: v_dual_cndmask_b32 v3, v1, v3
; %bb.355:
	s_or_b32 exec_lo, exec_lo, s2
	s_delay_alu instid0(VALU_DEP_1)
	v_dual_mov_b32 v1, v3 :: v_dual_mov_b32 v2, v4
.LBB168_356:
	s_or_b32 exec_lo, exec_lo, s0
	v_cmp_gt_u32_e64 s0, 6, v5
	s_waitcnt lgkmcnt(1)
	s_delay_alu instid0(VALU_DEP_1) | instskip(SKIP_1) | instid1(VALU_DEP_1)
	v_cndmask_b32_e64 v3, 0, 1, s0
	s_mov_b32 s0, exec_lo
	v_lshlrev_b32_e32 v3, 1, v3
	s_waitcnt lgkmcnt(0)
	s_delay_alu instid0(VALU_DEP_1)
	v_add_lshl_u32 v4, v3, v9, 2
	ds_bpermute_b32 v3, v4, v1
	ds_bpermute_b32 v4, v4, v2
	v_cmpx_o_f64_e32 v[1:2], v[1:2]
	s_cbranch_execz .LBB168_360
; %bb.357:
	s_mov_b32 s2, exec_lo
	s_waitcnt lgkmcnt(0)
	v_cmpx_o_f64_e32 v[3:4], v[3:4]
; %bb.358:
	v_cmp_gt_f64_e32 vcc_lo, v[1:2], v[3:4]
	v_dual_cndmask_b32 v4, v2, v4 :: v_dual_cndmask_b32 v3, v1, v3
; %bb.359:
	s_or_b32 exec_lo, exec_lo, s2
	s_delay_alu instid0(VALU_DEP_1)
	v_dual_mov_b32 v1, v3 :: v_dual_mov_b32 v2, v4
.LBB168_360:
	s_or_b32 exec_lo, exec_lo, s0
	v_cmp_gt_u32_e64 s0, 4, v5
	s_waitcnt lgkmcnt(1)
	s_delay_alu instid0(VALU_DEP_1) | instskip(SKIP_1) | instid1(VALU_DEP_1)
	v_cndmask_b32_e64 v3, 0, 1, s0
	s_mov_b32 s0, exec_lo
	v_lshlrev_b32_e32 v3, 2, v3
	s_waitcnt lgkmcnt(0)
	s_delay_alu instid0(VALU_DEP_1)
	v_add_lshl_u32 v4, v3, v9, 2
	ds_bpermute_b32 v3, v4, v1
	ds_bpermute_b32 v4, v4, v2
	v_cmpx_o_f64_e32 v[1:2], v[1:2]
	s_cbranch_execz .LBB168_364
; %bb.361:
	s_mov_b32 s2, exec_lo
	s_waitcnt lgkmcnt(0)
	v_cmpx_o_f64_e32 v[3:4], v[3:4]
; %bb.362:
	v_cmp_gt_f64_e32 vcc_lo, v[1:2], v[3:4]
	v_dual_cndmask_b32 v4, v2, v4 :: v_dual_cndmask_b32 v3, v1, v3
; %bb.363:
	s_or_b32 exec_lo, exec_lo, s2
	s_delay_alu instid0(VALU_DEP_1)
	v_dual_mov_b32 v1, v3 :: v_dual_mov_b32 v2, v4
.LBB168_364:
	s_or_b32 exec_lo, exec_lo, s0
.LBB168_365:
	s_delay_alu instid0(SALU_CYCLE_1)
	s_or_b32 exec_lo, exec_lo, s1
.LBB168_366:
	s_delay_alu instid0(SALU_CYCLE_1)
	s_mov_b32 s0, exec_lo
                                        ; implicit-def: $vgpr3_vgpr4
	v_cmpx_eq_u32_e32 0, v0
	s_cbranch_execz .LBB168_372
; %bb.367:
	v_cmp_u_f64_e64 s1, s[12:13], s[12:13]
	s_waitcnt vmcnt(0) lgkmcnt(0)
	v_dual_mov_b32 v3, s12 :: v_dual_mov_b32 v4, s13
	s_delay_alu instid0(VALU_DEP_2)
	s_and_b32 vcc_lo, exec_lo, s1
	s_cbranch_vccnz .LBB168_371
; %bb.368:
	s_mov_b32 s1, exec_lo
	v_cmpx_o_f64_e32 v[1:2], v[1:2]
; %bb.369:
	v_cmp_gt_f64_e32 vcc_lo, s[12:13], v[1:2]
	v_cndmask_b32_e32 v2, s13, v2, vcc_lo
	v_cndmask_b32_e32 v1, s12, v1, vcc_lo
; %bb.370:
	s_or_b32 exec_lo, exec_lo, s1
	s_delay_alu instid0(VALU_DEP_1)
	v_dual_mov_b32 v4, v2 :: v_dual_mov_b32 v3, v1
.LBB168_371:
	s_or_b32 s3, s3, exec_lo
.LBB168_372:
	s_or_b32 exec_lo, exec_lo, s0
	s_and_saveexec_b32 s0, s3
	s_cbranch_execz .LBB168_374
.LBB168_373:
	s_add_u32 s0, s6, s8
	v_mov_b32_e32 v0, 0
	s_addc_u32 s1, s7, s9
	s_add_u32 s0, s0, s10
	s_addc_u32 s1, s1, s11
	s_waitcnt vmcnt(0) lgkmcnt(0)
	global_store_b64 v0, v[3:4], s[0:1]
.LBB168_374:
	s_nop 0
	s_sendmsg sendmsg(MSG_DEALLOC_VGPRS)
	s_endpgm
	.section	.rodata,"a",@progbits
	.p2align	6, 0x0
	.amdhsa_kernel _ZN7rocprim17ROCPRIM_400000_NS6detail17trampoline_kernelINS0_14default_configENS1_32segmented_reduce_config_selectorIdEEZNS1_21segmented_reduce_implIS3_PKdPdPKldN6hipcub16HIPCUB_304000_NS6detail27convert_result_type_wrapperIS8_S9_N2at6native12_GLOBAL__N_19CustomMinEEEEE10hipError_tPvRmT0_T1_jT2_SQ_T4_T3_P12ihipStream_tbEUlT_E_NS1_11comp_targetILNS1_3genE9ELNS1_11target_archE1100ELNS1_3gpuE3ELNS1_3repE0EEENS1_30default_config_static_selectorELNS0_4arch9wavefront6targetE0EEEvSP_
		.amdhsa_group_segment_fixed_size 64
		.amdhsa_private_segment_fixed_size 0
		.amdhsa_kernarg_size 56
		.amdhsa_user_sgpr_count 15
		.amdhsa_user_sgpr_dispatch_ptr 0
		.amdhsa_user_sgpr_queue_ptr 0
		.amdhsa_user_sgpr_kernarg_segment_ptr 1
		.amdhsa_user_sgpr_dispatch_id 0
		.amdhsa_user_sgpr_private_segment_size 0
		.amdhsa_wavefront_size32 1
		.amdhsa_uses_dynamic_stack 0
		.amdhsa_enable_private_segment 0
		.amdhsa_system_sgpr_workgroup_id_x 1
		.amdhsa_system_sgpr_workgroup_id_y 0
		.amdhsa_system_sgpr_workgroup_id_z 0
		.amdhsa_system_sgpr_workgroup_info 0
		.amdhsa_system_vgpr_workitem_id 0
		.amdhsa_next_free_vgpr 50
		.amdhsa_next_free_sgpr 22
		.amdhsa_reserve_vcc 1
		.amdhsa_float_round_mode_32 0
		.amdhsa_float_round_mode_16_64 0
		.amdhsa_float_denorm_mode_32 3
		.amdhsa_float_denorm_mode_16_64 3
		.amdhsa_dx10_clamp 1
		.amdhsa_ieee_mode 1
		.amdhsa_fp16_overflow 0
		.amdhsa_workgroup_processor_mode 1
		.amdhsa_memory_ordered 1
		.amdhsa_forward_progress 0
		.amdhsa_shared_vgpr_count 0
		.amdhsa_exception_fp_ieee_invalid_op 0
		.amdhsa_exception_fp_denorm_src 0
		.amdhsa_exception_fp_ieee_div_zero 0
		.amdhsa_exception_fp_ieee_overflow 0
		.amdhsa_exception_fp_ieee_underflow 0
		.amdhsa_exception_fp_ieee_inexact 0
		.amdhsa_exception_int_div_zero 0
	.end_amdhsa_kernel
	.section	.text._ZN7rocprim17ROCPRIM_400000_NS6detail17trampoline_kernelINS0_14default_configENS1_32segmented_reduce_config_selectorIdEEZNS1_21segmented_reduce_implIS3_PKdPdPKldN6hipcub16HIPCUB_304000_NS6detail27convert_result_type_wrapperIS8_S9_N2at6native12_GLOBAL__N_19CustomMinEEEEE10hipError_tPvRmT0_T1_jT2_SQ_T4_T3_P12ihipStream_tbEUlT_E_NS1_11comp_targetILNS1_3genE9ELNS1_11target_archE1100ELNS1_3gpuE3ELNS1_3repE0EEENS1_30default_config_static_selectorELNS0_4arch9wavefront6targetE0EEEvSP_,"axG",@progbits,_ZN7rocprim17ROCPRIM_400000_NS6detail17trampoline_kernelINS0_14default_configENS1_32segmented_reduce_config_selectorIdEEZNS1_21segmented_reduce_implIS3_PKdPdPKldN6hipcub16HIPCUB_304000_NS6detail27convert_result_type_wrapperIS8_S9_N2at6native12_GLOBAL__N_19CustomMinEEEEE10hipError_tPvRmT0_T1_jT2_SQ_T4_T3_P12ihipStream_tbEUlT_E_NS1_11comp_targetILNS1_3genE9ELNS1_11target_archE1100ELNS1_3gpuE3ELNS1_3repE0EEENS1_30default_config_static_selectorELNS0_4arch9wavefront6targetE0EEEvSP_,comdat
.Lfunc_end168:
	.size	_ZN7rocprim17ROCPRIM_400000_NS6detail17trampoline_kernelINS0_14default_configENS1_32segmented_reduce_config_selectorIdEEZNS1_21segmented_reduce_implIS3_PKdPdPKldN6hipcub16HIPCUB_304000_NS6detail27convert_result_type_wrapperIS8_S9_N2at6native12_GLOBAL__N_19CustomMinEEEEE10hipError_tPvRmT0_T1_jT2_SQ_T4_T3_P12ihipStream_tbEUlT_E_NS1_11comp_targetILNS1_3genE9ELNS1_11target_archE1100ELNS1_3gpuE3ELNS1_3repE0EEENS1_30default_config_static_selectorELNS0_4arch9wavefront6targetE0EEEvSP_, .Lfunc_end168-_ZN7rocprim17ROCPRIM_400000_NS6detail17trampoline_kernelINS0_14default_configENS1_32segmented_reduce_config_selectorIdEEZNS1_21segmented_reduce_implIS3_PKdPdPKldN6hipcub16HIPCUB_304000_NS6detail27convert_result_type_wrapperIS8_S9_N2at6native12_GLOBAL__N_19CustomMinEEEEE10hipError_tPvRmT0_T1_jT2_SQ_T4_T3_P12ihipStream_tbEUlT_E_NS1_11comp_targetILNS1_3genE9ELNS1_11target_archE1100ELNS1_3gpuE3ELNS1_3repE0EEENS1_30default_config_static_selectorELNS0_4arch9wavefront6targetE0EEEvSP_
                                        ; -- End function
	.section	.AMDGPU.csdata,"",@progbits
; Kernel info:
; codeLenInByte = 8440
; NumSgprs: 24
; NumVgprs: 50
; ScratchSize: 0
; MemoryBound: 1
; FloatMode: 240
; IeeeMode: 1
; LDSByteSize: 64 bytes/workgroup (compile time only)
; SGPRBlocks: 2
; VGPRBlocks: 6
; NumSGPRsForWavesPerEU: 24
; NumVGPRsForWavesPerEU: 50
; Occupancy: 16
; WaveLimiterHint : 1
; COMPUTE_PGM_RSRC2:SCRATCH_EN: 0
; COMPUTE_PGM_RSRC2:USER_SGPR: 15
; COMPUTE_PGM_RSRC2:TRAP_HANDLER: 0
; COMPUTE_PGM_RSRC2:TGID_X_EN: 1
; COMPUTE_PGM_RSRC2:TGID_Y_EN: 0
; COMPUTE_PGM_RSRC2:TGID_Z_EN: 0
; COMPUTE_PGM_RSRC2:TIDIG_COMP_CNT: 0
	.section	.text._ZN7rocprim17ROCPRIM_400000_NS6detail17trampoline_kernelINS0_14default_configENS1_32segmented_reduce_config_selectorIdEEZNS1_21segmented_reduce_implIS3_PKdPdPKldN6hipcub16HIPCUB_304000_NS6detail27convert_result_type_wrapperIS8_S9_N2at6native12_GLOBAL__N_19CustomMinEEEEE10hipError_tPvRmT0_T1_jT2_SQ_T4_T3_P12ihipStream_tbEUlT_E_NS1_11comp_targetILNS1_3genE8ELNS1_11target_archE1030ELNS1_3gpuE2ELNS1_3repE0EEENS1_30default_config_static_selectorELNS0_4arch9wavefront6targetE0EEEvSP_,"axG",@progbits,_ZN7rocprim17ROCPRIM_400000_NS6detail17trampoline_kernelINS0_14default_configENS1_32segmented_reduce_config_selectorIdEEZNS1_21segmented_reduce_implIS3_PKdPdPKldN6hipcub16HIPCUB_304000_NS6detail27convert_result_type_wrapperIS8_S9_N2at6native12_GLOBAL__N_19CustomMinEEEEE10hipError_tPvRmT0_T1_jT2_SQ_T4_T3_P12ihipStream_tbEUlT_E_NS1_11comp_targetILNS1_3genE8ELNS1_11target_archE1030ELNS1_3gpuE2ELNS1_3repE0EEENS1_30default_config_static_selectorELNS0_4arch9wavefront6targetE0EEEvSP_,comdat
	.globl	_ZN7rocprim17ROCPRIM_400000_NS6detail17trampoline_kernelINS0_14default_configENS1_32segmented_reduce_config_selectorIdEEZNS1_21segmented_reduce_implIS3_PKdPdPKldN6hipcub16HIPCUB_304000_NS6detail27convert_result_type_wrapperIS8_S9_N2at6native12_GLOBAL__N_19CustomMinEEEEE10hipError_tPvRmT0_T1_jT2_SQ_T4_T3_P12ihipStream_tbEUlT_E_NS1_11comp_targetILNS1_3genE8ELNS1_11target_archE1030ELNS1_3gpuE2ELNS1_3repE0EEENS1_30default_config_static_selectorELNS0_4arch9wavefront6targetE0EEEvSP_ ; -- Begin function _ZN7rocprim17ROCPRIM_400000_NS6detail17trampoline_kernelINS0_14default_configENS1_32segmented_reduce_config_selectorIdEEZNS1_21segmented_reduce_implIS3_PKdPdPKldN6hipcub16HIPCUB_304000_NS6detail27convert_result_type_wrapperIS8_S9_N2at6native12_GLOBAL__N_19CustomMinEEEEE10hipError_tPvRmT0_T1_jT2_SQ_T4_T3_P12ihipStream_tbEUlT_E_NS1_11comp_targetILNS1_3genE8ELNS1_11target_archE1030ELNS1_3gpuE2ELNS1_3repE0EEENS1_30default_config_static_selectorELNS0_4arch9wavefront6targetE0EEEvSP_
	.p2align	8
	.type	_ZN7rocprim17ROCPRIM_400000_NS6detail17trampoline_kernelINS0_14default_configENS1_32segmented_reduce_config_selectorIdEEZNS1_21segmented_reduce_implIS3_PKdPdPKldN6hipcub16HIPCUB_304000_NS6detail27convert_result_type_wrapperIS8_S9_N2at6native12_GLOBAL__N_19CustomMinEEEEE10hipError_tPvRmT0_T1_jT2_SQ_T4_T3_P12ihipStream_tbEUlT_E_NS1_11comp_targetILNS1_3genE8ELNS1_11target_archE1030ELNS1_3gpuE2ELNS1_3repE0EEENS1_30default_config_static_selectorELNS0_4arch9wavefront6targetE0EEEvSP_,@function
_ZN7rocprim17ROCPRIM_400000_NS6detail17trampoline_kernelINS0_14default_configENS1_32segmented_reduce_config_selectorIdEEZNS1_21segmented_reduce_implIS3_PKdPdPKldN6hipcub16HIPCUB_304000_NS6detail27convert_result_type_wrapperIS8_S9_N2at6native12_GLOBAL__N_19CustomMinEEEEE10hipError_tPvRmT0_T1_jT2_SQ_T4_T3_P12ihipStream_tbEUlT_E_NS1_11comp_targetILNS1_3genE8ELNS1_11target_archE1030ELNS1_3gpuE2ELNS1_3repE0EEENS1_30default_config_static_selectorELNS0_4arch9wavefront6targetE0EEEvSP_: ; @_ZN7rocprim17ROCPRIM_400000_NS6detail17trampoline_kernelINS0_14default_configENS1_32segmented_reduce_config_selectorIdEEZNS1_21segmented_reduce_implIS3_PKdPdPKldN6hipcub16HIPCUB_304000_NS6detail27convert_result_type_wrapperIS8_S9_N2at6native12_GLOBAL__N_19CustomMinEEEEE10hipError_tPvRmT0_T1_jT2_SQ_T4_T3_P12ihipStream_tbEUlT_E_NS1_11comp_targetILNS1_3genE8ELNS1_11target_archE1030ELNS1_3gpuE2ELNS1_3repE0EEENS1_30default_config_static_selectorELNS0_4arch9wavefront6targetE0EEEvSP_
; %bb.0:
	.section	.rodata,"a",@progbits
	.p2align	6, 0x0
	.amdhsa_kernel _ZN7rocprim17ROCPRIM_400000_NS6detail17trampoline_kernelINS0_14default_configENS1_32segmented_reduce_config_selectorIdEEZNS1_21segmented_reduce_implIS3_PKdPdPKldN6hipcub16HIPCUB_304000_NS6detail27convert_result_type_wrapperIS8_S9_N2at6native12_GLOBAL__N_19CustomMinEEEEE10hipError_tPvRmT0_T1_jT2_SQ_T4_T3_P12ihipStream_tbEUlT_E_NS1_11comp_targetILNS1_3genE8ELNS1_11target_archE1030ELNS1_3gpuE2ELNS1_3repE0EEENS1_30default_config_static_selectorELNS0_4arch9wavefront6targetE0EEEvSP_
		.amdhsa_group_segment_fixed_size 0
		.amdhsa_private_segment_fixed_size 0
		.amdhsa_kernarg_size 56
		.amdhsa_user_sgpr_count 15
		.amdhsa_user_sgpr_dispatch_ptr 0
		.amdhsa_user_sgpr_queue_ptr 0
		.amdhsa_user_sgpr_kernarg_segment_ptr 1
		.amdhsa_user_sgpr_dispatch_id 0
		.amdhsa_user_sgpr_private_segment_size 0
		.amdhsa_wavefront_size32 1
		.amdhsa_uses_dynamic_stack 0
		.amdhsa_enable_private_segment 0
		.amdhsa_system_sgpr_workgroup_id_x 1
		.amdhsa_system_sgpr_workgroup_id_y 0
		.amdhsa_system_sgpr_workgroup_id_z 0
		.amdhsa_system_sgpr_workgroup_info 0
		.amdhsa_system_vgpr_workitem_id 0
		.amdhsa_next_free_vgpr 1
		.amdhsa_next_free_sgpr 1
		.amdhsa_reserve_vcc 0
		.amdhsa_float_round_mode_32 0
		.amdhsa_float_round_mode_16_64 0
		.amdhsa_float_denorm_mode_32 3
		.amdhsa_float_denorm_mode_16_64 3
		.amdhsa_dx10_clamp 1
		.amdhsa_ieee_mode 1
		.amdhsa_fp16_overflow 0
		.amdhsa_workgroup_processor_mode 1
		.amdhsa_memory_ordered 1
		.amdhsa_forward_progress 0
		.amdhsa_shared_vgpr_count 0
		.amdhsa_exception_fp_ieee_invalid_op 0
		.amdhsa_exception_fp_denorm_src 0
		.amdhsa_exception_fp_ieee_div_zero 0
		.amdhsa_exception_fp_ieee_overflow 0
		.amdhsa_exception_fp_ieee_underflow 0
		.amdhsa_exception_fp_ieee_inexact 0
		.amdhsa_exception_int_div_zero 0
	.end_amdhsa_kernel
	.section	.text._ZN7rocprim17ROCPRIM_400000_NS6detail17trampoline_kernelINS0_14default_configENS1_32segmented_reduce_config_selectorIdEEZNS1_21segmented_reduce_implIS3_PKdPdPKldN6hipcub16HIPCUB_304000_NS6detail27convert_result_type_wrapperIS8_S9_N2at6native12_GLOBAL__N_19CustomMinEEEEE10hipError_tPvRmT0_T1_jT2_SQ_T4_T3_P12ihipStream_tbEUlT_E_NS1_11comp_targetILNS1_3genE8ELNS1_11target_archE1030ELNS1_3gpuE2ELNS1_3repE0EEENS1_30default_config_static_selectorELNS0_4arch9wavefront6targetE0EEEvSP_,"axG",@progbits,_ZN7rocprim17ROCPRIM_400000_NS6detail17trampoline_kernelINS0_14default_configENS1_32segmented_reduce_config_selectorIdEEZNS1_21segmented_reduce_implIS3_PKdPdPKldN6hipcub16HIPCUB_304000_NS6detail27convert_result_type_wrapperIS8_S9_N2at6native12_GLOBAL__N_19CustomMinEEEEE10hipError_tPvRmT0_T1_jT2_SQ_T4_T3_P12ihipStream_tbEUlT_E_NS1_11comp_targetILNS1_3genE8ELNS1_11target_archE1030ELNS1_3gpuE2ELNS1_3repE0EEENS1_30default_config_static_selectorELNS0_4arch9wavefront6targetE0EEEvSP_,comdat
.Lfunc_end169:
	.size	_ZN7rocprim17ROCPRIM_400000_NS6detail17trampoline_kernelINS0_14default_configENS1_32segmented_reduce_config_selectorIdEEZNS1_21segmented_reduce_implIS3_PKdPdPKldN6hipcub16HIPCUB_304000_NS6detail27convert_result_type_wrapperIS8_S9_N2at6native12_GLOBAL__N_19CustomMinEEEEE10hipError_tPvRmT0_T1_jT2_SQ_T4_T3_P12ihipStream_tbEUlT_E_NS1_11comp_targetILNS1_3genE8ELNS1_11target_archE1030ELNS1_3gpuE2ELNS1_3repE0EEENS1_30default_config_static_selectorELNS0_4arch9wavefront6targetE0EEEvSP_, .Lfunc_end169-_ZN7rocprim17ROCPRIM_400000_NS6detail17trampoline_kernelINS0_14default_configENS1_32segmented_reduce_config_selectorIdEEZNS1_21segmented_reduce_implIS3_PKdPdPKldN6hipcub16HIPCUB_304000_NS6detail27convert_result_type_wrapperIS8_S9_N2at6native12_GLOBAL__N_19CustomMinEEEEE10hipError_tPvRmT0_T1_jT2_SQ_T4_T3_P12ihipStream_tbEUlT_E_NS1_11comp_targetILNS1_3genE8ELNS1_11target_archE1030ELNS1_3gpuE2ELNS1_3repE0EEENS1_30default_config_static_selectorELNS0_4arch9wavefront6targetE0EEEvSP_
                                        ; -- End function
	.section	.AMDGPU.csdata,"",@progbits
; Kernel info:
; codeLenInByte = 0
; NumSgprs: 0
; NumVgprs: 0
; ScratchSize: 0
; MemoryBound: 0
; FloatMode: 240
; IeeeMode: 1
; LDSByteSize: 0 bytes/workgroup (compile time only)
; SGPRBlocks: 0
; VGPRBlocks: 0
; NumSGPRsForWavesPerEU: 1
; NumVGPRsForWavesPerEU: 1
; Occupancy: 16
; WaveLimiterHint : 0
; COMPUTE_PGM_RSRC2:SCRATCH_EN: 0
; COMPUTE_PGM_RSRC2:USER_SGPR: 15
; COMPUTE_PGM_RSRC2:TRAP_HANDLER: 0
; COMPUTE_PGM_RSRC2:TGID_X_EN: 1
; COMPUTE_PGM_RSRC2:TGID_Y_EN: 0
; COMPUTE_PGM_RSRC2:TGID_Z_EN: 0
; COMPUTE_PGM_RSRC2:TIDIG_COMP_CNT: 0
	.section	.text._ZN7rocprim17ROCPRIM_400000_NS6detail17trampoline_kernelINS0_14default_configENS1_32segmented_reduce_config_selectorIdEEZNS1_21segmented_reduce_implIS3_PKdPdPKldN6hipcub16HIPCUB_304000_NS6detail27convert_result_type_wrapperIS8_S9_N2at6native12_GLOBAL__N_110CustomProdEEEEE10hipError_tPvRmT0_T1_jT2_SQ_T4_T3_P12ihipStream_tbEUlT_E_NS1_11comp_targetILNS1_3genE0ELNS1_11target_archE4294967295ELNS1_3gpuE0ELNS1_3repE0EEENS1_30default_config_static_selectorELNS0_4arch9wavefront6targetE0EEEvSP_,"axG",@progbits,_ZN7rocprim17ROCPRIM_400000_NS6detail17trampoline_kernelINS0_14default_configENS1_32segmented_reduce_config_selectorIdEEZNS1_21segmented_reduce_implIS3_PKdPdPKldN6hipcub16HIPCUB_304000_NS6detail27convert_result_type_wrapperIS8_S9_N2at6native12_GLOBAL__N_110CustomProdEEEEE10hipError_tPvRmT0_T1_jT2_SQ_T4_T3_P12ihipStream_tbEUlT_E_NS1_11comp_targetILNS1_3genE0ELNS1_11target_archE4294967295ELNS1_3gpuE0ELNS1_3repE0EEENS1_30default_config_static_selectorELNS0_4arch9wavefront6targetE0EEEvSP_,comdat
	.globl	_ZN7rocprim17ROCPRIM_400000_NS6detail17trampoline_kernelINS0_14default_configENS1_32segmented_reduce_config_selectorIdEEZNS1_21segmented_reduce_implIS3_PKdPdPKldN6hipcub16HIPCUB_304000_NS6detail27convert_result_type_wrapperIS8_S9_N2at6native12_GLOBAL__N_110CustomProdEEEEE10hipError_tPvRmT0_T1_jT2_SQ_T4_T3_P12ihipStream_tbEUlT_E_NS1_11comp_targetILNS1_3genE0ELNS1_11target_archE4294967295ELNS1_3gpuE0ELNS1_3repE0EEENS1_30default_config_static_selectorELNS0_4arch9wavefront6targetE0EEEvSP_ ; -- Begin function _ZN7rocprim17ROCPRIM_400000_NS6detail17trampoline_kernelINS0_14default_configENS1_32segmented_reduce_config_selectorIdEEZNS1_21segmented_reduce_implIS3_PKdPdPKldN6hipcub16HIPCUB_304000_NS6detail27convert_result_type_wrapperIS8_S9_N2at6native12_GLOBAL__N_110CustomProdEEEEE10hipError_tPvRmT0_T1_jT2_SQ_T4_T3_P12ihipStream_tbEUlT_E_NS1_11comp_targetILNS1_3genE0ELNS1_11target_archE4294967295ELNS1_3gpuE0ELNS1_3repE0EEENS1_30default_config_static_selectorELNS0_4arch9wavefront6targetE0EEEvSP_
	.p2align	8
	.type	_ZN7rocprim17ROCPRIM_400000_NS6detail17trampoline_kernelINS0_14default_configENS1_32segmented_reduce_config_selectorIdEEZNS1_21segmented_reduce_implIS3_PKdPdPKldN6hipcub16HIPCUB_304000_NS6detail27convert_result_type_wrapperIS8_S9_N2at6native12_GLOBAL__N_110CustomProdEEEEE10hipError_tPvRmT0_T1_jT2_SQ_T4_T3_P12ihipStream_tbEUlT_E_NS1_11comp_targetILNS1_3genE0ELNS1_11target_archE4294967295ELNS1_3gpuE0ELNS1_3repE0EEENS1_30default_config_static_selectorELNS0_4arch9wavefront6targetE0EEEvSP_,@function
_ZN7rocprim17ROCPRIM_400000_NS6detail17trampoline_kernelINS0_14default_configENS1_32segmented_reduce_config_selectorIdEEZNS1_21segmented_reduce_implIS3_PKdPdPKldN6hipcub16HIPCUB_304000_NS6detail27convert_result_type_wrapperIS8_S9_N2at6native12_GLOBAL__N_110CustomProdEEEEE10hipError_tPvRmT0_T1_jT2_SQ_T4_T3_P12ihipStream_tbEUlT_E_NS1_11comp_targetILNS1_3genE0ELNS1_11target_archE4294967295ELNS1_3gpuE0ELNS1_3repE0EEENS1_30default_config_static_selectorELNS0_4arch9wavefront6targetE0EEEvSP_: ; @_ZN7rocprim17ROCPRIM_400000_NS6detail17trampoline_kernelINS0_14default_configENS1_32segmented_reduce_config_selectorIdEEZNS1_21segmented_reduce_implIS3_PKdPdPKldN6hipcub16HIPCUB_304000_NS6detail27convert_result_type_wrapperIS8_S9_N2at6native12_GLOBAL__N_110CustomProdEEEEE10hipError_tPvRmT0_T1_jT2_SQ_T4_T3_P12ihipStream_tbEUlT_E_NS1_11comp_targetILNS1_3genE0ELNS1_11target_archE4294967295ELNS1_3gpuE0ELNS1_3repE0EEENS1_30default_config_static_selectorELNS0_4arch9wavefront6targetE0EEEvSP_
; %bb.0:
	.section	.rodata,"a",@progbits
	.p2align	6, 0x0
	.amdhsa_kernel _ZN7rocprim17ROCPRIM_400000_NS6detail17trampoline_kernelINS0_14default_configENS1_32segmented_reduce_config_selectorIdEEZNS1_21segmented_reduce_implIS3_PKdPdPKldN6hipcub16HIPCUB_304000_NS6detail27convert_result_type_wrapperIS8_S9_N2at6native12_GLOBAL__N_110CustomProdEEEEE10hipError_tPvRmT0_T1_jT2_SQ_T4_T3_P12ihipStream_tbEUlT_E_NS1_11comp_targetILNS1_3genE0ELNS1_11target_archE4294967295ELNS1_3gpuE0ELNS1_3repE0EEENS1_30default_config_static_selectorELNS0_4arch9wavefront6targetE0EEEvSP_
		.amdhsa_group_segment_fixed_size 0
		.amdhsa_private_segment_fixed_size 0
		.amdhsa_kernarg_size 56
		.amdhsa_user_sgpr_count 15
		.amdhsa_user_sgpr_dispatch_ptr 0
		.amdhsa_user_sgpr_queue_ptr 0
		.amdhsa_user_sgpr_kernarg_segment_ptr 1
		.amdhsa_user_sgpr_dispatch_id 0
		.amdhsa_user_sgpr_private_segment_size 0
		.amdhsa_wavefront_size32 1
		.amdhsa_uses_dynamic_stack 0
		.amdhsa_enable_private_segment 0
		.amdhsa_system_sgpr_workgroup_id_x 1
		.amdhsa_system_sgpr_workgroup_id_y 0
		.amdhsa_system_sgpr_workgroup_id_z 0
		.amdhsa_system_sgpr_workgroup_info 0
		.amdhsa_system_vgpr_workitem_id 0
		.amdhsa_next_free_vgpr 1
		.amdhsa_next_free_sgpr 1
		.amdhsa_reserve_vcc 0
		.amdhsa_float_round_mode_32 0
		.amdhsa_float_round_mode_16_64 0
		.amdhsa_float_denorm_mode_32 3
		.amdhsa_float_denorm_mode_16_64 3
		.amdhsa_dx10_clamp 1
		.amdhsa_ieee_mode 1
		.amdhsa_fp16_overflow 0
		.amdhsa_workgroup_processor_mode 1
		.amdhsa_memory_ordered 1
		.amdhsa_forward_progress 0
		.amdhsa_shared_vgpr_count 0
		.amdhsa_exception_fp_ieee_invalid_op 0
		.amdhsa_exception_fp_denorm_src 0
		.amdhsa_exception_fp_ieee_div_zero 0
		.amdhsa_exception_fp_ieee_overflow 0
		.amdhsa_exception_fp_ieee_underflow 0
		.amdhsa_exception_fp_ieee_inexact 0
		.amdhsa_exception_int_div_zero 0
	.end_amdhsa_kernel
	.section	.text._ZN7rocprim17ROCPRIM_400000_NS6detail17trampoline_kernelINS0_14default_configENS1_32segmented_reduce_config_selectorIdEEZNS1_21segmented_reduce_implIS3_PKdPdPKldN6hipcub16HIPCUB_304000_NS6detail27convert_result_type_wrapperIS8_S9_N2at6native12_GLOBAL__N_110CustomProdEEEEE10hipError_tPvRmT0_T1_jT2_SQ_T4_T3_P12ihipStream_tbEUlT_E_NS1_11comp_targetILNS1_3genE0ELNS1_11target_archE4294967295ELNS1_3gpuE0ELNS1_3repE0EEENS1_30default_config_static_selectorELNS0_4arch9wavefront6targetE0EEEvSP_,"axG",@progbits,_ZN7rocprim17ROCPRIM_400000_NS6detail17trampoline_kernelINS0_14default_configENS1_32segmented_reduce_config_selectorIdEEZNS1_21segmented_reduce_implIS3_PKdPdPKldN6hipcub16HIPCUB_304000_NS6detail27convert_result_type_wrapperIS8_S9_N2at6native12_GLOBAL__N_110CustomProdEEEEE10hipError_tPvRmT0_T1_jT2_SQ_T4_T3_P12ihipStream_tbEUlT_E_NS1_11comp_targetILNS1_3genE0ELNS1_11target_archE4294967295ELNS1_3gpuE0ELNS1_3repE0EEENS1_30default_config_static_selectorELNS0_4arch9wavefront6targetE0EEEvSP_,comdat
.Lfunc_end170:
	.size	_ZN7rocprim17ROCPRIM_400000_NS6detail17trampoline_kernelINS0_14default_configENS1_32segmented_reduce_config_selectorIdEEZNS1_21segmented_reduce_implIS3_PKdPdPKldN6hipcub16HIPCUB_304000_NS6detail27convert_result_type_wrapperIS8_S9_N2at6native12_GLOBAL__N_110CustomProdEEEEE10hipError_tPvRmT0_T1_jT2_SQ_T4_T3_P12ihipStream_tbEUlT_E_NS1_11comp_targetILNS1_3genE0ELNS1_11target_archE4294967295ELNS1_3gpuE0ELNS1_3repE0EEENS1_30default_config_static_selectorELNS0_4arch9wavefront6targetE0EEEvSP_, .Lfunc_end170-_ZN7rocprim17ROCPRIM_400000_NS6detail17trampoline_kernelINS0_14default_configENS1_32segmented_reduce_config_selectorIdEEZNS1_21segmented_reduce_implIS3_PKdPdPKldN6hipcub16HIPCUB_304000_NS6detail27convert_result_type_wrapperIS8_S9_N2at6native12_GLOBAL__N_110CustomProdEEEEE10hipError_tPvRmT0_T1_jT2_SQ_T4_T3_P12ihipStream_tbEUlT_E_NS1_11comp_targetILNS1_3genE0ELNS1_11target_archE4294967295ELNS1_3gpuE0ELNS1_3repE0EEENS1_30default_config_static_selectorELNS0_4arch9wavefront6targetE0EEEvSP_
                                        ; -- End function
	.section	.AMDGPU.csdata,"",@progbits
; Kernel info:
; codeLenInByte = 0
; NumSgprs: 0
; NumVgprs: 0
; ScratchSize: 0
; MemoryBound: 0
; FloatMode: 240
; IeeeMode: 1
; LDSByteSize: 0 bytes/workgroup (compile time only)
; SGPRBlocks: 0
; VGPRBlocks: 0
; NumSGPRsForWavesPerEU: 1
; NumVGPRsForWavesPerEU: 1
; Occupancy: 16
; WaveLimiterHint : 0
; COMPUTE_PGM_RSRC2:SCRATCH_EN: 0
; COMPUTE_PGM_RSRC2:USER_SGPR: 15
; COMPUTE_PGM_RSRC2:TRAP_HANDLER: 0
; COMPUTE_PGM_RSRC2:TGID_X_EN: 1
; COMPUTE_PGM_RSRC2:TGID_Y_EN: 0
; COMPUTE_PGM_RSRC2:TGID_Z_EN: 0
; COMPUTE_PGM_RSRC2:TIDIG_COMP_CNT: 0
	.section	.text._ZN7rocprim17ROCPRIM_400000_NS6detail17trampoline_kernelINS0_14default_configENS1_32segmented_reduce_config_selectorIdEEZNS1_21segmented_reduce_implIS3_PKdPdPKldN6hipcub16HIPCUB_304000_NS6detail27convert_result_type_wrapperIS8_S9_N2at6native12_GLOBAL__N_110CustomProdEEEEE10hipError_tPvRmT0_T1_jT2_SQ_T4_T3_P12ihipStream_tbEUlT_E_NS1_11comp_targetILNS1_3genE5ELNS1_11target_archE942ELNS1_3gpuE9ELNS1_3repE0EEENS1_30default_config_static_selectorELNS0_4arch9wavefront6targetE0EEEvSP_,"axG",@progbits,_ZN7rocprim17ROCPRIM_400000_NS6detail17trampoline_kernelINS0_14default_configENS1_32segmented_reduce_config_selectorIdEEZNS1_21segmented_reduce_implIS3_PKdPdPKldN6hipcub16HIPCUB_304000_NS6detail27convert_result_type_wrapperIS8_S9_N2at6native12_GLOBAL__N_110CustomProdEEEEE10hipError_tPvRmT0_T1_jT2_SQ_T4_T3_P12ihipStream_tbEUlT_E_NS1_11comp_targetILNS1_3genE5ELNS1_11target_archE942ELNS1_3gpuE9ELNS1_3repE0EEENS1_30default_config_static_selectorELNS0_4arch9wavefront6targetE0EEEvSP_,comdat
	.globl	_ZN7rocprim17ROCPRIM_400000_NS6detail17trampoline_kernelINS0_14default_configENS1_32segmented_reduce_config_selectorIdEEZNS1_21segmented_reduce_implIS3_PKdPdPKldN6hipcub16HIPCUB_304000_NS6detail27convert_result_type_wrapperIS8_S9_N2at6native12_GLOBAL__N_110CustomProdEEEEE10hipError_tPvRmT0_T1_jT2_SQ_T4_T3_P12ihipStream_tbEUlT_E_NS1_11comp_targetILNS1_3genE5ELNS1_11target_archE942ELNS1_3gpuE9ELNS1_3repE0EEENS1_30default_config_static_selectorELNS0_4arch9wavefront6targetE0EEEvSP_ ; -- Begin function _ZN7rocprim17ROCPRIM_400000_NS6detail17trampoline_kernelINS0_14default_configENS1_32segmented_reduce_config_selectorIdEEZNS1_21segmented_reduce_implIS3_PKdPdPKldN6hipcub16HIPCUB_304000_NS6detail27convert_result_type_wrapperIS8_S9_N2at6native12_GLOBAL__N_110CustomProdEEEEE10hipError_tPvRmT0_T1_jT2_SQ_T4_T3_P12ihipStream_tbEUlT_E_NS1_11comp_targetILNS1_3genE5ELNS1_11target_archE942ELNS1_3gpuE9ELNS1_3repE0EEENS1_30default_config_static_selectorELNS0_4arch9wavefront6targetE0EEEvSP_
	.p2align	8
	.type	_ZN7rocprim17ROCPRIM_400000_NS6detail17trampoline_kernelINS0_14default_configENS1_32segmented_reduce_config_selectorIdEEZNS1_21segmented_reduce_implIS3_PKdPdPKldN6hipcub16HIPCUB_304000_NS6detail27convert_result_type_wrapperIS8_S9_N2at6native12_GLOBAL__N_110CustomProdEEEEE10hipError_tPvRmT0_T1_jT2_SQ_T4_T3_P12ihipStream_tbEUlT_E_NS1_11comp_targetILNS1_3genE5ELNS1_11target_archE942ELNS1_3gpuE9ELNS1_3repE0EEENS1_30default_config_static_selectorELNS0_4arch9wavefront6targetE0EEEvSP_,@function
_ZN7rocprim17ROCPRIM_400000_NS6detail17trampoline_kernelINS0_14default_configENS1_32segmented_reduce_config_selectorIdEEZNS1_21segmented_reduce_implIS3_PKdPdPKldN6hipcub16HIPCUB_304000_NS6detail27convert_result_type_wrapperIS8_S9_N2at6native12_GLOBAL__N_110CustomProdEEEEE10hipError_tPvRmT0_T1_jT2_SQ_T4_T3_P12ihipStream_tbEUlT_E_NS1_11comp_targetILNS1_3genE5ELNS1_11target_archE942ELNS1_3gpuE9ELNS1_3repE0EEENS1_30default_config_static_selectorELNS0_4arch9wavefront6targetE0EEEvSP_: ; @_ZN7rocprim17ROCPRIM_400000_NS6detail17trampoline_kernelINS0_14default_configENS1_32segmented_reduce_config_selectorIdEEZNS1_21segmented_reduce_implIS3_PKdPdPKldN6hipcub16HIPCUB_304000_NS6detail27convert_result_type_wrapperIS8_S9_N2at6native12_GLOBAL__N_110CustomProdEEEEE10hipError_tPvRmT0_T1_jT2_SQ_T4_T3_P12ihipStream_tbEUlT_E_NS1_11comp_targetILNS1_3genE5ELNS1_11target_archE942ELNS1_3gpuE9ELNS1_3repE0EEENS1_30default_config_static_selectorELNS0_4arch9wavefront6targetE0EEEvSP_
; %bb.0:
	.section	.rodata,"a",@progbits
	.p2align	6, 0x0
	.amdhsa_kernel _ZN7rocprim17ROCPRIM_400000_NS6detail17trampoline_kernelINS0_14default_configENS1_32segmented_reduce_config_selectorIdEEZNS1_21segmented_reduce_implIS3_PKdPdPKldN6hipcub16HIPCUB_304000_NS6detail27convert_result_type_wrapperIS8_S9_N2at6native12_GLOBAL__N_110CustomProdEEEEE10hipError_tPvRmT0_T1_jT2_SQ_T4_T3_P12ihipStream_tbEUlT_E_NS1_11comp_targetILNS1_3genE5ELNS1_11target_archE942ELNS1_3gpuE9ELNS1_3repE0EEENS1_30default_config_static_selectorELNS0_4arch9wavefront6targetE0EEEvSP_
		.amdhsa_group_segment_fixed_size 0
		.amdhsa_private_segment_fixed_size 0
		.amdhsa_kernarg_size 56
		.amdhsa_user_sgpr_count 15
		.amdhsa_user_sgpr_dispatch_ptr 0
		.amdhsa_user_sgpr_queue_ptr 0
		.amdhsa_user_sgpr_kernarg_segment_ptr 1
		.amdhsa_user_sgpr_dispatch_id 0
		.amdhsa_user_sgpr_private_segment_size 0
		.amdhsa_wavefront_size32 1
		.amdhsa_uses_dynamic_stack 0
		.amdhsa_enable_private_segment 0
		.amdhsa_system_sgpr_workgroup_id_x 1
		.amdhsa_system_sgpr_workgroup_id_y 0
		.amdhsa_system_sgpr_workgroup_id_z 0
		.amdhsa_system_sgpr_workgroup_info 0
		.amdhsa_system_vgpr_workitem_id 0
		.amdhsa_next_free_vgpr 1
		.amdhsa_next_free_sgpr 1
		.amdhsa_reserve_vcc 0
		.amdhsa_float_round_mode_32 0
		.amdhsa_float_round_mode_16_64 0
		.amdhsa_float_denorm_mode_32 3
		.amdhsa_float_denorm_mode_16_64 3
		.amdhsa_dx10_clamp 1
		.amdhsa_ieee_mode 1
		.amdhsa_fp16_overflow 0
		.amdhsa_workgroup_processor_mode 1
		.amdhsa_memory_ordered 1
		.amdhsa_forward_progress 0
		.amdhsa_shared_vgpr_count 0
		.amdhsa_exception_fp_ieee_invalid_op 0
		.amdhsa_exception_fp_denorm_src 0
		.amdhsa_exception_fp_ieee_div_zero 0
		.amdhsa_exception_fp_ieee_overflow 0
		.amdhsa_exception_fp_ieee_underflow 0
		.amdhsa_exception_fp_ieee_inexact 0
		.amdhsa_exception_int_div_zero 0
	.end_amdhsa_kernel
	.section	.text._ZN7rocprim17ROCPRIM_400000_NS6detail17trampoline_kernelINS0_14default_configENS1_32segmented_reduce_config_selectorIdEEZNS1_21segmented_reduce_implIS3_PKdPdPKldN6hipcub16HIPCUB_304000_NS6detail27convert_result_type_wrapperIS8_S9_N2at6native12_GLOBAL__N_110CustomProdEEEEE10hipError_tPvRmT0_T1_jT2_SQ_T4_T3_P12ihipStream_tbEUlT_E_NS1_11comp_targetILNS1_3genE5ELNS1_11target_archE942ELNS1_3gpuE9ELNS1_3repE0EEENS1_30default_config_static_selectorELNS0_4arch9wavefront6targetE0EEEvSP_,"axG",@progbits,_ZN7rocprim17ROCPRIM_400000_NS6detail17trampoline_kernelINS0_14default_configENS1_32segmented_reduce_config_selectorIdEEZNS1_21segmented_reduce_implIS3_PKdPdPKldN6hipcub16HIPCUB_304000_NS6detail27convert_result_type_wrapperIS8_S9_N2at6native12_GLOBAL__N_110CustomProdEEEEE10hipError_tPvRmT0_T1_jT2_SQ_T4_T3_P12ihipStream_tbEUlT_E_NS1_11comp_targetILNS1_3genE5ELNS1_11target_archE942ELNS1_3gpuE9ELNS1_3repE0EEENS1_30default_config_static_selectorELNS0_4arch9wavefront6targetE0EEEvSP_,comdat
.Lfunc_end171:
	.size	_ZN7rocprim17ROCPRIM_400000_NS6detail17trampoline_kernelINS0_14default_configENS1_32segmented_reduce_config_selectorIdEEZNS1_21segmented_reduce_implIS3_PKdPdPKldN6hipcub16HIPCUB_304000_NS6detail27convert_result_type_wrapperIS8_S9_N2at6native12_GLOBAL__N_110CustomProdEEEEE10hipError_tPvRmT0_T1_jT2_SQ_T4_T3_P12ihipStream_tbEUlT_E_NS1_11comp_targetILNS1_3genE5ELNS1_11target_archE942ELNS1_3gpuE9ELNS1_3repE0EEENS1_30default_config_static_selectorELNS0_4arch9wavefront6targetE0EEEvSP_, .Lfunc_end171-_ZN7rocprim17ROCPRIM_400000_NS6detail17trampoline_kernelINS0_14default_configENS1_32segmented_reduce_config_selectorIdEEZNS1_21segmented_reduce_implIS3_PKdPdPKldN6hipcub16HIPCUB_304000_NS6detail27convert_result_type_wrapperIS8_S9_N2at6native12_GLOBAL__N_110CustomProdEEEEE10hipError_tPvRmT0_T1_jT2_SQ_T4_T3_P12ihipStream_tbEUlT_E_NS1_11comp_targetILNS1_3genE5ELNS1_11target_archE942ELNS1_3gpuE9ELNS1_3repE0EEENS1_30default_config_static_selectorELNS0_4arch9wavefront6targetE0EEEvSP_
                                        ; -- End function
	.section	.AMDGPU.csdata,"",@progbits
; Kernel info:
; codeLenInByte = 0
; NumSgprs: 0
; NumVgprs: 0
; ScratchSize: 0
; MemoryBound: 0
; FloatMode: 240
; IeeeMode: 1
; LDSByteSize: 0 bytes/workgroup (compile time only)
; SGPRBlocks: 0
; VGPRBlocks: 0
; NumSGPRsForWavesPerEU: 1
; NumVGPRsForWavesPerEU: 1
; Occupancy: 16
; WaveLimiterHint : 0
; COMPUTE_PGM_RSRC2:SCRATCH_EN: 0
; COMPUTE_PGM_RSRC2:USER_SGPR: 15
; COMPUTE_PGM_RSRC2:TRAP_HANDLER: 0
; COMPUTE_PGM_RSRC2:TGID_X_EN: 1
; COMPUTE_PGM_RSRC2:TGID_Y_EN: 0
; COMPUTE_PGM_RSRC2:TGID_Z_EN: 0
; COMPUTE_PGM_RSRC2:TIDIG_COMP_CNT: 0
	.section	.text._ZN7rocprim17ROCPRIM_400000_NS6detail17trampoline_kernelINS0_14default_configENS1_32segmented_reduce_config_selectorIdEEZNS1_21segmented_reduce_implIS3_PKdPdPKldN6hipcub16HIPCUB_304000_NS6detail27convert_result_type_wrapperIS8_S9_N2at6native12_GLOBAL__N_110CustomProdEEEEE10hipError_tPvRmT0_T1_jT2_SQ_T4_T3_P12ihipStream_tbEUlT_E_NS1_11comp_targetILNS1_3genE10ELNS1_11target_archE1201ELNS1_3gpuE5ELNS1_3repE0EEENS1_30default_config_static_selectorELNS0_4arch9wavefront6targetE0EEEvSP_,"axG",@progbits,_ZN7rocprim17ROCPRIM_400000_NS6detail17trampoline_kernelINS0_14default_configENS1_32segmented_reduce_config_selectorIdEEZNS1_21segmented_reduce_implIS3_PKdPdPKldN6hipcub16HIPCUB_304000_NS6detail27convert_result_type_wrapperIS8_S9_N2at6native12_GLOBAL__N_110CustomProdEEEEE10hipError_tPvRmT0_T1_jT2_SQ_T4_T3_P12ihipStream_tbEUlT_E_NS1_11comp_targetILNS1_3genE10ELNS1_11target_archE1201ELNS1_3gpuE5ELNS1_3repE0EEENS1_30default_config_static_selectorELNS0_4arch9wavefront6targetE0EEEvSP_,comdat
	.globl	_ZN7rocprim17ROCPRIM_400000_NS6detail17trampoline_kernelINS0_14default_configENS1_32segmented_reduce_config_selectorIdEEZNS1_21segmented_reduce_implIS3_PKdPdPKldN6hipcub16HIPCUB_304000_NS6detail27convert_result_type_wrapperIS8_S9_N2at6native12_GLOBAL__N_110CustomProdEEEEE10hipError_tPvRmT0_T1_jT2_SQ_T4_T3_P12ihipStream_tbEUlT_E_NS1_11comp_targetILNS1_3genE10ELNS1_11target_archE1201ELNS1_3gpuE5ELNS1_3repE0EEENS1_30default_config_static_selectorELNS0_4arch9wavefront6targetE0EEEvSP_ ; -- Begin function _ZN7rocprim17ROCPRIM_400000_NS6detail17trampoline_kernelINS0_14default_configENS1_32segmented_reduce_config_selectorIdEEZNS1_21segmented_reduce_implIS3_PKdPdPKldN6hipcub16HIPCUB_304000_NS6detail27convert_result_type_wrapperIS8_S9_N2at6native12_GLOBAL__N_110CustomProdEEEEE10hipError_tPvRmT0_T1_jT2_SQ_T4_T3_P12ihipStream_tbEUlT_E_NS1_11comp_targetILNS1_3genE10ELNS1_11target_archE1201ELNS1_3gpuE5ELNS1_3repE0EEENS1_30default_config_static_selectorELNS0_4arch9wavefront6targetE0EEEvSP_
	.p2align	8
	.type	_ZN7rocprim17ROCPRIM_400000_NS6detail17trampoline_kernelINS0_14default_configENS1_32segmented_reduce_config_selectorIdEEZNS1_21segmented_reduce_implIS3_PKdPdPKldN6hipcub16HIPCUB_304000_NS6detail27convert_result_type_wrapperIS8_S9_N2at6native12_GLOBAL__N_110CustomProdEEEEE10hipError_tPvRmT0_T1_jT2_SQ_T4_T3_P12ihipStream_tbEUlT_E_NS1_11comp_targetILNS1_3genE10ELNS1_11target_archE1201ELNS1_3gpuE5ELNS1_3repE0EEENS1_30default_config_static_selectorELNS0_4arch9wavefront6targetE0EEEvSP_,@function
_ZN7rocprim17ROCPRIM_400000_NS6detail17trampoline_kernelINS0_14default_configENS1_32segmented_reduce_config_selectorIdEEZNS1_21segmented_reduce_implIS3_PKdPdPKldN6hipcub16HIPCUB_304000_NS6detail27convert_result_type_wrapperIS8_S9_N2at6native12_GLOBAL__N_110CustomProdEEEEE10hipError_tPvRmT0_T1_jT2_SQ_T4_T3_P12ihipStream_tbEUlT_E_NS1_11comp_targetILNS1_3genE10ELNS1_11target_archE1201ELNS1_3gpuE5ELNS1_3repE0EEENS1_30default_config_static_selectorELNS0_4arch9wavefront6targetE0EEEvSP_: ; @_ZN7rocprim17ROCPRIM_400000_NS6detail17trampoline_kernelINS0_14default_configENS1_32segmented_reduce_config_selectorIdEEZNS1_21segmented_reduce_implIS3_PKdPdPKldN6hipcub16HIPCUB_304000_NS6detail27convert_result_type_wrapperIS8_S9_N2at6native12_GLOBAL__N_110CustomProdEEEEE10hipError_tPvRmT0_T1_jT2_SQ_T4_T3_P12ihipStream_tbEUlT_E_NS1_11comp_targetILNS1_3genE10ELNS1_11target_archE1201ELNS1_3gpuE5ELNS1_3repE0EEENS1_30default_config_static_selectorELNS0_4arch9wavefront6targetE0EEEvSP_
; %bb.0:
	.section	.rodata,"a",@progbits
	.p2align	6, 0x0
	.amdhsa_kernel _ZN7rocprim17ROCPRIM_400000_NS6detail17trampoline_kernelINS0_14default_configENS1_32segmented_reduce_config_selectorIdEEZNS1_21segmented_reduce_implIS3_PKdPdPKldN6hipcub16HIPCUB_304000_NS6detail27convert_result_type_wrapperIS8_S9_N2at6native12_GLOBAL__N_110CustomProdEEEEE10hipError_tPvRmT0_T1_jT2_SQ_T4_T3_P12ihipStream_tbEUlT_E_NS1_11comp_targetILNS1_3genE10ELNS1_11target_archE1201ELNS1_3gpuE5ELNS1_3repE0EEENS1_30default_config_static_selectorELNS0_4arch9wavefront6targetE0EEEvSP_
		.amdhsa_group_segment_fixed_size 0
		.amdhsa_private_segment_fixed_size 0
		.amdhsa_kernarg_size 56
		.amdhsa_user_sgpr_count 15
		.amdhsa_user_sgpr_dispatch_ptr 0
		.amdhsa_user_sgpr_queue_ptr 0
		.amdhsa_user_sgpr_kernarg_segment_ptr 1
		.amdhsa_user_sgpr_dispatch_id 0
		.amdhsa_user_sgpr_private_segment_size 0
		.amdhsa_wavefront_size32 1
		.amdhsa_uses_dynamic_stack 0
		.amdhsa_enable_private_segment 0
		.amdhsa_system_sgpr_workgroup_id_x 1
		.amdhsa_system_sgpr_workgroup_id_y 0
		.amdhsa_system_sgpr_workgroup_id_z 0
		.amdhsa_system_sgpr_workgroup_info 0
		.amdhsa_system_vgpr_workitem_id 0
		.amdhsa_next_free_vgpr 1
		.amdhsa_next_free_sgpr 1
		.amdhsa_reserve_vcc 0
		.amdhsa_float_round_mode_32 0
		.amdhsa_float_round_mode_16_64 0
		.amdhsa_float_denorm_mode_32 3
		.amdhsa_float_denorm_mode_16_64 3
		.amdhsa_dx10_clamp 1
		.amdhsa_ieee_mode 1
		.amdhsa_fp16_overflow 0
		.amdhsa_workgroup_processor_mode 1
		.amdhsa_memory_ordered 1
		.amdhsa_forward_progress 0
		.amdhsa_shared_vgpr_count 0
		.amdhsa_exception_fp_ieee_invalid_op 0
		.amdhsa_exception_fp_denorm_src 0
		.amdhsa_exception_fp_ieee_div_zero 0
		.amdhsa_exception_fp_ieee_overflow 0
		.amdhsa_exception_fp_ieee_underflow 0
		.amdhsa_exception_fp_ieee_inexact 0
		.amdhsa_exception_int_div_zero 0
	.end_amdhsa_kernel
	.section	.text._ZN7rocprim17ROCPRIM_400000_NS6detail17trampoline_kernelINS0_14default_configENS1_32segmented_reduce_config_selectorIdEEZNS1_21segmented_reduce_implIS3_PKdPdPKldN6hipcub16HIPCUB_304000_NS6detail27convert_result_type_wrapperIS8_S9_N2at6native12_GLOBAL__N_110CustomProdEEEEE10hipError_tPvRmT0_T1_jT2_SQ_T4_T3_P12ihipStream_tbEUlT_E_NS1_11comp_targetILNS1_3genE10ELNS1_11target_archE1201ELNS1_3gpuE5ELNS1_3repE0EEENS1_30default_config_static_selectorELNS0_4arch9wavefront6targetE0EEEvSP_,"axG",@progbits,_ZN7rocprim17ROCPRIM_400000_NS6detail17trampoline_kernelINS0_14default_configENS1_32segmented_reduce_config_selectorIdEEZNS1_21segmented_reduce_implIS3_PKdPdPKldN6hipcub16HIPCUB_304000_NS6detail27convert_result_type_wrapperIS8_S9_N2at6native12_GLOBAL__N_110CustomProdEEEEE10hipError_tPvRmT0_T1_jT2_SQ_T4_T3_P12ihipStream_tbEUlT_E_NS1_11comp_targetILNS1_3genE10ELNS1_11target_archE1201ELNS1_3gpuE5ELNS1_3repE0EEENS1_30default_config_static_selectorELNS0_4arch9wavefront6targetE0EEEvSP_,comdat
.Lfunc_end172:
	.size	_ZN7rocprim17ROCPRIM_400000_NS6detail17trampoline_kernelINS0_14default_configENS1_32segmented_reduce_config_selectorIdEEZNS1_21segmented_reduce_implIS3_PKdPdPKldN6hipcub16HIPCUB_304000_NS6detail27convert_result_type_wrapperIS8_S9_N2at6native12_GLOBAL__N_110CustomProdEEEEE10hipError_tPvRmT0_T1_jT2_SQ_T4_T3_P12ihipStream_tbEUlT_E_NS1_11comp_targetILNS1_3genE10ELNS1_11target_archE1201ELNS1_3gpuE5ELNS1_3repE0EEENS1_30default_config_static_selectorELNS0_4arch9wavefront6targetE0EEEvSP_, .Lfunc_end172-_ZN7rocprim17ROCPRIM_400000_NS6detail17trampoline_kernelINS0_14default_configENS1_32segmented_reduce_config_selectorIdEEZNS1_21segmented_reduce_implIS3_PKdPdPKldN6hipcub16HIPCUB_304000_NS6detail27convert_result_type_wrapperIS8_S9_N2at6native12_GLOBAL__N_110CustomProdEEEEE10hipError_tPvRmT0_T1_jT2_SQ_T4_T3_P12ihipStream_tbEUlT_E_NS1_11comp_targetILNS1_3genE10ELNS1_11target_archE1201ELNS1_3gpuE5ELNS1_3repE0EEENS1_30default_config_static_selectorELNS0_4arch9wavefront6targetE0EEEvSP_
                                        ; -- End function
	.section	.AMDGPU.csdata,"",@progbits
; Kernel info:
; codeLenInByte = 0
; NumSgprs: 0
; NumVgprs: 0
; ScratchSize: 0
; MemoryBound: 0
; FloatMode: 240
; IeeeMode: 1
; LDSByteSize: 0 bytes/workgroup (compile time only)
; SGPRBlocks: 0
; VGPRBlocks: 0
; NumSGPRsForWavesPerEU: 1
; NumVGPRsForWavesPerEU: 1
; Occupancy: 16
; WaveLimiterHint : 0
; COMPUTE_PGM_RSRC2:SCRATCH_EN: 0
; COMPUTE_PGM_RSRC2:USER_SGPR: 15
; COMPUTE_PGM_RSRC2:TRAP_HANDLER: 0
; COMPUTE_PGM_RSRC2:TGID_X_EN: 1
; COMPUTE_PGM_RSRC2:TGID_Y_EN: 0
; COMPUTE_PGM_RSRC2:TGID_Z_EN: 0
; COMPUTE_PGM_RSRC2:TIDIG_COMP_CNT: 0
	.section	.text._ZN7rocprim17ROCPRIM_400000_NS6detail17trampoline_kernelINS0_14default_configENS1_32segmented_reduce_config_selectorIdEEZNS1_21segmented_reduce_implIS3_PKdPdPKldN6hipcub16HIPCUB_304000_NS6detail27convert_result_type_wrapperIS8_S9_N2at6native12_GLOBAL__N_110CustomProdEEEEE10hipError_tPvRmT0_T1_jT2_SQ_T4_T3_P12ihipStream_tbEUlT_E_NS1_11comp_targetILNS1_3genE4ELNS1_11target_archE910ELNS1_3gpuE8ELNS1_3repE0EEENS1_30default_config_static_selectorELNS0_4arch9wavefront6targetE0EEEvSP_,"axG",@progbits,_ZN7rocprim17ROCPRIM_400000_NS6detail17trampoline_kernelINS0_14default_configENS1_32segmented_reduce_config_selectorIdEEZNS1_21segmented_reduce_implIS3_PKdPdPKldN6hipcub16HIPCUB_304000_NS6detail27convert_result_type_wrapperIS8_S9_N2at6native12_GLOBAL__N_110CustomProdEEEEE10hipError_tPvRmT0_T1_jT2_SQ_T4_T3_P12ihipStream_tbEUlT_E_NS1_11comp_targetILNS1_3genE4ELNS1_11target_archE910ELNS1_3gpuE8ELNS1_3repE0EEENS1_30default_config_static_selectorELNS0_4arch9wavefront6targetE0EEEvSP_,comdat
	.globl	_ZN7rocprim17ROCPRIM_400000_NS6detail17trampoline_kernelINS0_14default_configENS1_32segmented_reduce_config_selectorIdEEZNS1_21segmented_reduce_implIS3_PKdPdPKldN6hipcub16HIPCUB_304000_NS6detail27convert_result_type_wrapperIS8_S9_N2at6native12_GLOBAL__N_110CustomProdEEEEE10hipError_tPvRmT0_T1_jT2_SQ_T4_T3_P12ihipStream_tbEUlT_E_NS1_11comp_targetILNS1_3genE4ELNS1_11target_archE910ELNS1_3gpuE8ELNS1_3repE0EEENS1_30default_config_static_selectorELNS0_4arch9wavefront6targetE0EEEvSP_ ; -- Begin function _ZN7rocprim17ROCPRIM_400000_NS6detail17trampoline_kernelINS0_14default_configENS1_32segmented_reduce_config_selectorIdEEZNS1_21segmented_reduce_implIS3_PKdPdPKldN6hipcub16HIPCUB_304000_NS6detail27convert_result_type_wrapperIS8_S9_N2at6native12_GLOBAL__N_110CustomProdEEEEE10hipError_tPvRmT0_T1_jT2_SQ_T4_T3_P12ihipStream_tbEUlT_E_NS1_11comp_targetILNS1_3genE4ELNS1_11target_archE910ELNS1_3gpuE8ELNS1_3repE0EEENS1_30default_config_static_selectorELNS0_4arch9wavefront6targetE0EEEvSP_
	.p2align	8
	.type	_ZN7rocprim17ROCPRIM_400000_NS6detail17trampoline_kernelINS0_14default_configENS1_32segmented_reduce_config_selectorIdEEZNS1_21segmented_reduce_implIS3_PKdPdPKldN6hipcub16HIPCUB_304000_NS6detail27convert_result_type_wrapperIS8_S9_N2at6native12_GLOBAL__N_110CustomProdEEEEE10hipError_tPvRmT0_T1_jT2_SQ_T4_T3_P12ihipStream_tbEUlT_E_NS1_11comp_targetILNS1_3genE4ELNS1_11target_archE910ELNS1_3gpuE8ELNS1_3repE0EEENS1_30default_config_static_selectorELNS0_4arch9wavefront6targetE0EEEvSP_,@function
_ZN7rocprim17ROCPRIM_400000_NS6detail17trampoline_kernelINS0_14default_configENS1_32segmented_reduce_config_selectorIdEEZNS1_21segmented_reduce_implIS3_PKdPdPKldN6hipcub16HIPCUB_304000_NS6detail27convert_result_type_wrapperIS8_S9_N2at6native12_GLOBAL__N_110CustomProdEEEEE10hipError_tPvRmT0_T1_jT2_SQ_T4_T3_P12ihipStream_tbEUlT_E_NS1_11comp_targetILNS1_3genE4ELNS1_11target_archE910ELNS1_3gpuE8ELNS1_3repE0EEENS1_30default_config_static_selectorELNS0_4arch9wavefront6targetE0EEEvSP_: ; @_ZN7rocprim17ROCPRIM_400000_NS6detail17trampoline_kernelINS0_14default_configENS1_32segmented_reduce_config_selectorIdEEZNS1_21segmented_reduce_implIS3_PKdPdPKldN6hipcub16HIPCUB_304000_NS6detail27convert_result_type_wrapperIS8_S9_N2at6native12_GLOBAL__N_110CustomProdEEEEE10hipError_tPvRmT0_T1_jT2_SQ_T4_T3_P12ihipStream_tbEUlT_E_NS1_11comp_targetILNS1_3genE4ELNS1_11target_archE910ELNS1_3gpuE8ELNS1_3repE0EEENS1_30default_config_static_selectorELNS0_4arch9wavefront6targetE0EEEvSP_
; %bb.0:
	.section	.rodata,"a",@progbits
	.p2align	6, 0x0
	.amdhsa_kernel _ZN7rocprim17ROCPRIM_400000_NS6detail17trampoline_kernelINS0_14default_configENS1_32segmented_reduce_config_selectorIdEEZNS1_21segmented_reduce_implIS3_PKdPdPKldN6hipcub16HIPCUB_304000_NS6detail27convert_result_type_wrapperIS8_S9_N2at6native12_GLOBAL__N_110CustomProdEEEEE10hipError_tPvRmT0_T1_jT2_SQ_T4_T3_P12ihipStream_tbEUlT_E_NS1_11comp_targetILNS1_3genE4ELNS1_11target_archE910ELNS1_3gpuE8ELNS1_3repE0EEENS1_30default_config_static_selectorELNS0_4arch9wavefront6targetE0EEEvSP_
		.amdhsa_group_segment_fixed_size 0
		.amdhsa_private_segment_fixed_size 0
		.amdhsa_kernarg_size 56
		.amdhsa_user_sgpr_count 15
		.amdhsa_user_sgpr_dispatch_ptr 0
		.amdhsa_user_sgpr_queue_ptr 0
		.amdhsa_user_sgpr_kernarg_segment_ptr 1
		.amdhsa_user_sgpr_dispatch_id 0
		.amdhsa_user_sgpr_private_segment_size 0
		.amdhsa_wavefront_size32 1
		.amdhsa_uses_dynamic_stack 0
		.amdhsa_enable_private_segment 0
		.amdhsa_system_sgpr_workgroup_id_x 1
		.amdhsa_system_sgpr_workgroup_id_y 0
		.amdhsa_system_sgpr_workgroup_id_z 0
		.amdhsa_system_sgpr_workgroup_info 0
		.amdhsa_system_vgpr_workitem_id 0
		.amdhsa_next_free_vgpr 1
		.amdhsa_next_free_sgpr 1
		.amdhsa_reserve_vcc 0
		.amdhsa_float_round_mode_32 0
		.amdhsa_float_round_mode_16_64 0
		.amdhsa_float_denorm_mode_32 3
		.amdhsa_float_denorm_mode_16_64 3
		.amdhsa_dx10_clamp 1
		.amdhsa_ieee_mode 1
		.amdhsa_fp16_overflow 0
		.amdhsa_workgroup_processor_mode 1
		.amdhsa_memory_ordered 1
		.amdhsa_forward_progress 0
		.amdhsa_shared_vgpr_count 0
		.amdhsa_exception_fp_ieee_invalid_op 0
		.amdhsa_exception_fp_denorm_src 0
		.amdhsa_exception_fp_ieee_div_zero 0
		.amdhsa_exception_fp_ieee_overflow 0
		.amdhsa_exception_fp_ieee_underflow 0
		.amdhsa_exception_fp_ieee_inexact 0
		.amdhsa_exception_int_div_zero 0
	.end_amdhsa_kernel
	.section	.text._ZN7rocprim17ROCPRIM_400000_NS6detail17trampoline_kernelINS0_14default_configENS1_32segmented_reduce_config_selectorIdEEZNS1_21segmented_reduce_implIS3_PKdPdPKldN6hipcub16HIPCUB_304000_NS6detail27convert_result_type_wrapperIS8_S9_N2at6native12_GLOBAL__N_110CustomProdEEEEE10hipError_tPvRmT0_T1_jT2_SQ_T4_T3_P12ihipStream_tbEUlT_E_NS1_11comp_targetILNS1_3genE4ELNS1_11target_archE910ELNS1_3gpuE8ELNS1_3repE0EEENS1_30default_config_static_selectorELNS0_4arch9wavefront6targetE0EEEvSP_,"axG",@progbits,_ZN7rocprim17ROCPRIM_400000_NS6detail17trampoline_kernelINS0_14default_configENS1_32segmented_reduce_config_selectorIdEEZNS1_21segmented_reduce_implIS3_PKdPdPKldN6hipcub16HIPCUB_304000_NS6detail27convert_result_type_wrapperIS8_S9_N2at6native12_GLOBAL__N_110CustomProdEEEEE10hipError_tPvRmT0_T1_jT2_SQ_T4_T3_P12ihipStream_tbEUlT_E_NS1_11comp_targetILNS1_3genE4ELNS1_11target_archE910ELNS1_3gpuE8ELNS1_3repE0EEENS1_30default_config_static_selectorELNS0_4arch9wavefront6targetE0EEEvSP_,comdat
.Lfunc_end173:
	.size	_ZN7rocprim17ROCPRIM_400000_NS6detail17trampoline_kernelINS0_14default_configENS1_32segmented_reduce_config_selectorIdEEZNS1_21segmented_reduce_implIS3_PKdPdPKldN6hipcub16HIPCUB_304000_NS6detail27convert_result_type_wrapperIS8_S9_N2at6native12_GLOBAL__N_110CustomProdEEEEE10hipError_tPvRmT0_T1_jT2_SQ_T4_T3_P12ihipStream_tbEUlT_E_NS1_11comp_targetILNS1_3genE4ELNS1_11target_archE910ELNS1_3gpuE8ELNS1_3repE0EEENS1_30default_config_static_selectorELNS0_4arch9wavefront6targetE0EEEvSP_, .Lfunc_end173-_ZN7rocprim17ROCPRIM_400000_NS6detail17trampoline_kernelINS0_14default_configENS1_32segmented_reduce_config_selectorIdEEZNS1_21segmented_reduce_implIS3_PKdPdPKldN6hipcub16HIPCUB_304000_NS6detail27convert_result_type_wrapperIS8_S9_N2at6native12_GLOBAL__N_110CustomProdEEEEE10hipError_tPvRmT0_T1_jT2_SQ_T4_T3_P12ihipStream_tbEUlT_E_NS1_11comp_targetILNS1_3genE4ELNS1_11target_archE910ELNS1_3gpuE8ELNS1_3repE0EEENS1_30default_config_static_selectorELNS0_4arch9wavefront6targetE0EEEvSP_
                                        ; -- End function
	.section	.AMDGPU.csdata,"",@progbits
; Kernel info:
; codeLenInByte = 0
; NumSgprs: 0
; NumVgprs: 0
; ScratchSize: 0
; MemoryBound: 0
; FloatMode: 240
; IeeeMode: 1
; LDSByteSize: 0 bytes/workgroup (compile time only)
; SGPRBlocks: 0
; VGPRBlocks: 0
; NumSGPRsForWavesPerEU: 1
; NumVGPRsForWavesPerEU: 1
; Occupancy: 16
; WaveLimiterHint : 0
; COMPUTE_PGM_RSRC2:SCRATCH_EN: 0
; COMPUTE_PGM_RSRC2:USER_SGPR: 15
; COMPUTE_PGM_RSRC2:TRAP_HANDLER: 0
; COMPUTE_PGM_RSRC2:TGID_X_EN: 1
; COMPUTE_PGM_RSRC2:TGID_Y_EN: 0
; COMPUTE_PGM_RSRC2:TGID_Z_EN: 0
; COMPUTE_PGM_RSRC2:TIDIG_COMP_CNT: 0
	.section	.text._ZN7rocprim17ROCPRIM_400000_NS6detail17trampoline_kernelINS0_14default_configENS1_32segmented_reduce_config_selectorIdEEZNS1_21segmented_reduce_implIS3_PKdPdPKldN6hipcub16HIPCUB_304000_NS6detail27convert_result_type_wrapperIS8_S9_N2at6native12_GLOBAL__N_110CustomProdEEEEE10hipError_tPvRmT0_T1_jT2_SQ_T4_T3_P12ihipStream_tbEUlT_E_NS1_11comp_targetILNS1_3genE3ELNS1_11target_archE908ELNS1_3gpuE7ELNS1_3repE0EEENS1_30default_config_static_selectorELNS0_4arch9wavefront6targetE0EEEvSP_,"axG",@progbits,_ZN7rocprim17ROCPRIM_400000_NS6detail17trampoline_kernelINS0_14default_configENS1_32segmented_reduce_config_selectorIdEEZNS1_21segmented_reduce_implIS3_PKdPdPKldN6hipcub16HIPCUB_304000_NS6detail27convert_result_type_wrapperIS8_S9_N2at6native12_GLOBAL__N_110CustomProdEEEEE10hipError_tPvRmT0_T1_jT2_SQ_T4_T3_P12ihipStream_tbEUlT_E_NS1_11comp_targetILNS1_3genE3ELNS1_11target_archE908ELNS1_3gpuE7ELNS1_3repE0EEENS1_30default_config_static_selectorELNS0_4arch9wavefront6targetE0EEEvSP_,comdat
	.globl	_ZN7rocprim17ROCPRIM_400000_NS6detail17trampoline_kernelINS0_14default_configENS1_32segmented_reduce_config_selectorIdEEZNS1_21segmented_reduce_implIS3_PKdPdPKldN6hipcub16HIPCUB_304000_NS6detail27convert_result_type_wrapperIS8_S9_N2at6native12_GLOBAL__N_110CustomProdEEEEE10hipError_tPvRmT0_T1_jT2_SQ_T4_T3_P12ihipStream_tbEUlT_E_NS1_11comp_targetILNS1_3genE3ELNS1_11target_archE908ELNS1_3gpuE7ELNS1_3repE0EEENS1_30default_config_static_selectorELNS0_4arch9wavefront6targetE0EEEvSP_ ; -- Begin function _ZN7rocprim17ROCPRIM_400000_NS6detail17trampoline_kernelINS0_14default_configENS1_32segmented_reduce_config_selectorIdEEZNS1_21segmented_reduce_implIS3_PKdPdPKldN6hipcub16HIPCUB_304000_NS6detail27convert_result_type_wrapperIS8_S9_N2at6native12_GLOBAL__N_110CustomProdEEEEE10hipError_tPvRmT0_T1_jT2_SQ_T4_T3_P12ihipStream_tbEUlT_E_NS1_11comp_targetILNS1_3genE3ELNS1_11target_archE908ELNS1_3gpuE7ELNS1_3repE0EEENS1_30default_config_static_selectorELNS0_4arch9wavefront6targetE0EEEvSP_
	.p2align	8
	.type	_ZN7rocprim17ROCPRIM_400000_NS6detail17trampoline_kernelINS0_14default_configENS1_32segmented_reduce_config_selectorIdEEZNS1_21segmented_reduce_implIS3_PKdPdPKldN6hipcub16HIPCUB_304000_NS6detail27convert_result_type_wrapperIS8_S9_N2at6native12_GLOBAL__N_110CustomProdEEEEE10hipError_tPvRmT0_T1_jT2_SQ_T4_T3_P12ihipStream_tbEUlT_E_NS1_11comp_targetILNS1_3genE3ELNS1_11target_archE908ELNS1_3gpuE7ELNS1_3repE0EEENS1_30default_config_static_selectorELNS0_4arch9wavefront6targetE0EEEvSP_,@function
_ZN7rocprim17ROCPRIM_400000_NS6detail17trampoline_kernelINS0_14default_configENS1_32segmented_reduce_config_selectorIdEEZNS1_21segmented_reduce_implIS3_PKdPdPKldN6hipcub16HIPCUB_304000_NS6detail27convert_result_type_wrapperIS8_S9_N2at6native12_GLOBAL__N_110CustomProdEEEEE10hipError_tPvRmT0_T1_jT2_SQ_T4_T3_P12ihipStream_tbEUlT_E_NS1_11comp_targetILNS1_3genE3ELNS1_11target_archE908ELNS1_3gpuE7ELNS1_3repE0EEENS1_30default_config_static_selectorELNS0_4arch9wavefront6targetE0EEEvSP_: ; @_ZN7rocprim17ROCPRIM_400000_NS6detail17trampoline_kernelINS0_14default_configENS1_32segmented_reduce_config_selectorIdEEZNS1_21segmented_reduce_implIS3_PKdPdPKldN6hipcub16HIPCUB_304000_NS6detail27convert_result_type_wrapperIS8_S9_N2at6native12_GLOBAL__N_110CustomProdEEEEE10hipError_tPvRmT0_T1_jT2_SQ_T4_T3_P12ihipStream_tbEUlT_E_NS1_11comp_targetILNS1_3genE3ELNS1_11target_archE908ELNS1_3gpuE7ELNS1_3repE0EEENS1_30default_config_static_selectorELNS0_4arch9wavefront6targetE0EEEvSP_
; %bb.0:
	.section	.rodata,"a",@progbits
	.p2align	6, 0x0
	.amdhsa_kernel _ZN7rocprim17ROCPRIM_400000_NS6detail17trampoline_kernelINS0_14default_configENS1_32segmented_reduce_config_selectorIdEEZNS1_21segmented_reduce_implIS3_PKdPdPKldN6hipcub16HIPCUB_304000_NS6detail27convert_result_type_wrapperIS8_S9_N2at6native12_GLOBAL__N_110CustomProdEEEEE10hipError_tPvRmT0_T1_jT2_SQ_T4_T3_P12ihipStream_tbEUlT_E_NS1_11comp_targetILNS1_3genE3ELNS1_11target_archE908ELNS1_3gpuE7ELNS1_3repE0EEENS1_30default_config_static_selectorELNS0_4arch9wavefront6targetE0EEEvSP_
		.amdhsa_group_segment_fixed_size 0
		.amdhsa_private_segment_fixed_size 0
		.amdhsa_kernarg_size 56
		.amdhsa_user_sgpr_count 15
		.amdhsa_user_sgpr_dispatch_ptr 0
		.amdhsa_user_sgpr_queue_ptr 0
		.amdhsa_user_sgpr_kernarg_segment_ptr 1
		.amdhsa_user_sgpr_dispatch_id 0
		.amdhsa_user_sgpr_private_segment_size 0
		.amdhsa_wavefront_size32 1
		.amdhsa_uses_dynamic_stack 0
		.amdhsa_enable_private_segment 0
		.amdhsa_system_sgpr_workgroup_id_x 1
		.amdhsa_system_sgpr_workgroup_id_y 0
		.amdhsa_system_sgpr_workgroup_id_z 0
		.amdhsa_system_sgpr_workgroup_info 0
		.amdhsa_system_vgpr_workitem_id 0
		.amdhsa_next_free_vgpr 1
		.amdhsa_next_free_sgpr 1
		.amdhsa_reserve_vcc 0
		.amdhsa_float_round_mode_32 0
		.amdhsa_float_round_mode_16_64 0
		.amdhsa_float_denorm_mode_32 3
		.amdhsa_float_denorm_mode_16_64 3
		.amdhsa_dx10_clamp 1
		.amdhsa_ieee_mode 1
		.amdhsa_fp16_overflow 0
		.amdhsa_workgroup_processor_mode 1
		.amdhsa_memory_ordered 1
		.amdhsa_forward_progress 0
		.amdhsa_shared_vgpr_count 0
		.amdhsa_exception_fp_ieee_invalid_op 0
		.amdhsa_exception_fp_denorm_src 0
		.amdhsa_exception_fp_ieee_div_zero 0
		.amdhsa_exception_fp_ieee_overflow 0
		.amdhsa_exception_fp_ieee_underflow 0
		.amdhsa_exception_fp_ieee_inexact 0
		.amdhsa_exception_int_div_zero 0
	.end_amdhsa_kernel
	.section	.text._ZN7rocprim17ROCPRIM_400000_NS6detail17trampoline_kernelINS0_14default_configENS1_32segmented_reduce_config_selectorIdEEZNS1_21segmented_reduce_implIS3_PKdPdPKldN6hipcub16HIPCUB_304000_NS6detail27convert_result_type_wrapperIS8_S9_N2at6native12_GLOBAL__N_110CustomProdEEEEE10hipError_tPvRmT0_T1_jT2_SQ_T4_T3_P12ihipStream_tbEUlT_E_NS1_11comp_targetILNS1_3genE3ELNS1_11target_archE908ELNS1_3gpuE7ELNS1_3repE0EEENS1_30default_config_static_selectorELNS0_4arch9wavefront6targetE0EEEvSP_,"axG",@progbits,_ZN7rocprim17ROCPRIM_400000_NS6detail17trampoline_kernelINS0_14default_configENS1_32segmented_reduce_config_selectorIdEEZNS1_21segmented_reduce_implIS3_PKdPdPKldN6hipcub16HIPCUB_304000_NS6detail27convert_result_type_wrapperIS8_S9_N2at6native12_GLOBAL__N_110CustomProdEEEEE10hipError_tPvRmT0_T1_jT2_SQ_T4_T3_P12ihipStream_tbEUlT_E_NS1_11comp_targetILNS1_3genE3ELNS1_11target_archE908ELNS1_3gpuE7ELNS1_3repE0EEENS1_30default_config_static_selectorELNS0_4arch9wavefront6targetE0EEEvSP_,comdat
.Lfunc_end174:
	.size	_ZN7rocprim17ROCPRIM_400000_NS6detail17trampoline_kernelINS0_14default_configENS1_32segmented_reduce_config_selectorIdEEZNS1_21segmented_reduce_implIS3_PKdPdPKldN6hipcub16HIPCUB_304000_NS6detail27convert_result_type_wrapperIS8_S9_N2at6native12_GLOBAL__N_110CustomProdEEEEE10hipError_tPvRmT0_T1_jT2_SQ_T4_T3_P12ihipStream_tbEUlT_E_NS1_11comp_targetILNS1_3genE3ELNS1_11target_archE908ELNS1_3gpuE7ELNS1_3repE0EEENS1_30default_config_static_selectorELNS0_4arch9wavefront6targetE0EEEvSP_, .Lfunc_end174-_ZN7rocprim17ROCPRIM_400000_NS6detail17trampoline_kernelINS0_14default_configENS1_32segmented_reduce_config_selectorIdEEZNS1_21segmented_reduce_implIS3_PKdPdPKldN6hipcub16HIPCUB_304000_NS6detail27convert_result_type_wrapperIS8_S9_N2at6native12_GLOBAL__N_110CustomProdEEEEE10hipError_tPvRmT0_T1_jT2_SQ_T4_T3_P12ihipStream_tbEUlT_E_NS1_11comp_targetILNS1_3genE3ELNS1_11target_archE908ELNS1_3gpuE7ELNS1_3repE0EEENS1_30default_config_static_selectorELNS0_4arch9wavefront6targetE0EEEvSP_
                                        ; -- End function
	.section	.AMDGPU.csdata,"",@progbits
; Kernel info:
; codeLenInByte = 0
; NumSgprs: 0
; NumVgprs: 0
; ScratchSize: 0
; MemoryBound: 0
; FloatMode: 240
; IeeeMode: 1
; LDSByteSize: 0 bytes/workgroup (compile time only)
; SGPRBlocks: 0
; VGPRBlocks: 0
; NumSGPRsForWavesPerEU: 1
; NumVGPRsForWavesPerEU: 1
; Occupancy: 16
; WaveLimiterHint : 0
; COMPUTE_PGM_RSRC2:SCRATCH_EN: 0
; COMPUTE_PGM_RSRC2:USER_SGPR: 15
; COMPUTE_PGM_RSRC2:TRAP_HANDLER: 0
; COMPUTE_PGM_RSRC2:TGID_X_EN: 1
; COMPUTE_PGM_RSRC2:TGID_Y_EN: 0
; COMPUTE_PGM_RSRC2:TGID_Z_EN: 0
; COMPUTE_PGM_RSRC2:TIDIG_COMP_CNT: 0
	.section	.text._ZN7rocprim17ROCPRIM_400000_NS6detail17trampoline_kernelINS0_14default_configENS1_32segmented_reduce_config_selectorIdEEZNS1_21segmented_reduce_implIS3_PKdPdPKldN6hipcub16HIPCUB_304000_NS6detail27convert_result_type_wrapperIS8_S9_N2at6native12_GLOBAL__N_110CustomProdEEEEE10hipError_tPvRmT0_T1_jT2_SQ_T4_T3_P12ihipStream_tbEUlT_E_NS1_11comp_targetILNS1_3genE2ELNS1_11target_archE906ELNS1_3gpuE6ELNS1_3repE0EEENS1_30default_config_static_selectorELNS0_4arch9wavefront6targetE0EEEvSP_,"axG",@progbits,_ZN7rocprim17ROCPRIM_400000_NS6detail17trampoline_kernelINS0_14default_configENS1_32segmented_reduce_config_selectorIdEEZNS1_21segmented_reduce_implIS3_PKdPdPKldN6hipcub16HIPCUB_304000_NS6detail27convert_result_type_wrapperIS8_S9_N2at6native12_GLOBAL__N_110CustomProdEEEEE10hipError_tPvRmT0_T1_jT2_SQ_T4_T3_P12ihipStream_tbEUlT_E_NS1_11comp_targetILNS1_3genE2ELNS1_11target_archE906ELNS1_3gpuE6ELNS1_3repE0EEENS1_30default_config_static_selectorELNS0_4arch9wavefront6targetE0EEEvSP_,comdat
	.globl	_ZN7rocprim17ROCPRIM_400000_NS6detail17trampoline_kernelINS0_14default_configENS1_32segmented_reduce_config_selectorIdEEZNS1_21segmented_reduce_implIS3_PKdPdPKldN6hipcub16HIPCUB_304000_NS6detail27convert_result_type_wrapperIS8_S9_N2at6native12_GLOBAL__N_110CustomProdEEEEE10hipError_tPvRmT0_T1_jT2_SQ_T4_T3_P12ihipStream_tbEUlT_E_NS1_11comp_targetILNS1_3genE2ELNS1_11target_archE906ELNS1_3gpuE6ELNS1_3repE0EEENS1_30default_config_static_selectorELNS0_4arch9wavefront6targetE0EEEvSP_ ; -- Begin function _ZN7rocprim17ROCPRIM_400000_NS6detail17trampoline_kernelINS0_14default_configENS1_32segmented_reduce_config_selectorIdEEZNS1_21segmented_reduce_implIS3_PKdPdPKldN6hipcub16HIPCUB_304000_NS6detail27convert_result_type_wrapperIS8_S9_N2at6native12_GLOBAL__N_110CustomProdEEEEE10hipError_tPvRmT0_T1_jT2_SQ_T4_T3_P12ihipStream_tbEUlT_E_NS1_11comp_targetILNS1_3genE2ELNS1_11target_archE906ELNS1_3gpuE6ELNS1_3repE0EEENS1_30default_config_static_selectorELNS0_4arch9wavefront6targetE0EEEvSP_
	.p2align	8
	.type	_ZN7rocprim17ROCPRIM_400000_NS6detail17trampoline_kernelINS0_14default_configENS1_32segmented_reduce_config_selectorIdEEZNS1_21segmented_reduce_implIS3_PKdPdPKldN6hipcub16HIPCUB_304000_NS6detail27convert_result_type_wrapperIS8_S9_N2at6native12_GLOBAL__N_110CustomProdEEEEE10hipError_tPvRmT0_T1_jT2_SQ_T4_T3_P12ihipStream_tbEUlT_E_NS1_11comp_targetILNS1_3genE2ELNS1_11target_archE906ELNS1_3gpuE6ELNS1_3repE0EEENS1_30default_config_static_selectorELNS0_4arch9wavefront6targetE0EEEvSP_,@function
_ZN7rocprim17ROCPRIM_400000_NS6detail17trampoline_kernelINS0_14default_configENS1_32segmented_reduce_config_selectorIdEEZNS1_21segmented_reduce_implIS3_PKdPdPKldN6hipcub16HIPCUB_304000_NS6detail27convert_result_type_wrapperIS8_S9_N2at6native12_GLOBAL__N_110CustomProdEEEEE10hipError_tPvRmT0_T1_jT2_SQ_T4_T3_P12ihipStream_tbEUlT_E_NS1_11comp_targetILNS1_3genE2ELNS1_11target_archE906ELNS1_3gpuE6ELNS1_3repE0EEENS1_30default_config_static_selectorELNS0_4arch9wavefront6targetE0EEEvSP_: ; @_ZN7rocprim17ROCPRIM_400000_NS6detail17trampoline_kernelINS0_14default_configENS1_32segmented_reduce_config_selectorIdEEZNS1_21segmented_reduce_implIS3_PKdPdPKldN6hipcub16HIPCUB_304000_NS6detail27convert_result_type_wrapperIS8_S9_N2at6native12_GLOBAL__N_110CustomProdEEEEE10hipError_tPvRmT0_T1_jT2_SQ_T4_T3_P12ihipStream_tbEUlT_E_NS1_11comp_targetILNS1_3genE2ELNS1_11target_archE906ELNS1_3gpuE6ELNS1_3repE0EEENS1_30default_config_static_selectorELNS0_4arch9wavefront6targetE0EEEvSP_
; %bb.0:
	.section	.rodata,"a",@progbits
	.p2align	6, 0x0
	.amdhsa_kernel _ZN7rocprim17ROCPRIM_400000_NS6detail17trampoline_kernelINS0_14default_configENS1_32segmented_reduce_config_selectorIdEEZNS1_21segmented_reduce_implIS3_PKdPdPKldN6hipcub16HIPCUB_304000_NS6detail27convert_result_type_wrapperIS8_S9_N2at6native12_GLOBAL__N_110CustomProdEEEEE10hipError_tPvRmT0_T1_jT2_SQ_T4_T3_P12ihipStream_tbEUlT_E_NS1_11comp_targetILNS1_3genE2ELNS1_11target_archE906ELNS1_3gpuE6ELNS1_3repE0EEENS1_30default_config_static_selectorELNS0_4arch9wavefront6targetE0EEEvSP_
		.amdhsa_group_segment_fixed_size 0
		.amdhsa_private_segment_fixed_size 0
		.amdhsa_kernarg_size 56
		.amdhsa_user_sgpr_count 15
		.amdhsa_user_sgpr_dispatch_ptr 0
		.amdhsa_user_sgpr_queue_ptr 0
		.amdhsa_user_sgpr_kernarg_segment_ptr 1
		.amdhsa_user_sgpr_dispatch_id 0
		.amdhsa_user_sgpr_private_segment_size 0
		.amdhsa_wavefront_size32 1
		.amdhsa_uses_dynamic_stack 0
		.amdhsa_enable_private_segment 0
		.amdhsa_system_sgpr_workgroup_id_x 1
		.amdhsa_system_sgpr_workgroup_id_y 0
		.amdhsa_system_sgpr_workgroup_id_z 0
		.amdhsa_system_sgpr_workgroup_info 0
		.amdhsa_system_vgpr_workitem_id 0
		.amdhsa_next_free_vgpr 1
		.amdhsa_next_free_sgpr 1
		.amdhsa_reserve_vcc 0
		.amdhsa_float_round_mode_32 0
		.amdhsa_float_round_mode_16_64 0
		.amdhsa_float_denorm_mode_32 3
		.amdhsa_float_denorm_mode_16_64 3
		.amdhsa_dx10_clamp 1
		.amdhsa_ieee_mode 1
		.amdhsa_fp16_overflow 0
		.amdhsa_workgroup_processor_mode 1
		.amdhsa_memory_ordered 1
		.amdhsa_forward_progress 0
		.amdhsa_shared_vgpr_count 0
		.amdhsa_exception_fp_ieee_invalid_op 0
		.amdhsa_exception_fp_denorm_src 0
		.amdhsa_exception_fp_ieee_div_zero 0
		.amdhsa_exception_fp_ieee_overflow 0
		.amdhsa_exception_fp_ieee_underflow 0
		.amdhsa_exception_fp_ieee_inexact 0
		.amdhsa_exception_int_div_zero 0
	.end_amdhsa_kernel
	.section	.text._ZN7rocprim17ROCPRIM_400000_NS6detail17trampoline_kernelINS0_14default_configENS1_32segmented_reduce_config_selectorIdEEZNS1_21segmented_reduce_implIS3_PKdPdPKldN6hipcub16HIPCUB_304000_NS6detail27convert_result_type_wrapperIS8_S9_N2at6native12_GLOBAL__N_110CustomProdEEEEE10hipError_tPvRmT0_T1_jT2_SQ_T4_T3_P12ihipStream_tbEUlT_E_NS1_11comp_targetILNS1_3genE2ELNS1_11target_archE906ELNS1_3gpuE6ELNS1_3repE0EEENS1_30default_config_static_selectorELNS0_4arch9wavefront6targetE0EEEvSP_,"axG",@progbits,_ZN7rocprim17ROCPRIM_400000_NS6detail17trampoline_kernelINS0_14default_configENS1_32segmented_reduce_config_selectorIdEEZNS1_21segmented_reduce_implIS3_PKdPdPKldN6hipcub16HIPCUB_304000_NS6detail27convert_result_type_wrapperIS8_S9_N2at6native12_GLOBAL__N_110CustomProdEEEEE10hipError_tPvRmT0_T1_jT2_SQ_T4_T3_P12ihipStream_tbEUlT_E_NS1_11comp_targetILNS1_3genE2ELNS1_11target_archE906ELNS1_3gpuE6ELNS1_3repE0EEENS1_30default_config_static_selectorELNS0_4arch9wavefront6targetE0EEEvSP_,comdat
.Lfunc_end175:
	.size	_ZN7rocprim17ROCPRIM_400000_NS6detail17trampoline_kernelINS0_14default_configENS1_32segmented_reduce_config_selectorIdEEZNS1_21segmented_reduce_implIS3_PKdPdPKldN6hipcub16HIPCUB_304000_NS6detail27convert_result_type_wrapperIS8_S9_N2at6native12_GLOBAL__N_110CustomProdEEEEE10hipError_tPvRmT0_T1_jT2_SQ_T4_T3_P12ihipStream_tbEUlT_E_NS1_11comp_targetILNS1_3genE2ELNS1_11target_archE906ELNS1_3gpuE6ELNS1_3repE0EEENS1_30default_config_static_selectorELNS0_4arch9wavefront6targetE0EEEvSP_, .Lfunc_end175-_ZN7rocprim17ROCPRIM_400000_NS6detail17trampoline_kernelINS0_14default_configENS1_32segmented_reduce_config_selectorIdEEZNS1_21segmented_reduce_implIS3_PKdPdPKldN6hipcub16HIPCUB_304000_NS6detail27convert_result_type_wrapperIS8_S9_N2at6native12_GLOBAL__N_110CustomProdEEEEE10hipError_tPvRmT0_T1_jT2_SQ_T4_T3_P12ihipStream_tbEUlT_E_NS1_11comp_targetILNS1_3genE2ELNS1_11target_archE906ELNS1_3gpuE6ELNS1_3repE0EEENS1_30default_config_static_selectorELNS0_4arch9wavefront6targetE0EEEvSP_
                                        ; -- End function
	.section	.AMDGPU.csdata,"",@progbits
; Kernel info:
; codeLenInByte = 0
; NumSgprs: 0
; NumVgprs: 0
; ScratchSize: 0
; MemoryBound: 0
; FloatMode: 240
; IeeeMode: 1
; LDSByteSize: 0 bytes/workgroup (compile time only)
; SGPRBlocks: 0
; VGPRBlocks: 0
; NumSGPRsForWavesPerEU: 1
; NumVGPRsForWavesPerEU: 1
; Occupancy: 16
; WaveLimiterHint : 0
; COMPUTE_PGM_RSRC2:SCRATCH_EN: 0
; COMPUTE_PGM_RSRC2:USER_SGPR: 15
; COMPUTE_PGM_RSRC2:TRAP_HANDLER: 0
; COMPUTE_PGM_RSRC2:TGID_X_EN: 1
; COMPUTE_PGM_RSRC2:TGID_Y_EN: 0
; COMPUTE_PGM_RSRC2:TGID_Z_EN: 0
; COMPUTE_PGM_RSRC2:TIDIG_COMP_CNT: 0
	.section	.text._ZN7rocprim17ROCPRIM_400000_NS6detail17trampoline_kernelINS0_14default_configENS1_32segmented_reduce_config_selectorIdEEZNS1_21segmented_reduce_implIS3_PKdPdPKldN6hipcub16HIPCUB_304000_NS6detail27convert_result_type_wrapperIS8_S9_N2at6native12_GLOBAL__N_110CustomProdEEEEE10hipError_tPvRmT0_T1_jT2_SQ_T4_T3_P12ihipStream_tbEUlT_E_NS1_11comp_targetILNS1_3genE9ELNS1_11target_archE1100ELNS1_3gpuE3ELNS1_3repE0EEENS1_30default_config_static_selectorELNS0_4arch9wavefront6targetE0EEEvSP_,"axG",@progbits,_ZN7rocprim17ROCPRIM_400000_NS6detail17trampoline_kernelINS0_14default_configENS1_32segmented_reduce_config_selectorIdEEZNS1_21segmented_reduce_implIS3_PKdPdPKldN6hipcub16HIPCUB_304000_NS6detail27convert_result_type_wrapperIS8_S9_N2at6native12_GLOBAL__N_110CustomProdEEEEE10hipError_tPvRmT0_T1_jT2_SQ_T4_T3_P12ihipStream_tbEUlT_E_NS1_11comp_targetILNS1_3genE9ELNS1_11target_archE1100ELNS1_3gpuE3ELNS1_3repE0EEENS1_30default_config_static_selectorELNS0_4arch9wavefront6targetE0EEEvSP_,comdat
	.globl	_ZN7rocprim17ROCPRIM_400000_NS6detail17trampoline_kernelINS0_14default_configENS1_32segmented_reduce_config_selectorIdEEZNS1_21segmented_reduce_implIS3_PKdPdPKldN6hipcub16HIPCUB_304000_NS6detail27convert_result_type_wrapperIS8_S9_N2at6native12_GLOBAL__N_110CustomProdEEEEE10hipError_tPvRmT0_T1_jT2_SQ_T4_T3_P12ihipStream_tbEUlT_E_NS1_11comp_targetILNS1_3genE9ELNS1_11target_archE1100ELNS1_3gpuE3ELNS1_3repE0EEENS1_30default_config_static_selectorELNS0_4arch9wavefront6targetE0EEEvSP_ ; -- Begin function _ZN7rocprim17ROCPRIM_400000_NS6detail17trampoline_kernelINS0_14default_configENS1_32segmented_reduce_config_selectorIdEEZNS1_21segmented_reduce_implIS3_PKdPdPKldN6hipcub16HIPCUB_304000_NS6detail27convert_result_type_wrapperIS8_S9_N2at6native12_GLOBAL__N_110CustomProdEEEEE10hipError_tPvRmT0_T1_jT2_SQ_T4_T3_P12ihipStream_tbEUlT_E_NS1_11comp_targetILNS1_3genE9ELNS1_11target_archE1100ELNS1_3gpuE3ELNS1_3repE0EEENS1_30default_config_static_selectorELNS0_4arch9wavefront6targetE0EEEvSP_
	.p2align	8
	.type	_ZN7rocprim17ROCPRIM_400000_NS6detail17trampoline_kernelINS0_14default_configENS1_32segmented_reduce_config_selectorIdEEZNS1_21segmented_reduce_implIS3_PKdPdPKldN6hipcub16HIPCUB_304000_NS6detail27convert_result_type_wrapperIS8_S9_N2at6native12_GLOBAL__N_110CustomProdEEEEE10hipError_tPvRmT0_T1_jT2_SQ_T4_T3_P12ihipStream_tbEUlT_E_NS1_11comp_targetILNS1_3genE9ELNS1_11target_archE1100ELNS1_3gpuE3ELNS1_3repE0EEENS1_30default_config_static_selectorELNS0_4arch9wavefront6targetE0EEEvSP_,@function
_ZN7rocprim17ROCPRIM_400000_NS6detail17trampoline_kernelINS0_14default_configENS1_32segmented_reduce_config_selectorIdEEZNS1_21segmented_reduce_implIS3_PKdPdPKldN6hipcub16HIPCUB_304000_NS6detail27convert_result_type_wrapperIS8_S9_N2at6native12_GLOBAL__N_110CustomProdEEEEE10hipError_tPvRmT0_T1_jT2_SQ_T4_T3_P12ihipStream_tbEUlT_E_NS1_11comp_targetILNS1_3genE9ELNS1_11target_archE1100ELNS1_3gpuE3ELNS1_3repE0EEENS1_30default_config_static_selectorELNS0_4arch9wavefront6targetE0EEEvSP_: ; @_ZN7rocprim17ROCPRIM_400000_NS6detail17trampoline_kernelINS0_14default_configENS1_32segmented_reduce_config_selectorIdEEZNS1_21segmented_reduce_implIS3_PKdPdPKldN6hipcub16HIPCUB_304000_NS6detail27convert_result_type_wrapperIS8_S9_N2at6native12_GLOBAL__N_110CustomProdEEEEE10hipError_tPvRmT0_T1_jT2_SQ_T4_T3_P12ihipStream_tbEUlT_E_NS1_11comp_targetILNS1_3genE9ELNS1_11target_archE1100ELNS1_3gpuE3ELNS1_3repE0EEENS1_30default_config_static_selectorELNS0_4arch9wavefront6targetE0EEEvSP_
; %bb.0:
	s_clause 0x2
	s_load_b256 s[16:23], s[0:1], 0x0
	s_load_b64 s[2:3], s[0:1], 0x20
	s_load_b64 s[24:25], s[0:1], 0x30
	s_mov_b32 s14, s15
	s_mov_b32 s15, 0
	s_waitcnt lgkmcnt(0)
	s_lshl_b64 s[20:21], s[20:21], 3
	s_delay_alu instid0(SALU_CYCLE_1) | instskip(SKIP_4) | instid1(SALU_CYCLE_1)
	s_add_u32 s0, s22, s20
	s_addc_u32 s1, s23, s21
	s_add_u32 s2, s2, s20
	s_addc_u32 s3, s3, s21
	s_lshl_b64 s[22:23], s[14:15], 3
	s_add_u32 s0, s0, s22
	s_addc_u32 s1, s1, s23
	s_add_u32 s2, s2, s22
	s_addc_u32 s3, s3, s23
	s_load_b64 s[28:29], s[0:1], 0x0
	s_load_b64 s[26:27], s[2:3], 0x0
	s_waitcnt lgkmcnt(0)
	v_cmp_gt_i64_e64 s0, s[26:27], s[28:29]
	s_delay_alu instid0(VALU_DEP_1)
	s_and_b32 vcc_lo, exec_lo, s0
	v_cmp_eq_u32_e64 s0, 0, v0
	s_cbranch_vccnz .LBB176_3
; %bb.1:
	s_delay_alu instid0(VALU_DEP_1)
	s_and_b32 s15, s0, exec_lo
	s_cbranch_execz .LBB176_4
; %bb.2:
	v_dual_mov_b32 v3, s24 :: v_dual_mov_b32 v4, s25
	s_and_saveexec_b32 s0, s15
	s_cbranch_execnz .LBB176_83
	s_branch .LBB176_84
.LBB176_3:
.LBB176_4:
	s_add_u32 s0, s28, 0x1000
	s_addc_u32 s1, s29, 0
	s_delay_alu instid0(SALU_CYCLE_1) | instskip(NEXT) | instid1(VALU_DEP_1)
	v_cmp_le_i64_e64 s2, s[0:1], s[26:27]
	s_and_b32 vcc_lo, exec_lo, s2
	s_cbranch_vccz .LBB176_45
; %bb.5:
	s_lshl_b64 s[2:3], s[28:29], 3
	v_lshlrev_b32_e32 v37, 3, v0
	s_add_u32 s4, s16, s2
	s_addc_u32 s5, s17, s3
	s_clause 0x1
	global_load_b64 v[3:4], v37, s[4:5]
	global_load_b64 v[1:2], v37, s[4:5] offset:2048
	v_add_co_u32 v35, s4, s4, v37
	s_delay_alu instid0(VALU_DEP_1) | instskip(SKIP_1) | instid1(VALU_DEP_2)
	v_add_co_ci_u32_e64 v36, null, s5, 0, s4
	s_add_u32 s4, s28, 0x2000
	v_add_co_u32 v5, vcc_lo, v35, 0x2000
	s_delay_alu instid0(VALU_DEP_2)
	v_add_co_ci_u32_e32 v6, vcc_lo, 0, v36, vcc_lo
	v_add_co_u32 v7, vcc_lo, 0x1000, v35
	v_add_co_ci_u32_e32 v8, vcc_lo, 0, v36, vcc_lo
	s_clause 0x2
	global_load_b64 v[11:12], v[5:6], off offset:-4096
	global_load_b64 v[7:8], v[7:8], off offset:2048
	global_load_b64 v[9:10], v[5:6], off
	v_add_co_u32 v5, vcc_lo, 0x2000, v35
	v_add_co_ci_u32_e32 v6, vcc_lo, 0, v36, vcc_lo
	v_add_co_u32 v15, vcc_lo, v35, 0x4000
	v_add_co_ci_u32_e32 v16, vcc_lo, 0, v36, vcc_lo
	global_load_b64 v[5:6], v[5:6], off offset:2048
	v_add_co_u32 v13, vcc_lo, 0x3000, v35
	global_load_b64 v[17:18], v[15:16], off offset:-4096
	v_add_co_ci_u32_e32 v14, vcc_lo, 0, v36, vcc_lo
	s_clause 0x1
	global_load_b64 v[13:14], v[13:14], off offset:2048
	global_load_b64 v[15:16], v[15:16], off
	v_add_co_u32 v19, vcc_lo, 0x4000, v35
	v_add_co_ci_u32_e32 v20, vcc_lo, 0, v36, vcc_lo
	v_add_co_u32 v27, vcc_lo, v35, 0x6000
	v_add_co_ci_u32_e32 v28, vcc_lo, 0, v36, vcc_lo
	global_load_b64 v[25:26], v[19:20], off offset:2048
	v_add_co_u32 v33, vcc_lo, 0x7000, v35
	global_load_b64 v[23:24], v[27:28], off offset:-4096
	v_add_co_ci_u32_e32 v34, vcc_lo, 0, v36, vcc_lo
	v_add_co_u32 v29, vcc_lo, 0x5000, v35
	v_add_co_ci_u32_e32 v30, vcc_lo, 0, v36, vcc_lo
	s_addc_u32 s5, s29, 0
	s_delay_alu instid0(SALU_CYCLE_1) | instskip(SKIP_4) | instid1(VALU_DEP_1)
	v_cmp_ge_i64_e64 s4, s[4:5], s[26:27]
	global_load_b64 v[31:32], v[29:30], off offset:2048
	s_waitcnt vmcnt(10)
	v_mul_f64 v[21:22], v[3:4], v[1:2]
	s_waitcnt vmcnt(9)
	v_mul_f64 v[21:22], v[21:22], v[11:12]
	s_waitcnt vmcnt(8)
	s_delay_alu instid0(VALU_DEP_1)
	v_mul_f64 v[29:30], v[21:22], v[7:8]
	s_clause 0x1
	global_load_b64 v[21:22], v[27:28], off
	global_load_b64 v[19:20], v[33:34], off offset:2048
	s_waitcnt vmcnt(9)
	v_mul_f64 v[27:28], v[29:30], v[9:10]
	v_add_co_u32 v29, vcc_lo, 0x6000, v35
	v_add_co_ci_u32_e32 v30, vcc_lo, 0, v36, vcc_lo
	s_and_b32 vcc_lo, exec_lo, s4
	global_load_b64 v[29:30], v[29:30], off offset:2048
	s_waitcnt vmcnt(9)
	v_mul_f64 v[35:36], v[27:28], v[5:6]
	global_load_b64 v[27:28], v[33:34], off
	s_waitcnt vmcnt(9)
	v_mul_f64 v[33:34], v[35:36], v[17:18]
	s_waitcnt vmcnt(8)
	s_delay_alu instid0(VALU_DEP_1) | instskip(SKIP_1) | instid1(VALU_DEP_1)
	v_mul_f64 v[33:34], v[33:34], v[13:14]
	s_waitcnt vmcnt(7)
	v_mul_f64 v[33:34], v[33:34], v[15:16]
	s_waitcnt vmcnt(6)
	s_delay_alu instid0(VALU_DEP_1) | instskip(SKIP_1) | instid1(VALU_DEP_1)
	v_mul_f64 v[33:34], v[33:34], v[25:26]
	;; [unrolled: 5-line block ×4, first 2 shown]
	s_waitcnt vmcnt(0)
	v_mul_f64 v[33:34], v[33:34], v[27:28]
	s_delay_alu instid0(VALU_DEP_1)
	v_mul_f64 v[33:34], v[33:34], v[19:20]
	s_cbranch_vccnz .LBB176_8
; %bb.6:
	s_add_u32 s2, s16, s2
	s_addc_u32 s3, s17, s3
	v_add_co_u32 v1, s2, s2, v37
	s_delay_alu instid0(VALU_DEP_1) | instskip(NEXT) | instid1(VALU_DEP_2)
	v_add_co_ci_u32_e64 v2, null, s3, 0, s2
	v_add_co_u32 v35, vcc_lo, 0x8000, v1
	s_delay_alu instid0(VALU_DEP_2)
	v_add_co_ci_u32_e32 v36, vcc_lo, 0, v2, vcc_lo
.LBB176_7:                              ; =>This Inner Loop Header: Depth=1
	s_clause 0x1
	global_load_b64 v[3:4], v[35:36], off
	global_load_b64 v[1:2], v[35:36], off offset:2048
	v_add_co_u32 v5, vcc_lo, v35, 0x2000
	v_add_co_ci_u32_e32 v6, vcc_lo, 0, v36, vcc_lo
	v_add_co_u32 v7, vcc_lo, 0x1000, v35
	v_add_co_ci_u32_e32 v8, vcc_lo, 0, v36, vcc_lo
	s_clause 0x2
	global_load_b64 v[11:12], v[5:6], off offset:-4096
	global_load_b64 v[7:8], v[7:8], off offset:2048
	global_load_b64 v[9:10], v[5:6], off
	v_add_co_u32 v5, vcc_lo, 0x2000, v35
	v_add_co_ci_u32_e32 v6, vcc_lo, 0, v36, vcc_lo
	v_add_co_u32 v15, vcc_lo, v35, 0x4000
	v_add_co_ci_u32_e32 v16, vcc_lo, 0, v36, vcc_lo
	global_load_b64 v[5:6], v[5:6], off offset:2048
	v_add_co_u32 v13, vcc_lo, 0x3000, v35
	global_load_b64 v[17:18], v[15:16], off offset:-4096
	v_add_co_ci_u32_e32 v14, vcc_lo, 0, v36, vcc_lo
	s_clause 0x1
	global_load_b64 v[13:14], v[13:14], off offset:2048
	global_load_b64 v[15:16], v[15:16], off
	v_add_co_u32 v19, vcc_lo, v35, 0x6000
	v_add_co_ci_u32_e32 v20, vcc_lo, 0, v36, vcc_lo
	s_clause 0x1
	global_load_b64 v[23:24], v[19:20], off offset:-4096
	global_load_b64 v[21:22], v[19:20], off
	v_add_co_u32 v25, vcc_lo, 0x4000, v35
	v_add_co_ci_u32_e32 v26, vcc_lo, 0, v36, vcc_lo
	v_add_co_u32 v27, vcc_lo, 0x5000, v35
	v_add_co_ci_u32_e32 v28, vcc_lo, 0, v36, vcc_lo
	global_load_b64 v[25:26], v[25:26], off offset:2048
	s_mov_b64 s[2:3], s[0:1]
	global_load_b64 v[31:32], v[27:28], off offset:2048
	v_add_co_u32 v27, vcc_lo, 0x6000, v35
	v_add_co_ci_u32_e32 v28, vcc_lo, 0, v36, vcc_lo
	s_add_u32 s0, s2, 0x1000
	s_addc_u32 s1, s3, 0
	s_add_u32 s2, s2, 0x2000
	global_load_b64 v[29:30], v[27:28], off offset:2048
	s_addc_u32 s3, s3, 0
	s_delay_alu instid0(SALU_CYCLE_1)
	v_cmp_lt_i64_e64 s2, s[2:3], s[26:27]
	s_waitcnt vmcnt(13)
	v_mul_f64 v[19:20], v[33:34], v[3:4]
	v_add_co_u32 v33, vcc_lo, 0x7000, v35
	v_add_co_ci_u32_e32 v34, vcc_lo, 0, v36, vcc_lo
	v_add_co_u32 v35, vcc_lo, 0x8000, v35
	v_add_co_ci_u32_e32 v36, vcc_lo, 0, v36, vcc_lo
	s_and_b32 vcc_lo, exec_lo, s2
	s_waitcnt vmcnt(12)
	v_mul_f64 v[19:20], v[19:20], v[1:2]
	s_waitcnt vmcnt(11)
	s_delay_alu instid0(VALU_DEP_1) | instskip(SKIP_1) | instid1(VALU_DEP_1)
	v_mul_f64 v[19:20], v[19:20], v[11:12]
	s_waitcnt vmcnt(10)
	v_mul_f64 v[19:20], v[19:20], v[7:8]
	s_waitcnt vmcnt(9)
	s_delay_alu instid0(VALU_DEP_1) | instskip(SKIP_1) | instid1(VALU_DEP_1)
	v_mul_f64 v[19:20], v[19:20], v[9:10]
	s_waitcnt vmcnt(8)
	v_mul_f64 v[19:20], v[19:20], v[5:6]
	s_waitcnt vmcnt(7)
	s_delay_alu instid0(VALU_DEP_1)
	v_mul_f64 v[38:39], v[19:20], v[17:18]
	s_clause 0x1
	global_load_b64 v[19:20], v[33:34], off offset:2048
	global_load_b64 v[27:28], v[33:34], off
	s_waitcnt vmcnt(8)
	v_mul_f64 v[33:34], v[38:39], v[13:14]
	s_waitcnt vmcnt(7)
	s_delay_alu instid0(VALU_DEP_1) | instskip(SKIP_1) | instid1(VALU_DEP_1)
	v_mul_f64 v[33:34], v[33:34], v[15:16]
	s_waitcnt vmcnt(4)
	v_mul_f64 v[33:34], v[33:34], v[25:26]
	s_delay_alu instid0(VALU_DEP_1) | instskip(SKIP_1) | instid1(VALU_DEP_1)
	v_mul_f64 v[33:34], v[33:34], v[23:24]
	s_waitcnt vmcnt(3)
	v_mul_f64 v[33:34], v[33:34], v[31:32]
	;; [unrolled: 4-line block ×3, first 2 shown]
	s_waitcnt vmcnt(0)
	s_delay_alu instid0(VALU_DEP_1) | instskip(NEXT) | instid1(VALU_DEP_1)
	v_mul_f64 v[33:34], v[33:34], v[27:28]
	v_mul_f64 v[33:34], v[33:34], v[19:20]
	s_cbranch_vccnz .LBB176_7
.LBB176_8:
	s_sub_i32 s14, s26, s0
	s_lshl_b64 s[0:1], s[0:1], 3
	v_cmp_gt_u32_e32 vcc_lo, s14, v0
	s_add_u32 s30, s16, s0
	s_addc_u32 s31, s17, s1
	s_and_saveexec_b32 s0, vcc_lo
	s_cbranch_execz .LBB176_10
; %bb.9:
	global_load_b64 v[3:4], v37, s[30:31]
.LBB176_10:
	s_or_b32 exec_lo, exec_lo, s0
	v_or_b32_e32 v35, 0x100, v0
	s_delay_alu instid0(VALU_DEP_1) | instskip(NEXT) | instid1(VALU_DEP_1)
	v_cmp_gt_u32_e64 s0, s14, v35
	s_and_saveexec_b32 s1, s0
	s_cbranch_execz .LBB176_12
; %bb.11:
	global_load_b64 v[1:2], v37, s[30:31] offset:2048
.LBB176_12:
	s_or_b32 exec_lo, exec_lo, s1
	v_or_b32_e32 v35, 0x200, v0
	s_delay_alu instid0(VALU_DEP_1) | instskip(NEXT) | instid1(VALU_DEP_1)
	v_cmp_gt_u32_e64 s1, s14, v35
	s_and_saveexec_b32 s2, s1
	s_cbranch_execz .LBB176_14
; %bb.13:
	v_lshlrev_b32_e32 v11, 3, v35
	global_load_b64 v[11:12], v11, s[30:31]
.LBB176_14:
	s_or_b32 exec_lo, exec_lo, s2
	v_or_b32_e32 v35, 0x300, v0
	s_delay_alu instid0(VALU_DEP_1) | instskip(NEXT) | instid1(VALU_DEP_1)
	v_cmp_gt_u32_e64 s2, s14, v35
	s_and_saveexec_b32 s3, s2
	s_cbranch_execz .LBB176_16
; %bb.15:
	v_lshlrev_b32_e32 v7, 3, v35
	global_load_b64 v[7:8], v7, s[30:31]
.LBB176_16:
	;; [unrolled: 10-line block ×14, first 2 shown]
	s_or_b32 exec_lo, exec_lo, s33
	s_waitcnt vmcnt(0)
	v_mul_f64 v[3:4], v[33:34], v[3:4]
	s_delay_alu instid0(VALU_DEP_1) | instskip(NEXT) | instid1(VALU_DEP_1)
	v_dual_cndmask_b32 v4, v34, v4 :: v_dual_cndmask_b32 v3, v33, v3
	v_mul_f64 v[1:2], v[1:2], v[3:4]
	s_delay_alu instid0(VALU_DEP_1) | instskip(NEXT) | instid1(VALU_DEP_2)
	v_cndmask_b32_e64 v2, v4, v2, s0
	v_cndmask_b32_e64 v1, v3, v1, s0
	s_mov_b32 s0, exec_lo
	s_delay_alu instid0(VALU_DEP_1) | instskip(NEXT) | instid1(VALU_DEP_1)
	v_mul_f64 v[3:4], v[11:12], v[1:2]
	v_cndmask_b32_e64 v2, v2, v4, s1
	s_delay_alu instid0(VALU_DEP_2) | instskip(NEXT) | instid1(VALU_DEP_1)
	v_cndmask_b32_e64 v1, v1, v3, s1
	v_mul_f64 v[3:4], v[7:8], v[1:2]
	s_delay_alu instid0(VALU_DEP_1) | instskip(NEXT) | instid1(VALU_DEP_2)
	v_cndmask_b32_e64 v2, v2, v4, s2
	v_cndmask_b32_e64 v1, v1, v3, s2
	s_delay_alu instid0(VALU_DEP_1) | instskip(NEXT) | instid1(VALU_DEP_1)
	v_mul_f64 v[3:4], v[9:10], v[1:2]
	v_cndmask_b32_e64 v2, v2, v4, s3
	s_delay_alu instid0(VALU_DEP_2) | instskip(NEXT) | instid1(VALU_DEP_1)
	v_cndmask_b32_e64 v1, v1, v3, s3
	v_mul_f64 v[3:4], v[5:6], v[1:2]
	s_delay_alu instid0(VALU_DEP_1) | instskip(NEXT) | instid1(VALU_DEP_2)
	v_cndmask_b32_e64 v2, v2, v4, s4
	v_cndmask_b32_e64 v1, v1, v3, s4
	s_delay_alu instid0(VALU_DEP_1) | instskip(NEXT) | instid1(VALU_DEP_1)
	v_mul_f64 v[3:4], v[17:18], v[1:2]
	v_cndmask_b32_e64 v2, v2, v4, s5
	s_delay_alu instid0(VALU_DEP_2) | instskip(NEXT) | instid1(VALU_DEP_1)
	v_cndmask_b32_e64 v1, v1, v3, s5
	v_mul_f64 v[3:4], v[13:14], v[1:2]
	s_delay_alu instid0(VALU_DEP_1) | instskip(NEXT) | instid1(VALU_DEP_2)
	v_cndmask_b32_e64 v2, v2, v4, s6
	v_cndmask_b32_e64 v1, v1, v3, s6
	s_delay_alu instid0(VALU_DEP_1) | instskip(NEXT) | instid1(VALU_DEP_1)
	v_mul_f64 v[3:4], v[15:16], v[1:2]
	v_cndmask_b32_e64 v2, v2, v4, s7
	s_delay_alu instid0(VALU_DEP_2) | instskip(NEXT) | instid1(VALU_DEP_1)
	v_cndmask_b32_e64 v1, v1, v3, s7
	v_mul_f64 v[3:4], v[25:26], v[1:2]
	s_delay_alu instid0(VALU_DEP_1) | instskip(NEXT) | instid1(VALU_DEP_2)
	v_cndmask_b32_e64 v2, v2, v4, s8
	v_cndmask_b32_e64 v1, v1, v3, s8
	s_delay_alu instid0(VALU_DEP_1) | instskip(NEXT) | instid1(VALU_DEP_1)
	v_mul_f64 v[3:4], v[23:24], v[1:2]
	v_cndmask_b32_e64 v2, v2, v4, s9
	s_delay_alu instid0(VALU_DEP_2) | instskip(NEXT) | instid1(VALU_DEP_1)
	v_cndmask_b32_e64 v1, v1, v3, s9
	v_mul_f64 v[3:4], v[31:32], v[1:2]
	s_delay_alu instid0(VALU_DEP_1) | instskip(NEXT) | instid1(VALU_DEP_2)
	v_cndmask_b32_e64 v2, v2, v4, s10
	v_cndmask_b32_e64 v1, v1, v3, s10
	s_delay_alu instid0(VALU_DEP_1) | instskip(NEXT) | instid1(VALU_DEP_1)
	v_mul_f64 v[3:4], v[21:22], v[1:2]
	v_cndmask_b32_e64 v2, v2, v4, s11
	s_delay_alu instid0(VALU_DEP_2) | instskip(NEXT) | instid1(VALU_DEP_1)
	v_cndmask_b32_e64 v1, v1, v3, s11
	v_mul_f64 v[3:4], v[29:30], v[1:2]
	s_delay_alu instid0(VALU_DEP_1) | instskip(NEXT) | instid1(VALU_DEP_2)
	v_cndmask_b32_e64 v2, v2, v4, s12
	v_cndmask_b32_e64 v1, v1, v3, s12
	s_delay_alu instid0(VALU_DEP_1) | instskip(NEXT) | instid1(VALU_DEP_1)
	v_mul_f64 v[3:4], v[27:28], v[1:2]
	v_cndmask_b32_e64 v2, v2, v4, s13
	s_delay_alu instid0(VALU_DEP_2) | instskip(NEXT) | instid1(VALU_DEP_1)
	v_cndmask_b32_e64 v1, v1, v3, s13
	v_mul_f64 v[3:4], v[19:20], v[1:2]
	s_delay_alu instid0(VALU_DEP_1) | instskip(NEXT) | instid1(VALU_DEP_2)
	v_cndmask_b32_e64 v1, v1, v3, s14
	v_cndmask_b32_e64 v2, v2, v4, s14
	s_delay_alu instid0(VALU_DEP_2) | instskip(NEXT) | instid1(VALU_DEP_2)
	v_mov_b32_dpp v3, v1 quad_perm:[1,0,3,2] row_mask:0xf bank_mask:0xf
	v_mov_b32_dpp v4, v2 quad_perm:[1,0,3,2] row_mask:0xf bank_mask:0xf
	s_delay_alu instid0(VALU_DEP_1) | instskip(NEXT) | instid1(VALU_DEP_1)
	v_mul_f64 v[1:2], v[1:2], v[3:4]
	v_mov_b32_dpp v3, v1 quad_perm:[2,3,0,1] row_mask:0xf bank_mask:0xf
	s_delay_alu instid0(VALU_DEP_2) | instskip(NEXT) | instid1(VALU_DEP_1)
	v_mov_b32_dpp v4, v2 quad_perm:[2,3,0,1] row_mask:0xf bank_mask:0xf
	v_mul_f64 v[1:2], v[1:2], v[3:4]
	s_delay_alu instid0(VALU_DEP_1) | instskip(NEXT) | instid1(VALU_DEP_2)
	v_mov_b32_dpp v3, v1 row_ror:4 row_mask:0xf bank_mask:0xf
	v_mov_b32_dpp v4, v2 row_ror:4 row_mask:0xf bank_mask:0xf
	s_delay_alu instid0(VALU_DEP_1) | instskip(NEXT) | instid1(VALU_DEP_1)
	v_mul_f64 v[1:2], v[1:2], v[3:4]
	v_mov_b32_dpp v3, v1 row_ror:8 row_mask:0xf bank_mask:0xf
	s_delay_alu instid0(VALU_DEP_2) | instskip(NEXT) | instid1(VALU_DEP_1)
	v_mov_b32_dpp v4, v2 row_ror:8 row_mask:0xf bank_mask:0xf
	v_mul_f64 v[1:2], v[1:2], v[3:4]
	ds_swizzle_b32 v3, v1 offset:swizzle(BROADCAST,32,15)
	ds_swizzle_b32 v4, v2 offset:swizzle(BROADCAST,32,15)
	s_waitcnt lgkmcnt(0)
	v_mul_f64 v[1:2], v[1:2], v[3:4]
	v_mov_b32_e32 v3, 0
	ds_bpermute_b32 v1, v3, v1 offset:124
	ds_bpermute_b32 v2, v3, v2 offset:124
	v_mbcnt_lo_u32_b32 v3, -1, 0
	s_delay_alu instid0(VALU_DEP_1)
	v_cmpx_eq_u32_e32 0, v3
	s_cbranch_execz .LBB176_42
; %bb.41:
	v_lshrrev_b32_e32 v4, 2, v0
	s_delay_alu instid0(VALU_DEP_1)
	v_and_b32_e32 v4, 56, v4
	s_waitcnt lgkmcnt(0)
	ds_store_b64 v4, v[1:2]
.LBB176_42:
	s_or_b32 exec_lo, exec_lo, s0
	s_delay_alu instid0(SALU_CYCLE_1)
	s_mov_b32 s0, exec_lo
	s_waitcnt lgkmcnt(0)
	s_barrier
	buffer_gl0_inv
	v_cmpx_gt_u32_e32 32, v0
	s_cbranch_execz .LBB176_44
; %bb.43:
	v_and_b32_e32 v6, 7, v3
	s_delay_alu instid0(VALU_DEP_1) | instskip(SKIP_4) | instid1(VALU_DEP_2)
	v_lshlrev_b32_e32 v1, 3, v6
	v_cmp_ne_u32_e32 vcc_lo, 7, v6
	ds_load_b64 v[1:2], v1
	v_add_co_ci_u32_e32 v4, vcc_lo, 0, v3, vcc_lo
	v_cmp_gt_u32_e32 vcc_lo, 6, v6
	v_lshlrev_b32_e32 v5, 2, v4
	s_waitcnt lgkmcnt(0)
	ds_bpermute_b32 v4, v5, v1
	ds_bpermute_b32 v5, v5, v2
	s_waitcnt lgkmcnt(0)
	v_mul_f64 v[1:2], v[1:2], v[4:5]
	v_cndmask_b32_e64 v4, 0, 1, vcc_lo
	v_cmp_gt_u32_e32 vcc_lo, 4, v6
	s_delay_alu instid0(VALU_DEP_2) | instskip(NEXT) | instid1(VALU_DEP_1)
	v_lshlrev_b32_e32 v4, 1, v4
	v_add_lshl_u32 v5, v4, v3, 2
	ds_bpermute_b32 v4, v5, v1
	ds_bpermute_b32 v5, v5, v2
	s_waitcnt lgkmcnt(0)
	v_mul_f64 v[1:2], v[1:2], v[4:5]
	v_cndmask_b32_e64 v4, 0, 1, vcc_lo
	s_delay_alu instid0(VALU_DEP_1) | instskip(NEXT) | instid1(VALU_DEP_1)
	v_lshlrev_b32_e32 v4, 2, v4
	v_add_lshl_u32 v4, v4, v3, 2
	ds_bpermute_b32 v3, v4, v1
	ds_bpermute_b32 v4, v4, v2
	s_waitcnt lgkmcnt(0)
	v_mul_f64 v[1:2], v[1:2], v[3:4]
.LBB176_44:
	s_or_b32 exec_lo, exec_lo, s0
	s_branch .LBB176_80
.LBB176_45:
                                        ; implicit-def: $vgpr1_vgpr2
	s_cbranch_execz .LBB176_80
; %bb.46:
	s_sub_i32 s1, s26, s28
	s_mov_b32 s2, exec_lo
                                        ; implicit-def: $vgpr3_vgpr4
	v_cmpx_gt_u32_e64 s1, v0
	s_cbranch_execz .LBB176_52
; %bb.47:
	v_add_co_u32 v1, s0, s28, v0
	s_delay_alu instid0(VALU_DEP_1) | instskip(SKIP_1) | instid1(VALU_DEP_1)
	v_add_co_ci_u32_e64 v2, null, s29, 0, s0
	s_mov_b32 s3, exec_lo
	v_lshlrev_b64 v[3:4], 3, v[1:2]
	s_delay_alu instid0(VALU_DEP_1) | instskip(NEXT) | instid1(VALU_DEP_2)
	v_add_co_u32 v5, vcc_lo, s16, v3
	v_add_co_ci_u32_e32 v6, vcc_lo, s17, v4, vcc_lo
	v_add_co_u32 v1, vcc_lo, 0x100, v1
	v_add_co_ci_u32_e32 v2, vcc_lo, 0, v2, vcc_lo
	global_load_b64 v[3:4], v[5:6], off
	v_cmpx_gt_i64_e64 s[26:27], v[1:2]
	s_cbranch_execz .LBB176_51
; %bb.48:
	v_add_co_u32 v5, vcc_lo, 0x800, v5
	v_add_co_ci_u32_e32 v6, vcc_lo, 0, v6, vcc_lo
	s_mov_b32 s4, 0
	.p2align	6
.LBB176_49:                             ; =>This Inner Loop Header: Depth=1
	global_load_b64 v[7:8], v[5:6], off
	v_add_co_u32 v1, vcc_lo, 0x100, v1
	v_add_co_ci_u32_e32 v2, vcc_lo, 0, v2, vcc_lo
	v_add_co_u32 v5, s0, 0x800, v5
	s_delay_alu instid0(VALU_DEP_1) | instskip(NEXT) | instid1(VALU_DEP_3)
	v_add_co_ci_u32_e64 v6, s0, 0, v6, s0
	v_cmp_le_i64_e32 vcc_lo, s[26:27], v[1:2]
	s_or_b32 s4, vcc_lo, s4
	s_waitcnt vmcnt(0)
	v_mul_f64 v[3:4], v[3:4], v[7:8]
	s_and_not1_b32 exec_lo, exec_lo, s4
	s_cbranch_execnz .LBB176_49
; %bb.50:
	s_or_b32 exec_lo, exec_lo, s4
.LBB176_51:
	s_delay_alu instid0(SALU_CYCLE_1)
	s_or_b32 exec_lo, exec_lo, s3
.LBB176_52:
	s_delay_alu instid0(SALU_CYCLE_1)
	s_or_b32 exec_lo, exec_lo, s2
	v_mbcnt_lo_u32_b32 v7, -1, 0
	s_cmpk_lt_u32 s1, 0x100
	s_cbranch_scc0 .LBB176_74
; %bb.53:
	s_delay_alu instid0(VALU_DEP_1) | instskip(SKIP_1) | instid1(VALU_DEP_3)
	v_cmp_ne_u32_e32 vcc_lo, 31, v7
	s_waitcnt vmcnt(0)
	v_dual_mov_b32 v9, v4 :: v_dual_mov_b32 v10, v3
	v_add_co_ci_u32_e32 v1, vcc_lo, 0, v7, vcc_lo
	s_delay_alu instid0(VALU_DEP_1) | instskip(SKIP_3) | instid1(VALU_DEP_1)
	v_lshlrev_b32_e32 v1, 2, v1
	ds_bpermute_b32 v5, v1, v3
	ds_bpermute_b32 v6, v1, v4
	v_and_b32_e32 v1, 0xe0, v0
	v_sub_nc_u32_e64 v8, s1, v1 clamp
	v_add_nc_u32_e32 v1, 1, v7
	s_delay_alu instid0(VALU_DEP_1)
	v_cmp_lt_u32_e32 vcc_lo, v1, v8
	v_dual_mov_b32 v1, v3 :: v_dual_mov_b32 v2, v4
	s_and_saveexec_b32 s0, vcc_lo
	s_cbranch_execz .LBB176_55
; %bb.54:
	s_waitcnt lgkmcnt(0)
	v_mul_f64 v[1:2], v[3:4], v[5:6]
	s_delay_alu instid0(VALU_DEP_1)
	v_dual_mov_b32 v9, v2 :: v_dual_mov_b32 v10, v1
.LBB176_55:
	s_or_b32 exec_lo, exec_lo, s0
	v_cmp_gt_u32_e32 vcc_lo, 30, v7
	v_add_nc_u32_e32 v11, 2, v7
	s_mov_b32 s0, exec_lo
	s_waitcnt lgkmcnt(1)
	v_cndmask_b32_e64 v5, 0, 1, vcc_lo
	s_delay_alu instid0(VALU_DEP_1) | instskip(SKIP_1) | instid1(VALU_DEP_1)
	v_lshlrev_b32_e32 v5, 1, v5
	s_waitcnt lgkmcnt(0)
	v_add_lshl_u32 v6, v5, v7, 2
	ds_bpermute_b32 v5, v6, v10
	ds_bpermute_b32 v6, v6, v9
	v_cmpx_lt_u32_e64 v11, v8
	s_cbranch_execz .LBB176_57
; %bb.56:
	s_waitcnt lgkmcnt(0)
	v_mul_f64 v[1:2], v[1:2], v[5:6]
	s_delay_alu instid0(VALU_DEP_1)
	v_dual_mov_b32 v9, v2 :: v_dual_mov_b32 v10, v1
.LBB176_57:
	s_or_b32 exec_lo, exec_lo, s0
	v_cmp_gt_u32_e32 vcc_lo, 28, v7
	v_add_nc_u32_e32 v11, 4, v7
	s_mov_b32 s0, exec_lo
	s_waitcnt lgkmcnt(1)
	v_cndmask_b32_e64 v5, 0, 1, vcc_lo
	s_delay_alu instid0(VALU_DEP_1) | instskip(SKIP_1) | instid1(VALU_DEP_1)
	v_lshlrev_b32_e32 v5, 2, v5
	s_waitcnt lgkmcnt(0)
	v_add_lshl_u32 v6, v5, v7, 2
	ds_bpermute_b32 v5, v6, v10
	ds_bpermute_b32 v6, v6, v9
	v_cmpx_lt_u32_e64 v11, v8
	;; [unrolled: 20-line block ×3, first 2 shown]
	s_cbranch_execz .LBB176_61
; %bb.60:
	s_waitcnt lgkmcnt(0)
	v_mul_f64 v[1:2], v[1:2], v[5:6]
	s_delay_alu instid0(VALU_DEP_1)
	v_dual_mov_b32 v9, v2 :: v_dual_mov_b32 v10, v1
.LBB176_61:
	s_or_b32 exec_lo, exec_lo, s0
	v_cmp_gt_u32_e32 vcc_lo, 16, v7
	s_mov_b32 s0, exec_lo
	s_waitcnt lgkmcnt(1)
	v_cndmask_b32_e64 v5, 0, 1, vcc_lo
	s_delay_alu instid0(VALU_DEP_1) | instskip(SKIP_1) | instid1(VALU_DEP_1)
	v_lshlrev_b32_e32 v5, 4, v5
	s_waitcnt lgkmcnt(0)
	v_add_lshl_u32 v6, v5, v7, 2
	ds_bpermute_b32 v5, v6, v10
	ds_bpermute_b32 v6, v6, v9
	v_add_nc_u32_e32 v9, 16, v7
	s_delay_alu instid0(VALU_DEP_1)
	v_cmpx_lt_u32_e64 v9, v8
	s_cbranch_execz .LBB176_63
; %bb.62:
	s_waitcnt lgkmcnt(0)
	v_mul_f64 v[1:2], v[1:2], v[5:6]
.LBB176_63:
	s_or_b32 exec_lo, exec_lo, s0
	s_delay_alu instid0(SALU_CYCLE_1)
	s_mov_b32 s0, exec_lo
	v_cmpx_eq_u32_e32 0, v7
	s_cbranch_execz .LBB176_65
; %bb.64:
	s_waitcnt lgkmcnt(1)
	v_lshrrev_b32_e32 v5, 2, v0
	s_delay_alu instid0(VALU_DEP_1)
	v_and_b32_e32 v5, 56, v5
	ds_store_b64 v5, v[1:2]
.LBB176_65:
	s_or_b32 exec_lo, exec_lo, s0
	s_delay_alu instid0(SALU_CYCLE_1)
	s_mov_b32 s0, exec_lo
	s_waitcnt lgkmcnt(0)
	s_barrier
	buffer_gl0_inv
	v_cmpx_gt_u32_e32 8, v0
	s_cbranch_execz .LBB176_73
; %bb.66:
	v_lshlrev_b32_e32 v1, 3, v7
	v_and_b32_e32 v8, 7, v7
	s_add_i32 s1, s1, 31
	s_mov_b32 s2, exec_lo
	s_lshr_b32 s1, s1, 5
	ds_load_b64 v[1:2], v1
	v_cmp_ne_u32_e32 vcc_lo, 7, v8
	v_add_nc_u32_e32 v9, 1, v8
	v_add_co_ci_u32_e32 v5, vcc_lo, 0, v7, vcc_lo
	s_delay_alu instid0(VALU_DEP_1)
	v_lshlrev_b32_e32 v6, 2, v5
	s_waitcnt lgkmcnt(0)
	ds_bpermute_b32 v5, v6, v1
	ds_bpermute_b32 v6, v6, v2
	v_cmpx_gt_u32_e64 s1, v9
	s_cbranch_execz .LBB176_68
; %bb.67:
	s_waitcnt lgkmcnt(0)
	v_mul_f64 v[1:2], v[1:2], v[5:6]
.LBB176_68:
	s_or_b32 exec_lo, exec_lo, s2
	v_cmp_gt_u32_e32 vcc_lo, 6, v8
	v_add_nc_u32_e32 v9, 2, v8
	s_mov_b32 s2, exec_lo
	s_waitcnt lgkmcnt(1)
	v_cndmask_b32_e64 v5, 0, 1, vcc_lo
	s_delay_alu instid0(VALU_DEP_1) | instskip(SKIP_1) | instid1(VALU_DEP_1)
	v_lshlrev_b32_e32 v5, 1, v5
	s_waitcnt lgkmcnt(0)
	v_add_lshl_u32 v6, v5, v7, 2
	ds_bpermute_b32 v5, v6, v1
	ds_bpermute_b32 v6, v6, v2
	v_cmpx_gt_u32_e64 s1, v9
	s_cbranch_execz .LBB176_70
; %bb.69:
	s_waitcnt lgkmcnt(0)
	v_mul_f64 v[1:2], v[1:2], v[5:6]
.LBB176_70:
	s_or_b32 exec_lo, exec_lo, s2
	v_cmp_gt_u32_e32 vcc_lo, 4, v8
	v_add_nc_u32_e32 v8, 4, v8
	s_waitcnt lgkmcnt(1)
	v_cndmask_b32_e64 v5, 0, 1, vcc_lo
	s_delay_alu instid0(VALU_DEP_2) | instskip(NEXT) | instid1(VALU_DEP_2)
	v_cmp_gt_u32_e32 vcc_lo, s1, v8
	v_lshlrev_b32_e32 v5, 2, v5
	s_waitcnt lgkmcnt(0)
	s_delay_alu instid0(VALU_DEP_1)
	v_add_lshl_u32 v6, v5, v7, 2
	ds_bpermute_b32 v5, v6, v1
	ds_bpermute_b32 v6, v6, v2
	s_and_saveexec_b32 s1, vcc_lo
	s_cbranch_execz .LBB176_72
; %bb.71:
	s_waitcnt lgkmcnt(0)
	v_mul_f64 v[1:2], v[1:2], v[5:6]
.LBB176_72:
	s_or_b32 exec_lo, exec_lo, s1
.LBB176_73:
	s_delay_alu instid0(SALU_CYCLE_1)
	s_or_b32 exec_lo, exec_lo, s0
	s_branch .LBB176_80
.LBB176_74:
                                        ; implicit-def: $vgpr1_vgpr2
	s_cbranch_execz .LBB176_80
; %bb.75:
	s_waitcnt vmcnt(0)
	s_delay_alu instid0(VALU_DEP_2) | instskip(NEXT) | instid1(VALU_DEP_3)
	v_mov_b32_dpp v1, v3 quad_perm:[1,0,3,2] row_mask:0xf bank_mask:0xf
	v_mov_b32_dpp v2, v4 quad_perm:[1,0,3,2] row_mask:0xf bank_mask:0xf
	s_mov_b32 s0, exec_lo
	s_delay_alu instid0(VALU_DEP_1) | instskip(NEXT) | instid1(VALU_DEP_1)
	v_mul_f64 v[1:2], v[3:4], v[1:2]
	v_mov_b32_dpp v3, v1 quad_perm:[2,3,0,1] row_mask:0xf bank_mask:0xf
	s_delay_alu instid0(VALU_DEP_2) | instskip(NEXT) | instid1(VALU_DEP_1)
	v_mov_b32_dpp v4, v2 quad_perm:[2,3,0,1] row_mask:0xf bank_mask:0xf
	v_mul_f64 v[1:2], v[1:2], v[3:4]
	s_delay_alu instid0(VALU_DEP_1) | instskip(NEXT) | instid1(VALU_DEP_2)
	v_mov_b32_dpp v3, v1 row_ror:4 row_mask:0xf bank_mask:0xf
	v_mov_b32_dpp v4, v2 row_ror:4 row_mask:0xf bank_mask:0xf
	s_delay_alu instid0(VALU_DEP_1) | instskip(NEXT) | instid1(VALU_DEP_1)
	v_mul_f64 v[1:2], v[1:2], v[3:4]
	v_mov_b32_dpp v3, v1 row_ror:8 row_mask:0xf bank_mask:0xf
	s_delay_alu instid0(VALU_DEP_2) | instskip(NEXT) | instid1(VALU_DEP_1)
	v_mov_b32_dpp v4, v2 row_ror:8 row_mask:0xf bank_mask:0xf
	v_mul_f64 v[1:2], v[1:2], v[3:4]
	ds_swizzle_b32 v3, v1 offset:swizzle(BROADCAST,32,15)
	ds_swizzle_b32 v4, v2 offset:swizzle(BROADCAST,32,15)
	s_waitcnt lgkmcnt(0)
	v_mul_f64 v[1:2], v[1:2], v[3:4]
	v_mov_b32_e32 v3, 0
	ds_bpermute_b32 v1, v3, v1 offset:124
	ds_bpermute_b32 v2, v3, v2 offset:124
	v_cmpx_eq_u32_e32 0, v7
	s_cbranch_execz .LBB176_77
; %bb.76:
	v_lshrrev_b32_e32 v3, 2, v0
	s_delay_alu instid0(VALU_DEP_1)
	v_and_b32_e32 v3, 56, v3
	s_waitcnt lgkmcnt(0)
	ds_store_b64 v3, v[1:2]
.LBB176_77:
	s_or_b32 exec_lo, exec_lo, s0
	s_delay_alu instid0(SALU_CYCLE_1)
	s_mov_b32 s0, exec_lo
	s_waitcnt lgkmcnt(0)
	s_barrier
	buffer_gl0_inv
	v_cmpx_gt_u32_e32 32, v0
	s_cbranch_execz .LBB176_79
; %bb.78:
	v_and_b32_e32 v5, 7, v7
	s_delay_alu instid0(VALU_DEP_1) | instskip(SKIP_4) | instid1(VALU_DEP_2)
	v_lshlrev_b32_e32 v1, 3, v5
	v_cmp_ne_u32_e32 vcc_lo, 7, v5
	ds_load_b64 v[1:2], v1
	v_add_co_ci_u32_e32 v3, vcc_lo, 0, v7, vcc_lo
	v_cmp_gt_u32_e32 vcc_lo, 6, v5
	v_lshlrev_b32_e32 v4, 2, v3
	s_waitcnt lgkmcnt(0)
	ds_bpermute_b32 v3, v4, v1
	ds_bpermute_b32 v4, v4, v2
	s_waitcnt lgkmcnt(0)
	v_mul_f64 v[1:2], v[1:2], v[3:4]
	v_cndmask_b32_e64 v3, 0, 1, vcc_lo
	v_cmp_gt_u32_e32 vcc_lo, 4, v5
	s_delay_alu instid0(VALU_DEP_2) | instskip(NEXT) | instid1(VALU_DEP_1)
	v_lshlrev_b32_e32 v3, 1, v3
	v_add_lshl_u32 v4, v3, v7, 2
	ds_bpermute_b32 v3, v4, v1
	ds_bpermute_b32 v4, v4, v2
	s_waitcnt lgkmcnt(0)
	v_mul_f64 v[1:2], v[1:2], v[3:4]
	v_cndmask_b32_e64 v3, 0, 1, vcc_lo
	s_delay_alu instid0(VALU_DEP_1) | instskip(NEXT) | instid1(VALU_DEP_1)
	v_lshlrev_b32_e32 v3, 2, v3
	v_add_lshl_u32 v4, v3, v7, 2
	ds_bpermute_b32 v3, v4, v1
	ds_bpermute_b32 v4, v4, v2
	s_waitcnt lgkmcnt(0)
	v_mul_f64 v[1:2], v[1:2], v[3:4]
.LBB176_79:
	s_or_b32 exec_lo, exec_lo, s0
.LBB176_80:
	s_delay_alu instid0(SALU_CYCLE_1)
	s_mov_b32 s0, exec_lo
                                        ; implicit-def: $vgpr3_vgpr4
	v_cmpx_eq_u32_e32 0, v0
	s_cbranch_execz .LBB176_82
; %bb.81:
	s_waitcnt vmcnt(0)
	s_delay_alu instid0(VALU_DEP_2)
	v_mul_f64 v[3:4], s[24:25], v[1:2]
	s_or_b32 s15, s15, exec_lo
.LBB176_82:
	s_or_b32 exec_lo, exec_lo, s0
	s_and_saveexec_b32 s0, s15
	s_cbranch_execz .LBB176_84
.LBB176_83:
	s_add_u32 s0, s18, s20
	v_mov_b32_e32 v0, 0
	s_addc_u32 s1, s19, s21
	s_add_u32 s0, s0, s22
	s_addc_u32 s1, s1, s23
	s_waitcnt vmcnt(0)
	global_store_b64 v0, v[3:4], s[0:1]
.LBB176_84:
	s_nop 0
	s_sendmsg sendmsg(MSG_DEALLOC_VGPRS)
	s_endpgm
	.section	.rodata,"a",@progbits
	.p2align	6, 0x0
	.amdhsa_kernel _ZN7rocprim17ROCPRIM_400000_NS6detail17trampoline_kernelINS0_14default_configENS1_32segmented_reduce_config_selectorIdEEZNS1_21segmented_reduce_implIS3_PKdPdPKldN6hipcub16HIPCUB_304000_NS6detail27convert_result_type_wrapperIS8_S9_N2at6native12_GLOBAL__N_110CustomProdEEEEE10hipError_tPvRmT0_T1_jT2_SQ_T4_T3_P12ihipStream_tbEUlT_E_NS1_11comp_targetILNS1_3genE9ELNS1_11target_archE1100ELNS1_3gpuE3ELNS1_3repE0EEENS1_30default_config_static_selectorELNS0_4arch9wavefront6targetE0EEEvSP_
		.amdhsa_group_segment_fixed_size 64
		.amdhsa_private_segment_fixed_size 0
		.amdhsa_kernarg_size 56
		.amdhsa_user_sgpr_count 15
		.amdhsa_user_sgpr_dispatch_ptr 0
		.amdhsa_user_sgpr_queue_ptr 0
		.amdhsa_user_sgpr_kernarg_segment_ptr 1
		.amdhsa_user_sgpr_dispatch_id 0
		.amdhsa_user_sgpr_private_segment_size 0
		.amdhsa_wavefront_size32 1
		.amdhsa_uses_dynamic_stack 0
		.amdhsa_enable_private_segment 0
		.amdhsa_system_sgpr_workgroup_id_x 1
		.amdhsa_system_sgpr_workgroup_id_y 0
		.amdhsa_system_sgpr_workgroup_id_z 0
		.amdhsa_system_sgpr_workgroup_info 0
		.amdhsa_system_vgpr_workitem_id 0
		.amdhsa_next_free_vgpr 40
		.amdhsa_next_free_sgpr 34
		.amdhsa_reserve_vcc 1
		.amdhsa_float_round_mode_32 0
		.amdhsa_float_round_mode_16_64 0
		.amdhsa_float_denorm_mode_32 3
		.amdhsa_float_denorm_mode_16_64 3
		.amdhsa_dx10_clamp 1
		.amdhsa_ieee_mode 1
		.amdhsa_fp16_overflow 0
		.amdhsa_workgroup_processor_mode 1
		.amdhsa_memory_ordered 1
		.amdhsa_forward_progress 0
		.amdhsa_shared_vgpr_count 0
		.amdhsa_exception_fp_ieee_invalid_op 0
		.amdhsa_exception_fp_denorm_src 0
		.amdhsa_exception_fp_ieee_div_zero 0
		.amdhsa_exception_fp_ieee_overflow 0
		.amdhsa_exception_fp_ieee_underflow 0
		.amdhsa_exception_fp_ieee_inexact 0
		.amdhsa_exception_int_div_zero 0
	.end_amdhsa_kernel
	.section	.text._ZN7rocprim17ROCPRIM_400000_NS6detail17trampoline_kernelINS0_14default_configENS1_32segmented_reduce_config_selectorIdEEZNS1_21segmented_reduce_implIS3_PKdPdPKldN6hipcub16HIPCUB_304000_NS6detail27convert_result_type_wrapperIS8_S9_N2at6native12_GLOBAL__N_110CustomProdEEEEE10hipError_tPvRmT0_T1_jT2_SQ_T4_T3_P12ihipStream_tbEUlT_E_NS1_11comp_targetILNS1_3genE9ELNS1_11target_archE1100ELNS1_3gpuE3ELNS1_3repE0EEENS1_30default_config_static_selectorELNS0_4arch9wavefront6targetE0EEEvSP_,"axG",@progbits,_ZN7rocprim17ROCPRIM_400000_NS6detail17trampoline_kernelINS0_14default_configENS1_32segmented_reduce_config_selectorIdEEZNS1_21segmented_reduce_implIS3_PKdPdPKldN6hipcub16HIPCUB_304000_NS6detail27convert_result_type_wrapperIS8_S9_N2at6native12_GLOBAL__N_110CustomProdEEEEE10hipError_tPvRmT0_T1_jT2_SQ_T4_T3_P12ihipStream_tbEUlT_E_NS1_11comp_targetILNS1_3genE9ELNS1_11target_archE1100ELNS1_3gpuE3ELNS1_3repE0EEENS1_30default_config_static_selectorELNS0_4arch9wavefront6targetE0EEEvSP_,comdat
.Lfunc_end176:
	.size	_ZN7rocprim17ROCPRIM_400000_NS6detail17trampoline_kernelINS0_14default_configENS1_32segmented_reduce_config_selectorIdEEZNS1_21segmented_reduce_implIS3_PKdPdPKldN6hipcub16HIPCUB_304000_NS6detail27convert_result_type_wrapperIS8_S9_N2at6native12_GLOBAL__N_110CustomProdEEEEE10hipError_tPvRmT0_T1_jT2_SQ_T4_T3_P12ihipStream_tbEUlT_E_NS1_11comp_targetILNS1_3genE9ELNS1_11target_archE1100ELNS1_3gpuE3ELNS1_3repE0EEENS1_30default_config_static_selectorELNS0_4arch9wavefront6targetE0EEEvSP_, .Lfunc_end176-_ZN7rocprim17ROCPRIM_400000_NS6detail17trampoline_kernelINS0_14default_configENS1_32segmented_reduce_config_selectorIdEEZNS1_21segmented_reduce_implIS3_PKdPdPKldN6hipcub16HIPCUB_304000_NS6detail27convert_result_type_wrapperIS8_S9_N2at6native12_GLOBAL__N_110CustomProdEEEEE10hipError_tPvRmT0_T1_jT2_SQ_T4_T3_P12ihipStream_tbEUlT_E_NS1_11comp_targetILNS1_3genE9ELNS1_11target_archE1100ELNS1_3gpuE3ELNS1_3repE0EEENS1_30default_config_static_selectorELNS0_4arch9wavefront6targetE0EEEvSP_
                                        ; -- End function
	.section	.AMDGPU.csdata,"",@progbits
; Kernel info:
; codeLenInByte = 4636
; NumSgprs: 36
; NumVgprs: 40
; ScratchSize: 0
; MemoryBound: 0
; FloatMode: 240
; IeeeMode: 1
; LDSByteSize: 64 bytes/workgroup (compile time only)
; SGPRBlocks: 4
; VGPRBlocks: 4
; NumSGPRsForWavesPerEU: 36
; NumVGPRsForWavesPerEU: 40
; Occupancy: 16
; WaveLimiterHint : 1
; COMPUTE_PGM_RSRC2:SCRATCH_EN: 0
; COMPUTE_PGM_RSRC2:USER_SGPR: 15
; COMPUTE_PGM_RSRC2:TRAP_HANDLER: 0
; COMPUTE_PGM_RSRC2:TGID_X_EN: 1
; COMPUTE_PGM_RSRC2:TGID_Y_EN: 0
; COMPUTE_PGM_RSRC2:TGID_Z_EN: 0
; COMPUTE_PGM_RSRC2:TIDIG_COMP_CNT: 0
	.section	.text._ZN7rocprim17ROCPRIM_400000_NS6detail17trampoline_kernelINS0_14default_configENS1_32segmented_reduce_config_selectorIdEEZNS1_21segmented_reduce_implIS3_PKdPdPKldN6hipcub16HIPCUB_304000_NS6detail27convert_result_type_wrapperIS8_S9_N2at6native12_GLOBAL__N_110CustomProdEEEEE10hipError_tPvRmT0_T1_jT2_SQ_T4_T3_P12ihipStream_tbEUlT_E_NS1_11comp_targetILNS1_3genE8ELNS1_11target_archE1030ELNS1_3gpuE2ELNS1_3repE0EEENS1_30default_config_static_selectorELNS0_4arch9wavefront6targetE0EEEvSP_,"axG",@progbits,_ZN7rocprim17ROCPRIM_400000_NS6detail17trampoline_kernelINS0_14default_configENS1_32segmented_reduce_config_selectorIdEEZNS1_21segmented_reduce_implIS3_PKdPdPKldN6hipcub16HIPCUB_304000_NS6detail27convert_result_type_wrapperIS8_S9_N2at6native12_GLOBAL__N_110CustomProdEEEEE10hipError_tPvRmT0_T1_jT2_SQ_T4_T3_P12ihipStream_tbEUlT_E_NS1_11comp_targetILNS1_3genE8ELNS1_11target_archE1030ELNS1_3gpuE2ELNS1_3repE0EEENS1_30default_config_static_selectorELNS0_4arch9wavefront6targetE0EEEvSP_,comdat
	.globl	_ZN7rocprim17ROCPRIM_400000_NS6detail17trampoline_kernelINS0_14default_configENS1_32segmented_reduce_config_selectorIdEEZNS1_21segmented_reduce_implIS3_PKdPdPKldN6hipcub16HIPCUB_304000_NS6detail27convert_result_type_wrapperIS8_S9_N2at6native12_GLOBAL__N_110CustomProdEEEEE10hipError_tPvRmT0_T1_jT2_SQ_T4_T3_P12ihipStream_tbEUlT_E_NS1_11comp_targetILNS1_3genE8ELNS1_11target_archE1030ELNS1_3gpuE2ELNS1_3repE0EEENS1_30default_config_static_selectorELNS0_4arch9wavefront6targetE0EEEvSP_ ; -- Begin function _ZN7rocprim17ROCPRIM_400000_NS6detail17trampoline_kernelINS0_14default_configENS1_32segmented_reduce_config_selectorIdEEZNS1_21segmented_reduce_implIS3_PKdPdPKldN6hipcub16HIPCUB_304000_NS6detail27convert_result_type_wrapperIS8_S9_N2at6native12_GLOBAL__N_110CustomProdEEEEE10hipError_tPvRmT0_T1_jT2_SQ_T4_T3_P12ihipStream_tbEUlT_E_NS1_11comp_targetILNS1_3genE8ELNS1_11target_archE1030ELNS1_3gpuE2ELNS1_3repE0EEENS1_30default_config_static_selectorELNS0_4arch9wavefront6targetE0EEEvSP_
	.p2align	8
	.type	_ZN7rocprim17ROCPRIM_400000_NS6detail17trampoline_kernelINS0_14default_configENS1_32segmented_reduce_config_selectorIdEEZNS1_21segmented_reduce_implIS3_PKdPdPKldN6hipcub16HIPCUB_304000_NS6detail27convert_result_type_wrapperIS8_S9_N2at6native12_GLOBAL__N_110CustomProdEEEEE10hipError_tPvRmT0_T1_jT2_SQ_T4_T3_P12ihipStream_tbEUlT_E_NS1_11comp_targetILNS1_3genE8ELNS1_11target_archE1030ELNS1_3gpuE2ELNS1_3repE0EEENS1_30default_config_static_selectorELNS0_4arch9wavefront6targetE0EEEvSP_,@function
_ZN7rocprim17ROCPRIM_400000_NS6detail17trampoline_kernelINS0_14default_configENS1_32segmented_reduce_config_selectorIdEEZNS1_21segmented_reduce_implIS3_PKdPdPKldN6hipcub16HIPCUB_304000_NS6detail27convert_result_type_wrapperIS8_S9_N2at6native12_GLOBAL__N_110CustomProdEEEEE10hipError_tPvRmT0_T1_jT2_SQ_T4_T3_P12ihipStream_tbEUlT_E_NS1_11comp_targetILNS1_3genE8ELNS1_11target_archE1030ELNS1_3gpuE2ELNS1_3repE0EEENS1_30default_config_static_selectorELNS0_4arch9wavefront6targetE0EEEvSP_: ; @_ZN7rocprim17ROCPRIM_400000_NS6detail17trampoline_kernelINS0_14default_configENS1_32segmented_reduce_config_selectorIdEEZNS1_21segmented_reduce_implIS3_PKdPdPKldN6hipcub16HIPCUB_304000_NS6detail27convert_result_type_wrapperIS8_S9_N2at6native12_GLOBAL__N_110CustomProdEEEEE10hipError_tPvRmT0_T1_jT2_SQ_T4_T3_P12ihipStream_tbEUlT_E_NS1_11comp_targetILNS1_3genE8ELNS1_11target_archE1030ELNS1_3gpuE2ELNS1_3repE0EEENS1_30default_config_static_selectorELNS0_4arch9wavefront6targetE0EEEvSP_
; %bb.0:
	.section	.rodata,"a",@progbits
	.p2align	6, 0x0
	.amdhsa_kernel _ZN7rocprim17ROCPRIM_400000_NS6detail17trampoline_kernelINS0_14default_configENS1_32segmented_reduce_config_selectorIdEEZNS1_21segmented_reduce_implIS3_PKdPdPKldN6hipcub16HIPCUB_304000_NS6detail27convert_result_type_wrapperIS8_S9_N2at6native12_GLOBAL__N_110CustomProdEEEEE10hipError_tPvRmT0_T1_jT2_SQ_T4_T3_P12ihipStream_tbEUlT_E_NS1_11comp_targetILNS1_3genE8ELNS1_11target_archE1030ELNS1_3gpuE2ELNS1_3repE0EEENS1_30default_config_static_selectorELNS0_4arch9wavefront6targetE0EEEvSP_
		.amdhsa_group_segment_fixed_size 0
		.amdhsa_private_segment_fixed_size 0
		.amdhsa_kernarg_size 56
		.amdhsa_user_sgpr_count 15
		.amdhsa_user_sgpr_dispatch_ptr 0
		.amdhsa_user_sgpr_queue_ptr 0
		.amdhsa_user_sgpr_kernarg_segment_ptr 1
		.amdhsa_user_sgpr_dispatch_id 0
		.amdhsa_user_sgpr_private_segment_size 0
		.amdhsa_wavefront_size32 1
		.amdhsa_uses_dynamic_stack 0
		.amdhsa_enable_private_segment 0
		.amdhsa_system_sgpr_workgroup_id_x 1
		.amdhsa_system_sgpr_workgroup_id_y 0
		.amdhsa_system_sgpr_workgroup_id_z 0
		.amdhsa_system_sgpr_workgroup_info 0
		.amdhsa_system_vgpr_workitem_id 0
		.amdhsa_next_free_vgpr 1
		.amdhsa_next_free_sgpr 1
		.amdhsa_reserve_vcc 0
		.amdhsa_float_round_mode_32 0
		.amdhsa_float_round_mode_16_64 0
		.amdhsa_float_denorm_mode_32 3
		.amdhsa_float_denorm_mode_16_64 3
		.amdhsa_dx10_clamp 1
		.amdhsa_ieee_mode 1
		.amdhsa_fp16_overflow 0
		.amdhsa_workgroup_processor_mode 1
		.amdhsa_memory_ordered 1
		.amdhsa_forward_progress 0
		.amdhsa_shared_vgpr_count 0
		.amdhsa_exception_fp_ieee_invalid_op 0
		.amdhsa_exception_fp_denorm_src 0
		.amdhsa_exception_fp_ieee_div_zero 0
		.amdhsa_exception_fp_ieee_overflow 0
		.amdhsa_exception_fp_ieee_underflow 0
		.amdhsa_exception_fp_ieee_inexact 0
		.amdhsa_exception_int_div_zero 0
	.end_amdhsa_kernel
	.section	.text._ZN7rocprim17ROCPRIM_400000_NS6detail17trampoline_kernelINS0_14default_configENS1_32segmented_reduce_config_selectorIdEEZNS1_21segmented_reduce_implIS3_PKdPdPKldN6hipcub16HIPCUB_304000_NS6detail27convert_result_type_wrapperIS8_S9_N2at6native12_GLOBAL__N_110CustomProdEEEEE10hipError_tPvRmT0_T1_jT2_SQ_T4_T3_P12ihipStream_tbEUlT_E_NS1_11comp_targetILNS1_3genE8ELNS1_11target_archE1030ELNS1_3gpuE2ELNS1_3repE0EEENS1_30default_config_static_selectorELNS0_4arch9wavefront6targetE0EEEvSP_,"axG",@progbits,_ZN7rocprim17ROCPRIM_400000_NS6detail17trampoline_kernelINS0_14default_configENS1_32segmented_reduce_config_selectorIdEEZNS1_21segmented_reduce_implIS3_PKdPdPKldN6hipcub16HIPCUB_304000_NS6detail27convert_result_type_wrapperIS8_S9_N2at6native12_GLOBAL__N_110CustomProdEEEEE10hipError_tPvRmT0_T1_jT2_SQ_T4_T3_P12ihipStream_tbEUlT_E_NS1_11comp_targetILNS1_3genE8ELNS1_11target_archE1030ELNS1_3gpuE2ELNS1_3repE0EEENS1_30default_config_static_selectorELNS0_4arch9wavefront6targetE0EEEvSP_,comdat
.Lfunc_end177:
	.size	_ZN7rocprim17ROCPRIM_400000_NS6detail17trampoline_kernelINS0_14default_configENS1_32segmented_reduce_config_selectorIdEEZNS1_21segmented_reduce_implIS3_PKdPdPKldN6hipcub16HIPCUB_304000_NS6detail27convert_result_type_wrapperIS8_S9_N2at6native12_GLOBAL__N_110CustomProdEEEEE10hipError_tPvRmT0_T1_jT2_SQ_T4_T3_P12ihipStream_tbEUlT_E_NS1_11comp_targetILNS1_3genE8ELNS1_11target_archE1030ELNS1_3gpuE2ELNS1_3repE0EEENS1_30default_config_static_selectorELNS0_4arch9wavefront6targetE0EEEvSP_, .Lfunc_end177-_ZN7rocprim17ROCPRIM_400000_NS6detail17trampoline_kernelINS0_14default_configENS1_32segmented_reduce_config_selectorIdEEZNS1_21segmented_reduce_implIS3_PKdPdPKldN6hipcub16HIPCUB_304000_NS6detail27convert_result_type_wrapperIS8_S9_N2at6native12_GLOBAL__N_110CustomProdEEEEE10hipError_tPvRmT0_T1_jT2_SQ_T4_T3_P12ihipStream_tbEUlT_E_NS1_11comp_targetILNS1_3genE8ELNS1_11target_archE1030ELNS1_3gpuE2ELNS1_3repE0EEENS1_30default_config_static_selectorELNS0_4arch9wavefront6targetE0EEEvSP_
                                        ; -- End function
	.section	.AMDGPU.csdata,"",@progbits
; Kernel info:
; codeLenInByte = 0
; NumSgprs: 0
; NumVgprs: 0
; ScratchSize: 0
; MemoryBound: 0
; FloatMode: 240
; IeeeMode: 1
; LDSByteSize: 0 bytes/workgroup (compile time only)
; SGPRBlocks: 0
; VGPRBlocks: 0
; NumSGPRsForWavesPerEU: 1
; NumVGPRsForWavesPerEU: 1
; Occupancy: 16
; WaveLimiterHint : 0
; COMPUTE_PGM_RSRC2:SCRATCH_EN: 0
; COMPUTE_PGM_RSRC2:USER_SGPR: 15
; COMPUTE_PGM_RSRC2:TRAP_HANDLER: 0
; COMPUTE_PGM_RSRC2:TGID_X_EN: 1
; COMPUTE_PGM_RSRC2:TGID_Y_EN: 0
; COMPUTE_PGM_RSRC2:TGID_Z_EN: 0
; COMPUTE_PGM_RSRC2:TIDIG_COMP_CNT: 0
	.section	.text._ZN2at6native12_GLOBAL__N_129segment_reduce_forward_kernelIflEEvNS0_13ReductionTypeEPT_PKS4_PKT0_SA_llbS4_lllllll,"axG",@progbits,_ZN2at6native12_GLOBAL__N_129segment_reduce_forward_kernelIflEEvNS0_13ReductionTypeEPT_PKS4_PKT0_SA_llbS4_lllllll,comdat
	.globl	_ZN2at6native12_GLOBAL__N_129segment_reduce_forward_kernelIflEEvNS0_13ReductionTypeEPT_PKS4_PKT0_SA_llbS4_lllllll ; -- Begin function _ZN2at6native12_GLOBAL__N_129segment_reduce_forward_kernelIflEEvNS0_13ReductionTypeEPT_PKS4_PKT0_SA_llbS4_lllllll
	.p2align	8
	.type	_ZN2at6native12_GLOBAL__N_129segment_reduce_forward_kernelIflEEvNS0_13ReductionTypeEPT_PKS4_PKT0_SA_llbS4_lllllll,@function
_ZN2at6native12_GLOBAL__N_129segment_reduce_forward_kernelIflEEvNS0_13ReductionTypeEPT_PKS4_PKT0_SA_llbS4_lllllll: ; @_ZN2at6native12_GLOBAL__N_129segment_reduce_forward_kernelIflEEvNS0_13ReductionTypeEPT_PKS4_PKT0_SA_llbS4_lllllll
; %bb.0:
	s_clause 0x2
	s_load_b128 s[28:31], s[0:1], 0x28
	s_load_b32 s2, s[0:1], 0x84
	s_load_b256 s[20:27], s[0:1], 0x40
	v_mov_b32_e32 v2, 0
	s_delay_alu instid0(VALU_DEP_1)
	v_mov_b32_e32 v1, v2
	s_waitcnt lgkmcnt(0)
	s_and_b32 s2, s2, 0xffff
	s_mul_i32 s3, s20, s29
	s_mul_hi_u32 s4, s20, s28
	s_mul_i32 s5, s21, s28
	s_mul_i32 s6, s20, s28
	v_mad_u64_u32 v[4:5], null, s2, s15, v[0:1]
	s_add_i32 s2, s4, s3
	s_mul_i32 s3, s6, s23
	s_mul_hi_u32 s4, s6, s22
	s_add_i32 s2, s2, s5
	s_add_i32 s3, s4, s3
	s_mul_i32 s2, s2, s22
	s_delay_alu instid0(SALU_CYCLE_1) | instskip(SKIP_1) | instid1(SALU_CYCLE_1)
	s_add_i32 s3, s3, s2
	s_mul_i32 s2, s6, s22
	v_cmp_gt_i64_e32 vcc_lo, s[2:3], v[4:5]
	s_and_saveexec_b32 s2, vcc_lo
	s_cbranch_execz .LBB178_35
; %bb.1:
	v_or_b32_e32 v3, s23, v5
                                        ; implicit-def: $vgpr10_vgpr11
	s_mov_b32 s2, exec_lo
	s_delay_alu instid0(VALU_DEP_1)
	v_cmpx_ne_u64_e32 0, v[2:3]
	s_xor_b32 s3, exec_lo, s2
	s_cbranch_execz .LBB178_3
; %bb.2:
	s_ashr_i32 s4, s23, 31
	s_delay_alu instid0(SALU_CYCLE_1) | instskip(SKIP_2) | instid1(SALU_CYCLE_1)
	s_add_u32 s6, s22, s4
	s_mov_b32 s5, s4
	s_addc_u32 s7, s23, s4
	s_xor_b64 s[6:7], s[6:7], s[4:5]
	s_delay_alu instid0(SALU_CYCLE_1) | instskip(SKIP_3) | instid1(VALU_DEP_1)
	v_cvt_f32_u32_e32 v0, s6
	v_cvt_f32_u32_e32 v1, s7
	s_sub_u32 s2, 0, s6
	s_subb_u32 s5, 0, s7
	v_fmamk_f32 v0, v1, 0x4f800000, v0
	s_delay_alu instid0(VALU_DEP_1) | instskip(SKIP_2) | instid1(VALU_DEP_1)
	v_rcp_f32_e32 v0, v0
	s_waitcnt_depctr 0xfff
	v_mul_f32_e32 v0, 0x5f7ffffc, v0
	v_mul_f32_e32 v1, 0x2f800000, v0
	s_delay_alu instid0(VALU_DEP_1) | instskip(NEXT) | instid1(VALU_DEP_1)
	v_trunc_f32_e32 v1, v1
	v_fmamk_f32 v0, v1, 0xcf800000, v0
	v_cvt_u32_f32_e32 v1, v1
	s_delay_alu instid0(VALU_DEP_2) | instskip(NEXT) | instid1(VALU_DEP_2)
	v_cvt_u32_f32_e32 v0, v0
	v_mul_lo_u32 v2, s2, v1
	s_delay_alu instid0(VALU_DEP_2) | instskip(SKIP_1) | instid1(VALU_DEP_2)
	v_mul_hi_u32 v3, s2, v0
	v_mul_lo_u32 v6, s5, v0
	v_add_nc_u32_e32 v2, v3, v2
	v_mul_lo_u32 v3, s2, v0
	s_delay_alu instid0(VALU_DEP_2) | instskip(NEXT) | instid1(VALU_DEP_2)
	v_add_nc_u32_e32 v2, v2, v6
	v_mul_hi_u32 v6, v0, v3
	s_delay_alu instid0(VALU_DEP_2)
	v_mul_lo_u32 v7, v0, v2
	v_mul_hi_u32 v8, v0, v2
	v_mul_hi_u32 v9, v1, v3
	v_mul_lo_u32 v3, v1, v3
	v_mul_hi_u32 v10, v1, v2
	v_mul_lo_u32 v2, v1, v2
	v_add_co_u32 v6, vcc_lo, v6, v7
	v_add_co_ci_u32_e32 v7, vcc_lo, 0, v8, vcc_lo
	s_delay_alu instid0(VALU_DEP_2) | instskip(NEXT) | instid1(VALU_DEP_2)
	v_add_co_u32 v3, vcc_lo, v6, v3
	v_add_co_ci_u32_e32 v3, vcc_lo, v7, v9, vcc_lo
	v_add_co_ci_u32_e32 v6, vcc_lo, 0, v10, vcc_lo
	v_ashrrev_i32_e32 v9, 31, v5
	s_delay_alu instid0(VALU_DEP_3) | instskip(NEXT) | instid1(VALU_DEP_3)
	v_add_co_u32 v2, vcc_lo, v3, v2
	v_add_co_ci_u32_e32 v3, vcc_lo, 0, v6, vcc_lo
	s_delay_alu instid0(VALU_DEP_2) | instskip(NEXT) | instid1(VALU_DEP_2)
	v_add_co_u32 v0, vcc_lo, v0, v2
	v_add_co_ci_u32_e32 v1, vcc_lo, v1, v3, vcc_lo
	s_delay_alu instid0(VALU_DEP_2) | instskip(SKIP_1) | instid1(VALU_DEP_3)
	v_mul_hi_u32 v2, s2, v0
	v_mul_lo_u32 v6, s5, v0
	v_mul_lo_u32 v3, s2, v1
	s_delay_alu instid0(VALU_DEP_1) | instskip(SKIP_1) | instid1(VALU_DEP_2)
	v_add_nc_u32_e32 v2, v2, v3
	v_mul_lo_u32 v3, s2, v0
	v_add_nc_u32_e32 v2, v2, v6
	s_delay_alu instid0(VALU_DEP_2) | instskip(NEXT) | instid1(VALU_DEP_2)
	v_mul_hi_u32 v6, v0, v3
	v_mul_lo_u32 v7, v0, v2
	v_mul_hi_u32 v8, v0, v2
	v_mul_hi_u32 v10, v1, v3
	v_mul_lo_u32 v3, v1, v3
	v_mul_hi_u32 v11, v1, v2
	v_mul_lo_u32 v2, v1, v2
	v_add_co_u32 v6, vcc_lo, v6, v7
	v_add_co_ci_u32_e32 v7, vcc_lo, 0, v8, vcc_lo
	s_delay_alu instid0(VALU_DEP_2) | instskip(NEXT) | instid1(VALU_DEP_2)
	v_add_co_u32 v3, vcc_lo, v6, v3
	v_add_co_ci_u32_e32 v3, vcc_lo, v7, v10, vcc_lo
	v_add_co_ci_u32_e32 v6, vcc_lo, 0, v11, vcc_lo
	v_add_co_u32 v7, vcc_lo, v4, v9
	v_add_co_ci_u32_e32 v8, vcc_lo, v5, v9, vcc_lo
	s_delay_alu instid0(VALU_DEP_4) | instskip(NEXT) | instid1(VALU_DEP_4)
	v_add_co_u32 v2, vcc_lo, v3, v2
	v_add_co_ci_u32_e32 v3, vcc_lo, 0, v6, vcc_lo
	s_delay_alu instid0(VALU_DEP_4) | instskip(NEXT) | instid1(VALU_DEP_3)
	v_xor_b32_e32 v10, v7, v9
	v_add_co_u32 v6, vcc_lo, v0, v2
	s_delay_alu instid0(VALU_DEP_3) | instskip(SKIP_1) | instid1(VALU_DEP_3)
	v_add_co_ci_u32_e32 v11, vcc_lo, v1, v3, vcc_lo
	v_xor_b32_e32 v8, v8, v9
	v_mul_hi_u32 v12, v10, v6
	s_delay_alu instid0(VALU_DEP_3) | instskip(NEXT) | instid1(VALU_DEP_3)
	v_mad_u64_u32 v[0:1], null, v10, v11, 0
	v_mad_u64_u32 v[2:3], null, v8, v6, 0
	;; [unrolled: 1-line block ×3, first 2 shown]
	s_delay_alu instid0(VALU_DEP_3) | instskip(NEXT) | instid1(VALU_DEP_4)
	v_add_co_u32 v0, vcc_lo, v12, v0
	v_add_co_ci_u32_e32 v1, vcc_lo, 0, v1, vcc_lo
	s_delay_alu instid0(VALU_DEP_2) | instskip(NEXT) | instid1(VALU_DEP_2)
	v_add_co_u32 v0, vcc_lo, v0, v2
	v_add_co_ci_u32_e32 v0, vcc_lo, v1, v3, vcc_lo
	v_add_co_ci_u32_e32 v1, vcc_lo, 0, v7, vcc_lo
	s_delay_alu instid0(VALU_DEP_2) | instskip(NEXT) | instid1(VALU_DEP_2)
	v_add_co_u32 v2, vcc_lo, v0, v6
	v_add_co_ci_u32_e32 v3, vcc_lo, 0, v1, vcc_lo
	s_delay_alu instid0(VALU_DEP_2) | instskip(SKIP_1) | instid1(VALU_DEP_3)
	v_mul_lo_u32 v6, s7, v2
	v_mad_u64_u32 v[0:1], null, s6, v2, 0
	v_mul_lo_u32 v7, s6, v3
	s_delay_alu instid0(VALU_DEP_2) | instskip(NEXT) | instid1(VALU_DEP_2)
	v_sub_co_u32 v0, vcc_lo, v10, v0
	v_add3_u32 v1, v1, v7, v6
	s_delay_alu instid0(VALU_DEP_1) | instskip(NEXT) | instid1(VALU_DEP_1)
	v_sub_nc_u32_e32 v6, v8, v1
	v_subrev_co_ci_u32_e64 v6, s2, s7, v6, vcc_lo
	v_add_co_u32 v7, s2, v2, 2
	s_delay_alu instid0(VALU_DEP_1) | instskip(SKIP_3) | instid1(VALU_DEP_3)
	v_add_co_ci_u32_e64 v10, s2, 0, v3, s2
	v_sub_co_u32 v11, s2, v0, s6
	v_sub_co_ci_u32_e32 v1, vcc_lo, v8, v1, vcc_lo
	v_subrev_co_ci_u32_e64 v6, s2, 0, v6, s2
	v_cmp_le_u32_e32 vcc_lo, s6, v11
	s_delay_alu instid0(VALU_DEP_3) | instskip(SKIP_1) | instid1(VALU_DEP_4)
	v_cmp_eq_u32_e64 s2, s7, v1
	v_cndmask_b32_e64 v8, 0, -1, vcc_lo
	v_cmp_le_u32_e32 vcc_lo, s7, v6
	v_cndmask_b32_e64 v11, 0, -1, vcc_lo
	v_cmp_le_u32_e32 vcc_lo, s6, v0
	;; [unrolled: 2-line block ×3, first 2 shown]
	v_cndmask_b32_e64 v12, 0, -1, vcc_lo
	v_cmp_eq_u32_e32 vcc_lo, s7, v6
	s_delay_alu instid0(VALU_DEP_2) | instskip(SKIP_3) | instid1(VALU_DEP_3)
	v_cndmask_b32_e64 v0, v12, v0, s2
	v_cndmask_b32_e32 v6, v11, v8, vcc_lo
	v_add_co_u32 v8, vcc_lo, v2, 1
	v_add_co_ci_u32_e32 v11, vcc_lo, 0, v3, vcc_lo
	v_cmp_ne_u32_e32 vcc_lo, 0, v6
	s_delay_alu instid0(VALU_DEP_2) | instskip(SKIP_2) | instid1(VALU_DEP_3)
	v_dual_cndmask_b32 v1, v11, v10 :: v_dual_cndmask_b32 v6, v8, v7
	v_cmp_ne_u32_e32 vcc_lo, 0, v0
	v_xor_b32_e32 v0, s4, v9
	v_dual_cndmask_b32 v2, v2, v6 :: v_dual_cndmask_b32 v1, v3, v1
	s_delay_alu instid0(VALU_DEP_1) | instskip(NEXT) | instid1(VALU_DEP_2)
	v_xor_b32_e32 v2, v2, v0
	v_xor_b32_e32 v1, v1, v0
	s_delay_alu instid0(VALU_DEP_2) | instskip(NEXT) | instid1(VALU_DEP_2)
	v_sub_co_u32 v10, vcc_lo, v2, v0
	v_sub_co_ci_u32_e32 v11, vcc_lo, v1, v0, vcc_lo
.LBB178_3:
	s_or_saveexec_b32 s2, s3
	s_clause 0x1
	s_load_b256 s[4:11], s[0:1], 0x8
	s_load_b256 s[12:19], s[0:1], 0x60
	s_xor_b32 exec_lo, exec_lo, s2
	s_cbranch_execz .LBB178_5
; %bb.4:
	v_cvt_f32_u32_e32 v0, s22
	s_sub_i32 s3, 0, s22
	v_mov_b32_e32 v11, 0
	s_delay_alu instid0(VALU_DEP_2) | instskip(SKIP_2) | instid1(VALU_DEP_1)
	v_rcp_iflag_f32_e32 v0, v0
	s_waitcnt_depctr 0xfff
	v_mul_f32_e32 v0, 0x4f7ffffe, v0
	v_cvt_u32_f32_e32 v0, v0
	s_delay_alu instid0(VALU_DEP_1) | instskip(NEXT) | instid1(VALU_DEP_1)
	v_mul_lo_u32 v1, s3, v0
	v_mul_hi_u32 v1, v0, v1
	s_delay_alu instid0(VALU_DEP_1) | instskip(NEXT) | instid1(VALU_DEP_1)
	v_add_nc_u32_e32 v0, v0, v1
	v_mul_hi_u32 v0, v4, v0
	s_delay_alu instid0(VALU_DEP_1) | instskip(SKIP_1) | instid1(VALU_DEP_2)
	v_mul_lo_u32 v1, v0, s22
	v_add_nc_u32_e32 v2, 1, v0
	v_sub_nc_u32_e32 v1, v4, v1
	s_delay_alu instid0(VALU_DEP_1) | instskip(SKIP_1) | instid1(VALU_DEP_2)
	v_subrev_nc_u32_e32 v3, s22, v1
	v_cmp_le_u32_e32 vcc_lo, s22, v1
	v_dual_cndmask_b32 v1, v1, v3 :: v_dual_cndmask_b32 v0, v0, v2
	s_delay_alu instid0(VALU_DEP_1) | instskip(NEXT) | instid1(VALU_DEP_2)
	v_cmp_le_u32_e32 vcc_lo, s22, v1
	v_add_nc_u32_e32 v2, 1, v0
	s_delay_alu instid0(VALU_DEP_1)
	v_cndmask_b32_e32 v10, v0, v2, vcc_lo
.LBB178_5:
	s_or_b32 exec_lo, exec_lo, s2
	v_or_b32_e32 v1, s29, v11
	v_mov_b32_e32 v0, 0
                                        ; implicit-def: $vgpr6_vgpr7
	s_mov_b32 s2, exec_lo
	s_delay_alu instid0(VALU_DEP_1)
	v_cmpx_ne_u64_e32 0, v[0:1]
	s_xor_b32 s3, exec_lo, s2
	s_cbranch_execz .LBB178_7
; %bb.6:
	s_waitcnt lgkmcnt(0)
	s_ashr_i32 s18, s29, 31
	s_delay_alu instid0(SALU_CYCLE_1) | instskip(SKIP_2) | instid1(SALU_CYCLE_1)
	s_add_u32 s20, s28, s18
	s_mov_b32 s19, s18
	s_addc_u32 s21, s29, s18
	s_xor_b64 s[20:21], s[20:21], s[18:19]
	s_delay_alu instid0(SALU_CYCLE_1) | instskip(SKIP_3) | instid1(VALU_DEP_1)
	v_cvt_f32_u32_e32 v0, s20
	v_cvt_f32_u32_e32 v1, s21
	s_sub_u32 s2, 0, s20
	s_subb_u32 s19, 0, s21
	v_fmamk_f32 v0, v1, 0x4f800000, v0
	s_delay_alu instid0(VALU_DEP_1) | instskip(SKIP_2) | instid1(VALU_DEP_1)
	v_rcp_f32_e32 v0, v0
	s_waitcnt_depctr 0xfff
	v_mul_f32_e32 v0, 0x5f7ffffc, v0
	v_mul_f32_e32 v1, 0x2f800000, v0
	s_delay_alu instid0(VALU_DEP_1) | instskip(NEXT) | instid1(VALU_DEP_1)
	v_trunc_f32_e32 v1, v1
	v_fmamk_f32 v0, v1, 0xcf800000, v0
	v_cvt_u32_f32_e32 v1, v1
	s_delay_alu instid0(VALU_DEP_2) | instskip(NEXT) | instid1(VALU_DEP_2)
	v_cvt_u32_f32_e32 v0, v0
	v_mul_lo_u32 v2, s2, v1
	s_delay_alu instid0(VALU_DEP_2) | instskip(SKIP_1) | instid1(VALU_DEP_2)
	v_mul_hi_u32 v3, s2, v0
	v_mul_lo_u32 v6, s19, v0
	v_add_nc_u32_e32 v2, v3, v2
	v_mul_lo_u32 v3, s2, v0
	s_delay_alu instid0(VALU_DEP_2) | instskip(NEXT) | instid1(VALU_DEP_2)
	v_add_nc_u32_e32 v2, v2, v6
	v_mul_hi_u32 v6, v0, v3
	s_delay_alu instid0(VALU_DEP_2)
	v_mul_lo_u32 v7, v0, v2
	v_mul_hi_u32 v8, v0, v2
	v_mul_hi_u32 v9, v1, v3
	v_mul_lo_u32 v3, v1, v3
	v_mul_hi_u32 v12, v1, v2
	v_mul_lo_u32 v2, v1, v2
	v_add_co_u32 v6, vcc_lo, v6, v7
	v_add_co_ci_u32_e32 v7, vcc_lo, 0, v8, vcc_lo
	s_delay_alu instid0(VALU_DEP_2) | instskip(NEXT) | instid1(VALU_DEP_2)
	v_add_co_u32 v3, vcc_lo, v6, v3
	v_add_co_ci_u32_e32 v3, vcc_lo, v7, v9, vcc_lo
	v_add_co_ci_u32_e32 v6, vcc_lo, 0, v12, vcc_lo
	v_ashrrev_i32_e32 v9, 31, v11
	s_delay_alu instid0(VALU_DEP_3) | instskip(NEXT) | instid1(VALU_DEP_3)
	v_add_co_u32 v2, vcc_lo, v3, v2
	v_add_co_ci_u32_e32 v3, vcc_lo, 0, v6, vcc_lo
	s_delay_alu instid0(VALU_DEP_2) | instskip(NEXT) | instid1(VALU_DEP_2)
	v_add_co_u32 v0, vcc_lo, v0, v2
	v_add_co_ci_u32_e32 v1, vcc_lo, v1, v3, vcc_lo
	s_delay_alu instid0(VALU_DEP_2) | instskip(SKIP_1) | instid1(VALU_DEP_3)
	v_mul_hi_u32 v2, s2, v0
	v_mul_lo_u32 v6, s19, v0
	v_mul_lo_u32 v3, s2, v1
	s_delay_alu instid0(VALU_DEP_1) | instskip(SKIP_1) | instid1(VALU_DEP_2)
	v_add_nc_u32_e32 v2, v2, v3
	v_mul_lo_u32 v3, s2, v0
	v_add_nc_u32_e32 v2, v2, v6
	s_delay_alu instid0(VALU_DEP_2) | instskip(NEXT) | instid1(VALU_DEP_2)
	v_mul_hi_u32 v6, v0, v3
	v_mul_lo_u32 v7, v0, v2
	v_mul_hi_u32 v8, v0, v2
	v_mul_hi_u32 v12, v1, v3
	v_mul_lo_u32 v3, v1, v3
	v_mul_hi_u32 v13, v1, v2
	v_mul_lo_u32 v2, v1, v2
	v_add_co_u32 v6, vcc_lo, v6, v7
	v_add_co_ci_u32_e32 v7, vcc_lo, 0, v8, vcc_lo
	s_delay_alu instid0(VALU_DEP_2) | instskip(NEXT) | instid1(VALU_DEP_2)
	v_add_co_u32 v3, vcc_lo, v6, v3
	v_add_co_ci_u32_e32 v3, vcc_lo, v7, v12, vcc_lo
	v_add_co_ci_u32_e32 v6, vcc_lo, 0, v13, vcc_lo
	v_add_co_u32 v7, vcc_lo, v10, v9
	v_add_co_ci_u32_e32 v8, vcc_lo, v11, v9, vcc_lo
	s_delay_alu instid0(VALU_DEP_4) | instskip(NEXT) | instid1(VALU_DEP_4)
	v_add_co_u32 v2, vcc_lo, v3, v2
	v_add_co_ci_u32_e32 v3, vcc_lo, 0, v6, vcc_lo
	s_delay_alu instid0(VALU_DEP_4) | instskip(NEXT) | instid1(VALU_DEP_3)
	v_xor_b32_e32 v12, v7, v9
	v_add_co_u32 v6, vcc_lo, v0, v2
	s_delay_alu instid0(VALU_DEP_3) | instskip(SKIP_1) | instid1(VALU_DEP_3)
	v_add_co_ci_u32_e32 v13, vcc_lo, v1, v3, vcc_lo
	v_xor_b32_e32 v8, v8, v9
	v_mul_hi_u32 v14, v12, v6
	s_delay_alu instid0(VALU_DEP_3) | instskip(NEXT) | instid1(VALU_DEP_3)
	v_mad_u64_u32 v[0:1], null, v12, v13, 0
	v_mad_u64_u32 v[2:3], null, v8, v6, 0
	;; [unrolled: 1-line block ×3, first 2 shown]
	s_delay_alu instid0(VALU_DEP_3) | instskip(NEXT) | instid1(VALU_DEP_4)
	v_add_co_u32 v0, vcc_lo, v14, v0
	v_add_co_ci_u32_e32 v1, vcc_lo, 0, v1, vcc_lo
	s_delay_alu instid0(VALU_DEP_2) | instskip(NEXT) | instid1(VALU_DEP_2)
	v_add_co_u32 v0, vcc_lo, v0, v2
	v_add_co_ci_u32_e32 v0, vcc_lo, v1, v3, vcc_lo
	v_add_co_ci_u32_e32 v1, vcc_lo, 0, v7, vcc_lo
	s_delay_alu instid0(VALU_DEP_2) | instskip(NEXT) | instid1(VALU_DEP_2)
	v_add_co_u32 v2, vcc_lo, v0, v6
	v_add_co_ci_u32_e32 v3, vcc_lo, 0, v1, vcc_lo
	s_delay_alu instid0(VALU_DEP_2) | instskip(SKIP_1) | instid1(VALU_DEP_3)
	v_mul_lo_u32 v6, s21, v2
	v_mad_u64_u32 v[0:1], null, s20, v2, 0
	v_mul_lo_u32 v7, s20, v3
	s_delay_alu instid0(VALU_DEP_2) | instskip(NEXT) | instid1(VALU_DEP_2)
	v_sub_co_u32 v0, vcc_lo, v12, v0
	v_add3_u32 v1, v1, v7, v6
	s_delay_alu instid0(VALU_DEP_1) | instskip(NEXT) | instid1(VALU_DEP_1)
	v_sub_nc_u32_e32 v6, v8, v1
	v_subrev_co_ci_u32_e64 v6, s2, s21, v6, vcc_lo
	v_add_co_u32 v7, s2, v2, 2
	s_delay_alu instid0(VALU_DEP_1) | instskip(SKIP_3) | instid1(VALU_DEP_3)
	v_add_co_ci_u32_e64 v12, s2, 0, v3, s2
	v_sub_co_u32 v13, s2, v0, s20
	v_sub_co_ci_u32_e32 v1, vcc_lo, v8, v1, vcc_lo
	v_subrev_co_ci_u32_e64 v6, s2, 0, v6, s2
	v_cmp_le_u32_e32 vcc_lo, s20, v13
	s_delay_alu instid0(VALU_DEP_3) | instskip(SKIP_1) | instid1(VALU_DEP_4)
	v_cmp_eq_u32_e64 s2, s21, v1
	v_cndmask_b32_e64 v8, 0, -1, vcc_lo
	v_cmp_le_u32_e32 vcc_lo, s21, v6
	v_cndmask_b32_e64 v13, 0, -1, vcc_lo
	v_cmp_le_u32_e32 vcc_lo, s20, v0
	;; [unrolled: 2-line block ×3, first 2 shown]
	v_cndmask_b32_e64 v14, 0, -1, vcc_lo
	v_cmp_eq_u32_e32 vcc_lo, s21, v6
	s_delay_alu instid0(VALU_DEP_2) | instskip(SKIP_3) | instid1(VALU_DEP_3)
	v_cndmask_b32_e64 v0, v14, v0, s2
	v_cndmask_b32_e32 v6, v13, v8, vcc_lo
	v_add_co_u32 v8, vcc_lo, v2, 1
	v_add_co_ci_u32_e32 v13, vcc_lo, 0, v3, vcc_lo
	v_cmp_ne_u32_e32 vcc_lo, 0, v6
	s_delay_alu instid0(VALU_DEP_2) | instskip(SKIP_2) | instid1(VALU_DEP_3)
	v_dual_cndmask_b32 v1, v13, v12 :: v_dual_cndmask_b32 v6, v8, v7
	v_cmp_ne_u32_e32 vcc_lo, 0, v0
	v_xor_b32_e32 v0, s18, v9
	v_dual_cndmask_b32 v2, v2, v6 :: v_dual_cndmask_b32 v1, v3, v1
	s_delay_alu instid0(VALU_DEP_1) | instskip(NEXT) | instid1(VALU_DEP_2)
	v_xor_b32_e32 v2, v2, v0
	v_xor_b32_e32 v1, v1, v0
	s_delay_alu instid0(VALU_DEP_2) | instskip(NEXT) | instid1(VALU_DEP_2)
	v_sub_co_u32 v6, vcc_lo, v2, v0
	v_sub_co_ci_u32_e32 v7, vcc_lo, v1, v0, vcc_lo
.LBB178_7:
	s_and_not1_saveexec_b32 s2, s3
	s_cbranch_execz .LBB178_9
; %bb.8:
	v_cvt_f32_u32_e32 v0, s28
	s_sub_i32 s3, 0, s28
	v_mov_b32_e32 v7, 0
	s_delay_alu instid0(VALU_DEP_2) | instskip(SKIP_2) | instid1(VALU_DEP_1)
	v_rcp_iflag_f32_e32 v0, v0
	s_waitcnt_depctr 0xfff
	v_mul_f32_e32 v0, 0x4f7ffffe, v0
	v_cvt_u32_f32_e32 v0, v0
	s_delay_alu instid0(VALU_DEP_1) | instskip(NEXT) | instid1(VALU_DEP_1)
	v_mul_lo_u32 v1, s3, v0
	v_mul_hi_u32 v1, v0, v1
	s_delay_alu instid0(VALU_DEP_1) | instskip(NEXT) | instid1(VALU_DEP_1)
	v_add_nc_u32_e32 v0, v0, v1
	v_mul_hi_u32 v0, v10, v0
	s_delay_alu instid0(VALU_DEP_1) | instskip(SKIP_1) | instid1(VALU_DEP_2)
	v_mul_lo_u32 v1, v0, s28
	v_add_nc_u32_e32 v2, 1, v0
	v_sub_nc_u32_e32 v1, v10, v1
	s_delay_alu instid0(VALU_DEP_1) | instskip(SKIP_1) | instid1(VALU_DEP_2)
	v_subrev_nc_u32_e32 v3, s28, v1
	v_cmp_le_u32_e32 vcc_lo, s28, v1
	v_dual_cndmask_b32 v1, v1, v3 :: v_dual_cndmask_b32 v0, v0, v2
	s_delay_alu instid0(VALU_DEP_1) | instskip(NEXT) | instid1(VALU_DEP_2)
	v_cmp_le_u32_e32 vcc_lo, s28, v1
	v_add_nc_u32_e32 v2, 1, v0
	s_delay_alu instid0(VALU_DEP_1)
	v_cndmask_b32_e32 v6, v0, v2, vcc_lo
.LBB178_9:
	s_or_b32 exec_lo, exec_lo, s2
	s_add_u32 s2, s28, 1
	s_waitcnt lgkmcnt(0)
	s_addc_u32 s18, s29, 0
	s_mul_i32 s3, s2, s17
	s_mul_hi_u32 s17, s2, s16
	s_mul_i32 s18, s18, s16
	s_add_i32 s3, s17, s3
	s_mul_i32 s2, s2, s16
	s_add_i32 s3, s3, s18
	v_mul_lo_u32 v2, v7, s28
	v_mul_lo_u32 v3, v6, s29
	v_mad_u64_u32 v[13:14], null, v6, s28, 0
	v_mul_lo_u32 v8, s3, v6
	v_mul_lo_u32 v9, s2, v7
	v_mad_u64_u32 v[0:1], null, s2, v6, 0
	v_mul_lo_u32 v17, v11, s22
	v_mul_lo_u32 v18, v10, s23
	v_add3_u32 v14, v14, v3, v2
	s_delay_alu instid0(VALU_DEP_4) | instskip(SKIP_1) | instid1(VALU_DEP_3)
	v_add3_u32 v1, v1, v9, v8
	v_sub_co_u32 v8, vcc_lo, v10, v13
	v_sub_co_ci_u32_e32 v9, vcc_lo, v11, v14, vcc_lo
	s_delay_alu instid0(VALU_DEP_3) | instskip(SKIP_1) | instid1(VALU_DEP_3)
	v_lshlrev_b64 v[0:1], 3, v[0:1]
	v_mad_u64_u32 v[11:12], null, v10, s22, 0
	v_lshlrev_b64 v[15:16], 3, v[8:9]
	s_delay_alu instid0(VALU_DEP_3) | instskip(NEXT) | instid1(VALU_DEP_4)
	v_add_co_u32 v0, vcc_lo, s10, v0
	v_add_co_ci_u32_e32 v1, vcc_lo, s11, v1, vcc_lo
	s_delay_alu instid0(VALU_DEP_4) | instskip(NEXT) | instid1(VALU_DEP_3)
	v_add3_u32 v12, v12, v18, v17
	v_add_co_u32 v0, vcc_lo, v0, v15
	s_delay_alu instid0(VALU_DEP_3)
	v_add_co_ci_u32_e32 v1, vcc_lo, v1, v16, vcc_lo
	s_mov_b32 s10, exec_lo
	global_load_b128 v[0:3], v[0:1], off
	s_clause 0x1
	s_load_b64 s[2:3], s[0:1], 0x38
	s_load_b32 s1, s[0:1], 0x0
	s_waitcnt lgkmcnt(0)
	v_mov_b32_e32 v10, s3
	s_waitcnt vmcnt(0)
	v_cmpx_lt_i64_e64 v[0:1], v[2:3]
	s_cbranch_execz .LBB178_28
; %bb.10:
	v_mul_lo_u32 v10, v7, s26
	v_mul_lo_u32 v19, v6, s27
	v_mad_u64_u32 v[17:18], null, v6, s26, 0
	s_cmp_lg_u32 s1, 0
	s_cselect_b32 s11, -1, 0
	s_and_b32 s0, s1, -3
	s_delay_alu instid0(SALU_CYCLE_1) | instskip(NEXT) | instid1(VALU_DEP_1)
	s_cmp_lg_u32 s0, 1
	v_add3_u32 v18, v18, v19, v10
	v_lshlrev_b64 v[19:20], 2, v[0:1]
	s_cselect_b32 s16, -1, 0
	s_delay_alu instid0(VALU_DEP_2) | instskip(NEXT) | instid1(VALU_DEP_1)
	v_lshlrev_b64 v[17:18], 2, v[17:18]
	v_add_co_u32 v10, vcc_lo, v17, v19
	s_delay_alu instid0(VALU_DEP_2) | instskip(SKIP_1) | instid1(VALU_DEP_3)
	v_add_co_ci_u32_e32 v19, vcc_lo, v18, v20, vcc_lo
	v_lshlrev_b64 v[17:18], 2, v[4:5]
	v_mul_lo_u32 v22, s25, v10
	s_delay_alu instid0(VALU_DEP_3) | instskip(NEXT) | instid1(VALU_DEP_3)
	v_mul_lo_u32 v21, s24, v19
	v_mad_u64_u32 v[19:20], null, s24, v10, v[17:18]
	v_lshlrev_b64 v[17:18], 2, v[11:12]
	s_delay_alu instid0(VALU_DEP_2) | instskip(NEXT) | instid1(VALU_DEP_2)
	v_add3_u32 v10, v22, v20, v21
	v_sub_co_u32 v17, vcc_lo, v19, v17
	v_mov_b32_e32 v19, s3
	s_mov_b32 s3, 0
	s_delay_alu instid0(VALU_DEP_3) | instskip(NEXT) | instid1(VALU_DEP_3)
	v_sub_co_ci_u32_e32 v10, vcc_lo, v10, v18, vcc_lo
	v_add_co_u32 v17, vcc_lo, s6, v17
	s_delay_alu instid0(VALU_DEP_2)
	v_add_co_ci_u32_e32 v18, vcc_lo, s7, v10, vcc_lo
	s_lshl_b64 s[6:7], s[24:25], 2
	s_branch .LBB178_12
.LBB178_11:                             ;   in Loop: Header=BB178_12 Depth=1
	v_add_co_u32 v0, vcc_lo, v0, 1
	v_add_co_ci_u32_e32 v1, vcc_lo, 0, v1, vcc_lo
	v_add_co_u32 v17, s0, v17, s6
	s_delay_alu instid0(VALU_DEP_1) | instskip(NEXT) | instid1(VALU_DEP_3)
	v_add_co_ci_u32_e64 v18, s0, s7, v18, s0
	v_cmp_ge_i64_e32 vcc_lo, v[0:1], v[2:3]
	v_mov_b32_e32 v19, v10
	s_or_b32 s3, vcc_lo, s3
	s_delay_alu instid0(SALU_CYCLE_1)
	s_and_not1_b32 exec_lo, exec_lo, s3
	s_cbranch_execz .LBB178_27
.LBB178_12:                             ; =>This Inner Loop Header: Depth=1
	global_load_b32 v20, v[17:18], off
	s_and_b32 vcc_lo, exec_lo, s11
	s_cbranch_vccz .LBB178_18
; %bb.13:                               ;   in Loop: Header=BB178_12 Depth=1
	s_and_b32 vcc_lo, exec_lo, s16
	s_cbranch_vccz .LBB178_19
; %bb.14:                               ;   in Loop: Header=BB178_12 Depth=1
	s_cmp_lt_i32 s1, 4
	s_cbranch_scc1 .LBB178_20
; %bb.15:                               ;   in Loop: Header=BB178_12 Depth=1
	v_mov_b32_e32 v10, v19
	s_cmp_eq_u32 s1, 4
	s_cbranch_scc0 .LBB178_17
; %bb.16:                               ;   in Loop: Header=BB178_12 Depth=1
	s_waitcnt vmcnt(0)
	v_mul_f32_e32 v10, v20, v19
.LBB178_17:                             ;   in Loop: Header=BB178_12 Depth=1
	s_cbranch_execz .LBB178_21
	s_branch .LBB178_23
.LBB178_18:                             ;   in Loop: Header=BB178_12 Depth=1
                                        ; implicit-def: $vgpr10
	s_branch .LBB178_26
.LBB178_19:                             ;   in Loop: Header=BB178_12 Depth=1
                                        ; implicit-def: $vgpr10
	s_cbranch_execnz .LBB178_24
	s_branch .LBB178_25
.LBB178_20:                             ;   in Loop: Header=BB178_12 Depth=1
                                        ; implicit-def: $vgpr10
.LBB178_21:                             ;   in Loop: Header=BB178_12 Depth=1
	v_mov_b32_e32 v10, v19
	s_cmp_lg_u32 s1, 2
	s_cbranch_scc1 .LBB178_23
; %bb.22:                               ;   in Loop: Header=BB178_12 Depth=1
	s_waitcnt vmcnt(0)
	v_cmp_u_f32_e32 vcc_lo, v20, v20
	v_cmp_lt_f32_e64 s0, v20, v19
	s_delay_alu instid0(VALU_DEP_1)
	s_or_b32 vcc_lo, vcc_lo, s0
	v_cndmask_b32_e32 v10, v19, v20, vcc_lo
.LBB178_23:                             ;   in Loop: Header=BB178_12 Depth=1
	s_branch .LBB178_25
.LBB178_24:                             ;   in Loop: Header=BB178_12 Depth=1
	s_waitcnt vmcnt(0)
	v_add_f32_e32 v10, v20, v19
.LBB178_25:                             ;   in Loop: Header=BB178_12 Depth=1
	s_cbranch_execnz .LBB178_11
.LBB178_26:                             ;   in Loop: Header=BB178_12 Depth=1
	s_waitcnt vmcnt(0)
	v_cmp_u_f32_e32 vcc_lo, v20, v20
	v_cmp_lt_f32_e64 s0, v19, v20
	s_delay_alu instid0(VALU_DEP_1)
	s_or_b32 vcc_lo, vcc_lo, s0
	v_cndmask_b32_e32 v10, v19, v20, vcc_lo
	s_branch .LBB178_11
.LBB178_27:
	s_or_b32 exec_lo, exec_lo, s3
.LBB178_28:
	s_delay_alu instid0(SALU_CYCLE_1) | instskip(SKIP_4) | instid1(VALU_DEP_1)
	s_or_b32 exec_lo, exec_lo, s10
	v_mul_lo_u32 v2, v14, s30
	v_mul_lo_u32 v3, v13, s31
	v_mad_u64_u32 v[0:1], null, v13, s30, 0
	s_mov_b32 s0, exec_lo
	v_add3_u32 v1, v1, v3, v2
	s_delay_alu instid0(VALU_DEP_1) | instskip(NEXT) | instid1(VALU_DEP_1)
	v_lshlrev_b64 v[0:1], 3, v[0:1]
	v_add_co_u32 v0, vcc_lo, s8, v0
	s_delay_alu instid0(VALU_DEP_2) | instskip(NEXT) | instid1(VALU_DEP_2)
	v_add_co_ci_u32_e32 v1, vcc_lo, s9, v1, vcc_lo
	v_add_co_u32 v0, vcc_lo, v0, v15
	s_delay_alu instid0(VALU_DEP_2)
	v_add_co_ci_u32_e32 v1, vcc_lo, v1, v16, vcc_lo
	global_load_b64 v[0:1], v[0:1], off
	s_waitcnt vmcnt(0)
	v_cmpx_lt_i64_e32 -1, v[0:1]
	s_xor_b32 s3, exec_lo, s0
	s_cbranch_execz .LBB178_34
; %bb.29:
	s_bitcmp1_b32 s2, 0
	v_cmp_ne_u64_e32 vcc_lo, 0, v[0:1]
	s_cselect_b32 s0, -1, 0
	s_cmp_lg_u32 s1, 1
	v_mov_b32_e32 v2, 0x7fc00000
	s_cselect_b32 s2, -1, 0
	s_delay_alu instid0(SALU_CYCLE_1) | instskip(NEXT) | instid1(SALU_CYCLE_1)
	s_or_b32 s0, s2, s0
	s_or_b32 s0, s0, vcc_lo
	s_delay_alu instid0(SALU_CYCLE_1)
	s_and_saveexec_b32 s2, s0
	s_cbranch_execz .LBB178_33
; %bb.30:
	s_cmp_eq_u32 s1, 1
	v_cmp_o_f32_e64 s0, v10, v10
	s_cselect_b32 s1, -1, 0
	s_delay_alu instid0(SALU_CYCLE_1)
	s_and_b32 s1, s1, vcc_lo
	s_delay_alu instid0(VALU_DEP_1) | instid1(SALU_CYCLE_1)
	s_and_b32 s1, s1, s0
	s_delay_alu instid0(SALU_CYCLE_1)
	s_and_saveexec_b32 s0, s1
	s_cbranch_execz .LBB178_32
; %bb.31:
	v_clz_i32_u32_e32 v2, v1
	s_delay_alu instid0(VALU_DEP_1) | instskip(NEXT) | instid1(VALU_DEP_1)
	v_min_u32_e32 v2, 32, v2
	v_lshlrev_b64 v[0:1], v2, v[0:1]
	s_delay_alu instid0(VALU_DEP_1) | instskip(NEXT) | instid1(VALU_DEP_1)
	v_min_u32_e32 v0, 1, v0
	v_or_b32_e32 v0, v1, v0
	v_sub_nc_u32_e32 v1, 32, v2
	s_delay_alu instid0(VALU_DEP_2) | instskip(NEXT) | instid1(VALU_DEP_1)
	v_cvt_f32_u32_e32 v0, v0
	v_ldexp_f32 v0, v0, v1
	s_delay_alu instid0(VALU_DEP_1) | instskip(NEXT) | instid1(VALU_DEP_1)
	v_div_scale_f32 v1, null, v0, v0, v10
	v_rcp_f32_e32 v2, v1
	s_waitcnt_depctr 0xfff
	v_fma_f32 v3, -v1, v2, 1.0
	s_delay_alu instid0(VALU_DEP_1) | instskip(SKIP_1) | instid1(VALU_DEP_1)
	v_fmac_f32_e32 v2, v3, v2
	v_div_scale_f32 v3, vcc_lo, v10, v0, v10
	v_mul_f32_e32 v13, v3, v2
	s_delay_alu instid0(VALU_DEP_1) | instskip(NEXT) | instid1(VALU_DEP_1)
	v_fma_f32 v14, -v1, v13, v3
	v_fmac_f32_e32 v13, v14, v2
	s_delay_alu instid0(VALU_DEP_1) | instskip(NEXT) | instid1(VALU_DEP_1)
	v_fma_f32 v1, -v1, v13, v3
	v_div_fmas_f32 v1, v1, v2, v13
	s_delay_alu instid0(VALU_DEP_1)
	v_div_fixup_f32 v10, v1, v0, v10
.LBB178_32:
	s_or_b32 exec_lo, exec_lo, s0
	s_delay_alu instid0(VALU_DEP_1)
	v_mov_b32_e32 v2, v10
.LBB178_33:
	s_or_b32 exec_lo, exec_lo, s2
	s_mul_i32 s0, s14, s13
	s_mul_hi_u32 s1, s14, s12
	s_mul_i32 s2, s15, s12
	s_add_i32 s0, s1, s0
	s_mul_i32 s1, s14, s12
	s_add_i32 s0, s0, s2
	v_mul_lo_u32 v10, s1, v7
	v_mul_lo_u32 v3, s0, v6
	v_mad_u64_u32 v[0:1], null, s1, v6, 0
	v_mul_lo_u32 v9, v9, s12
	v_mul_lo_u32 v13, v8, s13
	v_mad_u64_u32 v[6:7], null, v8, s12, 0
	s_delay_alu instid0(VALU_DEP_4) | instskip(SKIP_2) | instid1(VALU_DEP_4)
	v_add3_u32 v1, v1, v10, v3
	v_sub_co_u32 v3, vcc_lo, v4, v11
	v_sub_co_ci_u32_e32 v4, vcc_lo, v5, v12, vcc_lo
	v_add3_u32 v7, v7, v13, v9
	s_delay_alu instid0(VALU_DEP_4) | instskip(NEXT) | instid1(VALU_DEP_2)
	v_lshlrev_b64 v[0:1], 2, v[0:1]
	v_lshlrev_b64 v[5:6], 2, v[6:7]
	s_delay_alu instid0(VALU_DEP_2) | instskip(NEXT) | instid1(VALU_DEP_3)
	v_add_co_u32 v7, vcc_lo, s4, v0
	v_add_co_ci_u32_e32 v8, vcc_lo, s5, v1, vcc_lo
	v_lshlrev_b64 v[0:1], 2, v[3:4]
	s_delay_alu instid0(VALU_DEP_3) | instskip(NEXT) | instid1(VALU_DEP_3)
	v_add_co_u32 v3, vcc_lo, v7, v5
	v_add_co_ci_u32_e32 v4, vcc_lo, v8, v6, vcc_lo
	s_delay_alu instid0(VALU_DEP_2) | instskip(NEXT) | instid1(VALU_DEP_2)
	v_add_co_u32 v0, vcc_lo, v3, v0
	v_add_co_ci_u32_e32 v1, vcc_lo, v4, v1, vcc_lo
	global_store_b32 v[0:1], v2, off
.LBB178_34:
	s_and_not1_saveexec_b32 s0, s3
	s_cbranch_execnz .LBB178_36
.LBB178_35:
	s_nop 0
	s_sendmsg sendmsg(MSG_DEALLOC_VGPRS)
	s_endpgm
.LBB178_36:
	s_cbranch_execnz .LBB178_38
; %bb.37:
	; divergent unreachable
	s_nop 0
	s_sendmsg sendmsg(MSG_DEALLOC_VGPRS)
	s_endpgm
.LBB178_38:
	s_trap 2
	s_sendmsg_rtn_b32 s0, sendmsg(MSG_RTN_GET_DOORBELL)
	s_mov_b32 ttmp2, m0
	s_waitcnt lgkmcnt(0)
	s_and_b32 s0, s0, 0x3ff
	s_delay_alu instid0(SALU_CYCLE_1) | instskip(NEXT) | instid1(SALU_CYCLE_1)
	s_bitset1_b32 s0, 10
	s_mov_b32 m0, s0
	s_sendmsg sendmsg(MSG_INTERRUPT)
	s_mov_b32 m0, ttmp2
.LBB178_39:                             ; =>This Inner Loop Header: Depth=1
	s_sethalt 5
	s_branch .LBB178_39
	.section	.rodata,"a",@progbits
	.p2align	6, 0x0
	.amdhsa_kernel _ZN2at6native12_GLOBAL__N_129segment_reduce_forward_kernelIflEEvNS0_13ReductionTypeEPT_PKS4_PKT0_SA_llbS4_lllllll
		.amdhsa_group_segment_fixed_size 0
		.amdhsa_private_segment_fixed_size 0
		.amdhsa_kernarg_size 376
		.amdhsa_user_sgpr_count 15
		.amdhsa_user_sgpr_dispatch_ptr 0
		.amdhsa_user_sgpr_queue_ptr 0
		.amdhsa_user_sgpr_kernarg_segment_ptr 1
		.amdhsa_user_sgpr_dispatch_id 0
		.amdhsa_user_sgpr_private_segment_size 0
		.amdhsa_wavefront_size32 1
		.amdhsa_uses_dynamic_stack 0
		.amdhsa_enable_private_segment 0
		.amdhsa_system_sgpr_workgroup_id_x 1
		.amdhsa_system_sgpr_workgroup_id_y 0
		.amdhsa_system_sgpr_workgroup_id_z 0
		.amdhsa_system_sgpr_workgroup_info 0
		.amdhsa_system_vgpr_workitem_id 0
		.amdhsa_next_free_vgpr 23
		.amdhsa_next_free_sgpr 32
		.amdhsa_reserve_vcc 1
		.amdhsa_float_round_mode_32 0
		.amdhsa_float_round_mode_16_64 0
		.amdhsa_float_denorm_mode_32 3
		.amdhsa_float_denorm_mode_16_64 3
		.amdhsa_dx10_clamp 1
		.amdhsa_ieee_mode 1
		.amdhsa_fp16_overflow 0
		.amdhsa_workgroup_processor_mode 1
		.amdhsa_memory_ordered 1
		.amdhsa_forward_progress 0
		.amdhsa_shared_vgpr_count 0
		.amdhsa_exception_fp_ieee_invalid_op 0
		.amdhsa_exception_fp_denorm_src 0
		.amdhsa_exception_fp_ieee_div_zero 0
		.amdhsa_exception_fp_ieee_overflow 0
		.amdhsa_exception_fp_ieee_underflow 0
		.amdhsa_exception_fp_ieee_inexact 0
		.amdhsa_exception_int_div_zero 0
	.end_amdhsa_kernel
	.section	.text._ZN2at6native12_GLOBAL__N_129segment_reduce_forward_kernelIflEEvNS0_13ReductionTypeEPT_PKS4_PKT0_SA_llbS4_lllllll,"axG",@progbits,_ZN2at6native12_GLOBAL__N_129segment_reduce_forward_kernelIflEEvNS0_13ReductionTypeEPT_PKS4_PKT0_SA_llbS4_lllllll,comdat
.Lfunc_end178:
	.size	_ZN2at6native12_GLOBAL__N_129segment_reduce_forward_kernelIflEEvNS0_13ReductionTypeEPT_PKS4_PKT0_SA_llbS4_lllllll, .Lfunc_end178-_ZN2at6native12_GLOBAL__N_129segment_reduce_forward_kernelIflEEvNS0_13ReductionTypeEPT_PKS4_PKT0_SA_llbS4_lllllll
                                        ; -- End function
	.section	.AMDGPU.csdata,"",@progbits
; Kernel info:
; codeLenInByte = 3464
; NumSgprs: 34
; NumVgprs: 23
; ScratchSize: 0
; MemoryBound: 0
; FloatMode: 240
; IeeeMode: 1
; LDSByteSize: 0 bytes/workgroup (compile time only)
; SGPRBlocks: 4
; VGPRBlocks: 2
; NumSGPRsForWavesPerEU: 34
; NumVGPRsForWavesPerEU: 23
; Occupancy: 16
; WaveLimiterHint : 0
; COMPUTE_PGM_RSRC2:SCRATCH_EN: 0
; COMPUTE_PGM_RSRC2:USER_SGPR: 15
; COMPUTE_PGM_RSRC2:TRAP_HANDLER: 0
; COMPUTE_PGM_RSRC2:TGID_X_EN: 1
; COMPUTE_PGM_RSRC2:TGID_Y_EN: 0
; COMPUTE_PGM_RSRC2:TGID_Z_EN: 0
; COMPUTE_PGM_RSRC2:TIDIG_COMP_CNT: 0
	.section	.text._ZN7rocprim17ROCPRIM_400000_NS6detail17trampoline_kernelINS0_14default_configENS1_32segmented_reduce_config_selectorIfEEZNS1_21segmented_reduce_implIS3_PKfPfPKlfN6hipcub16HIPCUB_304000_NS6detail27convert_result_type_wrapperIS8_S9_N2at6native12_GLOBAL__N_19CustomMaxEEEEE10hipError_tPvRmT0_T1_jT2_SQ_T4_T3_P12ihipStream_tbEUlT_E_NS1_11comp_targetILNS1_3genE0ELNS1_11target_archE4294967295ELNS1_3gpuE0ELNS1_3repE0EEENS1_30default_config_static_selectorELNS0_4arch9wavefront6targetE0EEEvSP_,"axG",@progbits,_ZN7rocprim17ROCPRIM_400000_NS6detail17trampoline_kernelINS0_14default_configENS1_32segmented_reduce_config_selectorIfEEZNS1_21segmented_reduce_implIS3_PKfPfPKlfN6hipcub16HIPCUB_304000_NS6detail27convert_result_type_wrapperIS8_S9_N2at6native12_GLOBAL__N_19CustomMaxEEEEE10hipError_tPvRmT0_T1_jT2_SQ_T4_T3_P12ihipStream_tbEUlT_E_NS1_11comp_targetILNS1_3genE0ELNS1_11target_archE4294967295ELNS1_3gpuE0ELNS1_3repE0EEENS1_30default_config_static_selectorELNS0_4arch9wavefront6targetE0EEEvSP_,comdat
	.globl	_ZN7rocprim17ROCPRIM_400000_NS6detail17trampoline_kernelINS0_14default_configENS1_32segmented_reduce_config_selectorIfEEZNS1_21segmented_reduce_implIS3_PKfPfPKlfN6hipcub16HIPCUB_304000_NS6detail27convert_result_type_wrapperIS8_S9_N2at6native12_GLOBAL__N_19CustomMaxEEEEE10hipError_tPvRmT0_T1_jT2_SQ_T4_T3_P12ihipStream_tbEUlT_E_NS1_11comp_targetILNS1_3genE0ELNS1_11target_archE4294967295ELNS1_3gpuE0ELNS1_3repE0EEENS1_30default_config_static_selectorELNS0_4arch9wavefront6targetE0EEEvSP_ ; -- Begin function _ZN7rocprim17ROCPRIM_400000_NS6detail17trampoline_kernelINS0_14default_configENS1_32segmented_reduce_config_selectorIfEEZNS1_21segmented_reduce_implIS3_PKfPfPKlfN6hipcub16HIPCUB_304000_NS6detail27convert_result_type_wrapperIS8_S9_N2at6native12_GLOBAL__N_19CustomMaxEEEEE10hipError_tPvRmT0_T1_jT2_SQ_T4_T3_P12ihipStream_tbEUlT_E_NS1_11comp_targetILNS1_3genE0ELNS1_11target_archE4294967295ELNS1_3gpuE0ELNS1_3repE0EEENS1_30default_config_static_selectorELNS0_4arch9wavefront6targetE0EEEvSP_
	.p2align	8
	.type	_ZN7rocprim17ROCPRIM_400000_NS6detail17trampoline_kernelINS0_14default_configENS1_32segmented_reduce_config_selectorIfEEZNS1_21segmented_reduce_implIS3_PKfPfPKlfN6hipcub16HIPCUB_304000_NS6detail27convert_result_type_wrapperIS8_S9_N2at6native12_GLOBAL__N_19CustomMaxEEEEE10hipError_tPvRmT0_T1_jT2_SQ_T4_T3_P12ihipStream_tbEUlT_E_NS1_11comp_targetILNS1_3genE0ELNS1_11target_archE4294967295ELNS1_3gpuE0ELNS1_3repE0EEENS1_30default_config_static_selectorELNS0_4arch9wavefront6targetE0EEEvSP_,@function
_ZN7rocprim17ROCPRIM_400000_NS6detail17trampoline_kernelINS0_14default_configENS1_32segmented_reduce_config_selectorIfEEZNS1_21segmented_reduce_implIS3_PKfPfPKlfN6hipcub16HIPCUB_304000_NS6detail27convert_result_type_wrapperIS8_S9_N2at6native12_GLOBAL__N_19CustomMaxEEEEE10hipError_tPvRmT0_T1_jT2_SQ_T4_T3_P12ihipStream_tbEUlT_E_NS1_11comp_targetILNS1_3genE0ELNS1_11target_archE4294967295ELNS1_3gpuE0ELNS1_3repE0EEENS1_30default_config_static_selectorELNS0_4arch9wavefront6targetE0EEEvSP_: ; @_ZN7rocprim17ROCPRIM_400000_NS6detail17trampoline_kernelINS0_14default_configENS1_32segmented_reduce_config_selectorIfEEZNS1_21segmented_reduce_implIS3_PKfPfPKlfN6hipcub16HIPCUB_304000_NS6detail27convert_result_type_wrapperIS8_S9_N2at6native12_GLOBAL__N_19CustomMaxEEEEE10hipError_tPvRmT0_T1_jT2_SQ_T4_T3_P12ihipStream_tbEUlT_E_NS1_11comp_targetILNS1_3genE0ELNS1_11target_archE4294967295ELNS1_3gpuE0ELNS1_3repE0EEENS1_30default_config_static_selectorELNS0_4arch9wavefront6targetE0EEEvSP_
; %bb.0:
	.section	.rodata,"a",@progbits
	.p2align	6, 0x0
	.amdhsa_kernel _ZN7rocprim17ROCPRIM_400000_NS6detail17trampoline_kernelINS0_14default_configENS1_32segmented_reduce_config_selectorIfEEZNS1_21segmented_reduce_implIS3_PKfPfPKlfN6hipcub16HIPCUB_304000_NS6detail27convert_result_type_wrapperIS8_S9_N2at6native12_GLOBAL__N_19CustomMaxEEEEE10hipError_tPvRmT0_T1_jT2_SQ_T4_T3_P12ihipStream_tbEUlT_E_NS1_11comp_targetILNS1_3genE0ELNS1_11target_archE4294967295ELNS1_3gpuE0ELNS1_3repE0EEENS1_30default_config_static_selectorELNS0_4arch9wavefront6targetE0EEEvSP_
		.amdhsa_group_segment_fixed_size 0
		.amdhsa_private_segment_fixed_size 0
		.amdhsa_kernarg_size 48
		.amdhsa_user_sgpr_count 15
		.amdhsa_user_sgpr_dispatch_ptr 0
		.amdhsa_user_sgpr_queue_ptr 0
		.amdhsa_user_sgpr_kernarg_segment_ptr 1
		.amdhsa_user_sgpr_dispatch_id 0
		.amdhsa_user_sgpr_private_segment_size 0
		.amdhsa_wavefront_size32 1
		.amdhsa_uses_dynamic_stack 0
		.amdhsa_enable_private_segment 0
		.amdhsa_system_sgpr_workgroup_id_x 1
		.amdhsa_system_sgpr_workgroup_id_y 0
		.amdhsa_system_sgpr_workgroup_id_z 0
		.amdhsa_system_sgpr_workgroup_info 0
		.amdhsa_system_vgpr_workitem_id 0
		.amdhsa_next_free_vgpr 1
		.amdhsa_next_free_sgpr 1
		.amdhsa_reserve_vcc 0
		.amdhsa_float_round_mode_32 0
		.amdhsa_float_round_mode_16_64 0
		.amdhsa_float_denorm_mode_32 3
		.amdhsa_float_denorm_mode_16_64 3
		.amdhsa_dx10_clamp 1
		.amdhsa_ieee_mode 1
		.amdhsa_fp16_overflow 0
		.amdhsa_workgroup_processor_mode 1
		.amdhsa_memory_ordered 1
		.amdhsa_forward_progress 0
		.amdhsa_shared_vgpr_count 0
		.amdhsa_exception_fp_ieee_invalid_op 0
		.amdhsa_exception_fp_denorm_src 0
		.amdhsa_exception_fp_ieee_div_zero 0
		.amdhsa_exception_fp_ieee_overflow 0
		.amdhsa_exception_fp_ieee_underflow 0
		.amdhsa_exception_fp_ieee_inexact 0
		.amdhsa_exception_int_div_zero 0
	.end_amdhsa_kernel
	.section	.text._ZN7rocprim17ROCPRIM_400000_NS6detail17trampoline_kernelINS0_14default_configENS1_32segmented_reduce_config_selectorIfEEZNS1_21segmented_reduce_implIS3_PKfPfPKlfN6hipcub16HIPCUB_304000_NS6detail27convert_result_type_wrapperIS8_S9_N2at6native12_GLOBAL__N_19CustomMaxEEEEE10hipError_tPvRmT0_T1_jT2_SQ_T4_T3_P12ihipStream_tbEUlT_E_NS1_11comp_targetILNS1_3genE0ELNS1_11target_archE4294967295ELNS1_3gpuE0ELNS1_3repE0EEENS1_30default_config_static_selectorELNS0_4arch9wavefront6targetE0EEEvSP_,"axG",@progbits,_ZN7rocprim17ROCPRIM_400000_NS6detail17trampoline_kernelINS0_14default_configENS1_32segmented_reduce_config_selectorIfEEZNS1_21segmented_reduce_implIS3_PKfPfPKlfN6hipcub16HIPCUB_304000_NS6detail27convert_result_type_wrapperIS8_S9_N2at6native12_GLOBAL__N_19CustomMaxEEEEE10hipError_tPvRmT0_T1_jT2_SQ_T4_T3_P12ihipStream_tbEUlT_E_NS1_11comp_targetILNS1_3genE0ELNS1_11target_archE4294967295ELNS1_3gpuE0ELNS1_3repE0EEENS1_30default_config_static_selectorELNS0_4arch9wavefront6targetE0EEEvSP_,comdat
.Lfunc_end179:
	.size	_ZN7rocprim17ROCPRIM_400000_NS6detail17trampoline_kernelINS0_14default_configENS1_32segmented_reduce_config_selectorIfEEZNS1_21segmented_reduce_implIS3_PKfPfPKlfN6hipcub16HIPCUB_304000_NS6detail27convert_result_type_wrapperIS8_S9_N2at6native12_GLOBAL__N_19CustomMaxEEEEE10hipError_tPvRmT0_T1_jT2_SQ_T4_T3_P12ihipStream_tbEUlT_E_NS1_11comp_targetILNS1_3genE0ELNS1_11target_archE4294967295ELNS1_3gpuE0ELNS1_3repE0EEENS1_30default_config_static_selectorELNS0_4arch9wavefront6targetE0EEEvSP_, .Lfunc_end179-_ZN7rocprim17ROCPRIM_400000_NS6detail17trampoline_kernelINS0_14default_configENS1_32segmented_reduce_config_selectorIfEEZNS1_21segmented_reduce_implIS3_PKfPfPKlfN6hipcub16HIPCUB_304000_NS6detail27convert_result_type_wrapperIS8_S9_N2at6native12_GLOBAL__N_19CustomMaxEEEEE10hipError_tPvRmT0_T1_jT2_SQ_T4_T3_P12ihipStream_tbEUlT_E_NS1_11comp_targetILNS1_3genE0ELNS1_11target_archE4294967295ELNS1_3gpuE0ELNS1_3repE0EEENS1_30default_config_static_selectorELNS0_4arch9wavefront6targetE0EEEvSP_
                                        ; -- End function
	.section	.AMDGPU.csdata,"",@progbits
; Kernel info:
; codeLenInByte = 0
; NumSgprs: 0
; NumVgprs: 0
; ScratchSize: 0
; MemoryBound: 0
; FloatMode: 240
; IeeeMode: 1
; LDSByteSize: 0 bytes/workgroup (compile time only)
; SGPRBlocks: 0
; VGPRBlocks: 0
; NumSGPRsForWavesPerEU: 1
; NumVGPRsForWavesPerEU: 1
; Occupancy: 16
; WaveLimiterHint : 0
; COMPUTE_PGM_RSRC2:SCRATCH_EN: 0
; COMPUTE_PGM_RSRC2:USER_SGPR: 15
; COMPUTE_PGM_RSRC2:TRAP_HANDLER: 0
; COMPUTE_PGM_RSRC2:TGID_X_EN: 1
; COMPUTE_PGM_RSRC2:TGID_Y_EN: 0
; COMPUTE_PGM_RSRC2:TGID_Z_EN: 0
; COMPUTE_PGM_RSRC2:TIDIG_COMP_CNT: 0
	.section	.text._ZN7rocprim17ROCPRIM_400000_NS6detail17trampoline_kernelINS0_14default_configENS1_32segmented_reduce_config_selectorIfEEZNS1_21segmented_reduce_implIS3_PKfPfPKlfN6hipcub16HIPCUB_304000_NS6detail27convert_result_type_wrapperIS8_S9_N2at6native12_GLOBAL__N_19CustomMaxEEEEE10hipError_tPvRmT0_T1_jT2_SQ_T4_T3_P12ihipStream_tbEUlT_E_NS1_11comp_targetILNS1_3genE5ELNS1_11target_archE942ELNS1_3gpuE9ELNS1_3repE0EEENS1_30default_config_static_selectorELNS0_4arch9wavefront6targetE0EEEvSP_,"axG",@progbits,_ZN7rocprim17ROCPRIM_400000_NS6detail17trampoline_kernelINS0_14default_configENS1_32segmented_reduce_config_selectorIfEEZNS1_21segmented_reduce_implIS3_PKfPfPKlfN6hipcub16HIPCUB_304000_NS6detail27convert_result_type_wrapperIS8_S9_N2at6native12_GLOBAL__N_19CustomMaxEEEEE10hipError_tPvRmT0_T1_jT2_SQ_T4_T3_P12ihipStream_tbEUlT_E_NS1_11comp_targetILNS1_3genE5ELNS1_11target_archE942ELNS1_3gpuE9ELNS1_3repE0EEENS1_30default_config_static_selectorELNS0_4arch9wavefront6targetE0EEEvSP_,comdat
	.globl	_ZN7rocprim17ROCPRIM_400000_NS6detail17trampoline_kernelINS0_14default_configENS1_32segmented_reduce_config_selectorIfEEZNS1_21segmented_reduce_implIS3_PKfPfPKlfN6hipcub16HIPCUB_304000_NS6detail27convert_result_type_wrapperIS8_S9_N2at6native12_GLOBAL__N_19CustomMaxEEEEE10hipError_tPvRmT0_T1_jT2_SQ_T4_T3_P12ihipStream_tbEUlT_E_NS1_11comp_targetILNS1_3genE5ELNS1_11target_archE942ELNS1_3gpuE9ELNS1_3repE0EEENS1_30default_config_static_selectorELNS0_4arch9wavefront6targetE0EEEvSP_ ; -- Begin function _ZN7rocprim17ROCPRIM_400000_NS6detail17trampoline_kernelINS0_14default_configENS1_32segmented_reduce_config_selectorIfEEZNS1_21segmented_reduce_implIS3_PKfPfPKlfN6hipcub16HIPCUB_304000_NS6detail27convert_result_type_wrapperIS8_S9_N2at6native12_GLOBAL__N_19CustomMaxEEEEE10hipError_tPvRmT0_T1_jT2_SQ_T4_T3_P12ihipStream_tbEUlT_E_NS1_11comp_targetILNS1_3genE5ELNS1_11target_archE942ELNS1_3gpuE9ELNS1_3repE0EEENS1_30default_config_static_selectorELNS0_4arch9wavefront6targetE0EEEvSP_
	.p2align	8
	.type	_ZN7rocprim17ROCPRIM_400000_NS6detail17trampoline_kernelINS0_14default_configENS1_32segmented_reduce_config_selectorIfEEZNS1_21segmented_reduce_implIS3_PKfPfPKlfN6hipcub16HIPCUB_304000_NS6detail27convert_result_type_wrapperIS8_S9_N2at6native12_GLOBAL__N_19CustomMaxEEEEE10hipError_tPvRmT0_T1_jT2_SQ_T4_T3_P12ihipStream_tbEUlT_E_NS1_11comp_targetILNS1_3genE5ELNS1_11target_archE942ELNS1_3gpuE9ELNS1_3repE0EEENS1_30default_config_static_selectorELNS0_4arch9wavefront6targetE0EEEvSP_,@function
_ZN7rocprim17ROCPRIM_400000_NS6detail17trampoline_kernelINS0_14default_configENS1_32segmented_reduce_config_selectorIfEEZNS1_21segmented_reduce_implIS3_PKfPfPKlfN6hipcub16HIPCUB_304000_NS6detail27convert_result_type_wrapperIS8_S9_N2at6native12_GLOBAL__N_19CustomMaxEEEEE10hipError_tPvRmT0_T1_jT2_SQ_T4_T3_P12ihipStream_tbEUlT_E_NS1_11comp_targetILNS1_3genE5ELNS1_11target_archE942ELNS1_3gpuE9ELNS1_3repE0EEENS1_30default_config_static_selectorELNS0_4arch9wavefront6targetE0EEEvSP_: ; @_ZN7rocprim17ROCPRIM_400000_NS6detail17trampoline_kernelINS0_14default_configENS1_32segmented_reduce_config_selectorIfEEZNS1_21segmented_reduce_implIS3_PKfPfPKlfN6hipcub16HIPCUB_304000_NS6detail27convert_result_type_wrapperIS8_S9_N2at6native12_GLOBAL__N_19CustomMaxEEEEE10hipError_tPvRmT0_T1_jT2_SQ_T4_T3_P12ihipStream_tbEUlT_E_NS1_11comp_targetILNS1_3genE5ELNS1_11target_archE942ELNS1_3gpuE9ELNS1_3repE0EEENS1_30default_config_static_selectorELNS0_4arch9wavefront6targetE0EEEvSP_
; %bb.0:
	.section	.rodata,"a",@progbits
	.p2align	6, 0x0
	.amdhsa_kernel _ZN7rocprim17ROCPRIM_400000_NS6detail17trampoline_kernelINS0_14default_configENS1_32segmented_reduce_config_selectorIfEEZNS1_21segmented_reduce_implIS3_PKfPfPKlfN6hipcub16HIPCUB_304000_NS6detail27convert_result_type_wrapperIS8_S9_N2at6native12_GLOBAL__N_19CustomMaxEEEEE10hipError_tPvRmT0_T1_jT2_SQ_T4_T3_P12ihipStream_tbEUlT_E_NS1_11comp_targetILNS1_3genE5ELNS1_11target_archE942ELNS1_3gpuE9ELNS1_3repE0EEENS1_30default_config_static_selectorELNS0_4arch9wavefront6targetE0EEEvSP_
		.amdhsa_group_segment_fixed_size 0
		.amdhsa_private_segment_fixed_size 0
		.amdhsa_kernarg_size 48
		.amdhsa_user_sgpr_count 15
		.amdhsa_user_sgpr_dispatch_ptr 0
		.amdhsa_user_sgpr_queue_ptr 0
		.amdhsa_user_sgpr_kernarg_segment_ptr 1
		.amdhsa_user_sgpr_dispatch_id 0
		.amdhsa_user_sgpr_private_segment_size 0
		.amdhsa_wavefront_size32 1
		.amdhsa_uses_dynamic_stack 0
		.amdhsa_enable_private_segment 0
		.amdhsa_system_sgpr_workgroup_id_x 1
		.amdhsa_system_sgpr_workgroup_id_y 0
		.amdhsa_system_sgpr_workgroup_id_z 0
		.amdhsa_system_sgpr_workgroup_info 0
		.amdhsa_system_vgpr_workitem_id 0
		.amdhsa_next_free_vgpr 1
		.amdhsa_next_free_sgpr 1
		.amdhsa_reserve_vcc 0
		.amdhsa_float_round_mode_32 0
		.amdhsa_float_round_mode_16_64 0
		.amdhsa_float_denorm_mode_32 3
		.amdhsa_float_denorm_mode_16_64 3
		.amdhsa_dx10_clamp 1
		.amdhsa_ieee_mode 1
		.amdhsa_fp16_overflow 0
		.amdhsa_workgroup_processor_mode 1
		.amdhsa_memory_ordered 1
		.amdhsa_forward_progress 0
		.amdhsa_shared_vgpr_count 0
		.amdhsa_exception_fp_ieee_invalid_op 0
		.amdhsa_exception_fp_denorm_src 0
		.amdhsa_exception_fp_ieee_div_zero 0
		.amdhsa_exception_fp_ieee_overflow 0
		.amdhsa_exception_fp_ieee_underflow 0
		.amdhsa_exception_fp_ieee_inexact 0
		.amdhsa_exception_int_div_zero 0
	.end_amdhsa_kernel
	.section	.text._ZN7rocprim17ROCPRIM_400000_NS6detail17trampoline_kernelINS0_14default_configENS1_32segmented_reduce_config_selectorIfEEZNS1_21segmented_reduce_implIS3_PKfPfPKlfN6hipcub16HIPCUB_304000_NS6detail27convert_result_type_wrapperIS8_S9_N2at6native12_GLOBAL__N_19CustomMaxEEEEE10hipError_tPvRmT0_T1_jT2_SQ_T4_T3_P12ihipStream_tbEUlT_E_NS1_11comp_targetILNS1_3genE5ELNS1_11target_archE942ELNS1_3gpuE9ELNS1_3repE0EEENS1_30default_config_static_selectorELNS0_4arch9wavefront6targetE0EEEvSP_,"axG",@progbits,_ZN7rocprim17ROCPRIM_400000_NS6detail17trampoline_kernelINS0_14default_configENS1_32segmented_reduce_config_selectorIfEEZNS1_21segmented_reduce_implIS3_PKfPfPKlfN6hipcub16HIPCUB_304000_NS6detail27convert_result_type_wrapperIS8_S9_N2at6native12_GLOBAL__N_19CustomMaxEEEEE10hipError_tPvRmT0_T1_jT2_SQ_T4_T3_P12ihipStream_tbEUlT_E_NS1_11comp_targetILNS1_3genE5ELNS1_11target_archE942ELNS1_3gpuE9ELNS1_3repE0EEENS1_30default_config_static_selectorELNS0_4arch9wavefront6targetE0EEEvSP_,comdat
.Lfunc_end180:
	.size	_ZN7rocprim17ROCPRIM_400000_NS6detail17trampoline_kernelINS0_14default_configENS1_32segmented_reduce_config_selectorIfEEZNS1_21segmented_reduce_implIS3_PKfPfPKlfN6hipcub16HIPCUB_304000_NS6detail27convert_result_type_wrapperIS8_S9_N2at6native12_GLOBAL__N_19CustomMaxEEEEE10hipError_tPvRmT0_T1_jT2_SQ_T4_T3_P12ihipStream_tbEUlT_E_NS1_11comp_targetILNS1_3genE5ELNS1_11target_archE942ELNS1_3gpuE9ELNS1_3repE0EEENS1_30default_config_static_selectorELNS0_4arch9wavefront6targetE0EEEvSP_, .Lfunc_end180-_ZN7rocprim17ROCPRIM_400000_NS6detail17trampoline_kernelINS0_14default_configENS1_32segmented_reduce_config_selectorIfEEZNS1_21segmented_reduce_implIS3_PKfPfPKlfN6hipcub16HIPCUB_304000_NS6detail27convert_result_type_wrapperIS8_S9_N2at6native12_GLOBAL__N_19CustomMaxEEEEE10hipError_tPvRmT0_T1_jT2_SQ_T4_T3_P12ihipStream_tbEUlT_E_NS1_11comp_targetILNS1_3genE5ELNS1_11target_archE942ELNS1_3gpuE9ELNS1_3repE0EEENS1_30default_config_static_selectorELNS0_4arch9wavefront6targetE0EEEvSP_
                                        ; -- End function
	.section	.AMDGPU.csdata,"",@progbits
; Kernel info:
; codeLenInByte = 0
; NumSgprs: 0
; NumVgprs: 0
; ScratchSize: 0
; MemoryBound: 0
; FloatMode: 240
; IeeeMode: 1
; LDSByteSize: 0 bytes/workgroup (compile time only)
; SGPRBlocks: 0
; VGPRBlocks: 0
; NumSGPRsForWavesPerEU: 1
; NumVGPRsForWavesPerEU: 1
; Occupancy: 16
; WaveLimiterHint : 0
; COMPUTE_PGM_RSRC2:SCRATCH_EN: 0
; COMPUTE_PGM_RSRC2:USER_SGPR: 15
; COMPUTE_PGM_RSRC2:TRAP_HANDLER: 0
; COMPUTE_PGM_RSRC2:TGID_X_EN: 1
; COMPUTE_PGM_RSRC2:TGID_Y_EN: 0
; COMPUTE_PGM_RSRC2:TGID_Z_EN: 0
; COMPUTE_PGM_RSRC2:TIDIG_COMP_CNT: 0
	.section	.text._ZN7rocprim17ROCPRIM_400000_NS6detail17trampoline_kernelINS0_14default_configENS1_32segmented_reduce_config_selectorIfEEZNS1_21segmented_reduce_implIS3_PKfPfPKlfN6hipcub16HIPCUB_304000_NS6detail27convert_result_type_wrapperIS8_S9_N2at6native12_GLOBAL__N_19CustomMaxEEEEE10hipError_tPvRmT0_T1_jT2_SQ_T4_T3_P12ihipStream_tbEUlT_E_NS1_11comp_targetILNS1_3genE10ELNS1_11target_archE1201ELNS1_3gpuE5ELNS1_3repE0EEENS1_30default_config_static_selectorELNS0_4arch9wavefront6targetE0EEEvSP_,"axG",@progbits,_ZN7rocprim17ROCPRIM_400000_NS6detail17trampoline_kernelINS0_14default_configENS1_32segmented_reduce_config_selectorIfEEZNS1_21segmented_reduce_implIS3_PKfPfPKlfN6hipcub16HIPCUB_304000_NS6detail27convert_result_type_wrapperIS8_S9_N2at6native12_GLOBAL__N_19CustomMaxEEEEE10hipError_tPvRmT0_T1_jT2_SQ_T4_T3_P12ihipStream_tbEUlT_E_NS1_11comp_targetILNS1_3genE10ELNS1_11target_archE1201ELNS1_3gpuE5ELNS1_3repE0EEENS1_30default_config_static_selectorELNS0_4arch9wavefront6targetE0EEEvSP_,comdat
	.globl	_ZN7rocprim17ROCPRIM_400000_NS6detail17trampoline_kernelINS0_14default_configENS1_32segmented_reduce_config_selectorIfEEZNS1_21segmented_reduce_implIS3_PKfPfPKlfN6hipcub16HIPCUB_304000_NS6detail27convert_result_type_wrapperIS8_S9_N2at6native12_GLOBAL__N_19CustomMaxEEEEE10hipError_tPvRmT0_T1_jT2_SQ_T4_T3_P12ihipStream_tbEUlT_E_NS1_11comp_targetILNS1_3genE10ELNS1_11target_archE1201ELNS1_3gpuE5ELNS1_3repE0EEENS1_30default_config_static_selectorELNS0_4arch9wavefront6targetE0EEEvSP_ ; -- Begin function _ZN7rocprim17ROCPRIM_400000_NS6detail17trampoline_kernelINS0_14default_configENS1_32segmented_reduce_config_selectorIfEEZNS1_21segmented_reduce_implIS3_PKfPfPKlfN6hipcub16HIPCUB_304000_NS6detail27convert_result_type_wrapperIS8_S9_N2at6native12_GLOBAL__N_19CustomMaxEEEEE10hipError_tPvRmT0_T1_jT2_SQ_T4_T3_P12ihipStream_tbEUlT_E_NS1_11comp_targetILNS1_3genE10ELNS1_11target_archE1201ELNS1_3gpuE5ELNS1_3repE0EEENS1_30default_config_static_selectorELNS0_4arch9wavefront6targetE0EEEvSP_
	.p2align	8
	.type	_ZN7rocprim17ROCPRIM_400000_NS6detail17trampoline_kernelINS0_14default_configENS1_32segmented_reduce_config_selectorIfEEZNS1_21segmented_reduce_implIS3_PKfPfPKlfN6hipcub16HIPCUB_304000_NS6detail27convert_result_type_wrapperIS8_S9_N2at6native12_GLOBAL__N_19CustomMaxEEEEE10hipError_tPvRmT0_T1_jT2_SQ_T4_T3_P12ihipStream_tbEUlT_E_NS1_11comp_targetILNS1_3genE10ELNS1_11target_archE1201ELNS1_3gpuE5ELNS1_3repE0EEENS1_30default_config_static_selectorELNS0_4arch9wavefront6targetE0EEEvSP_,@function
_ZN7rocprim17ROCPRIM_400000_NS6detail17trampoline_kernelINS0_14default_configENS1_32segmented_reduce_config_selectorIfEEZNS1_21segmented_reduce_implIS3_PKfPfPKlfN6hipcub16HIPCUB_304000_NS6detail27convert_result_type_wrapperIS8_S9_N2at6native12_GLOBAL__N_19CustomMaxEEEEE10hipError_tPvRmT0_T1_jT2_SQ_T4_T3_P12ihipStream_tbEUlT_E_NS1_11comp_targetILNS1_3genE10ELNS1_11target_archE1201ELNS1_3gpuE5ELNS1_3repE0EEENS1_30default_config_static_selectorELNS0_4arch9wavefront6targetE0EEEvSP_: ; @_ZN7rocprim17ROCPRIM_400000_NS6detail17trampoline_kernelINS0_14default_configENS1_32segmented_reduce_config_selectorIfEEZNS1_21segmented_reduce_implIS3_PKfPfPKlfN6hipcub16HIPCUB_304000_NS6detail27convert_result_type_wrapperIS8_S9_N2at6native12_GLOBAL__N_19CustomMaxEEEEE10hipError_tPvRmT0_T1_jT2_SQ_T4_T3_P12ihipStream_tbEUlT_E_NS1_11comp_targetILNS1_3genE10ELNS1_11target_archE1201ELNS1_3gpuE5ELNS1_3repE0EEENS1_30default_config_static_selectorELNS0_4arch9wavefront6targetE0EEEvSP_
; %bb.0:
	.section	.rodata,"a",@progbits
	.p2align	6, 0x0
	.amdhsa_kernel _ZN7rocprim17ROCPRIM_400000_NS6detail17trampoline_kernelINS0_14default_configENS1_32segmented_reduce_config_selectorIfEEZNS1_21segmented_reduce_implIS3_PKfPfPKlfN6hipcub16HIPCUB_304000_NS6detail27convert_result_type_wrapperIS8_S9_N2at6native12_GLOBAL__N_19CustomMaxEEEEE10hipError_tPvRmT0_T1_jT2_SQ_T4_T3_P12ihipStream_tbEUlT_E_NS1_11comp_targetILNS1_3genE10ELNS1_11target_archE1201ELNS1_3gpuE5ELNS1_3repE0EEENS1_30default_config_static_selectorELNS0_4arch9wavefront6targetE0EEEvSP_
		.amdhsa_group_segment_fixed_size 0
		.amdhsa_private_segment_fixed_size 0
		.amdhsa_kernarg_size 48
		.amdhsa_user_sgpr_count 15
		.amdhsa_user_sgpr_dispatch_ptr 0
		.amdhsa_user_sgpr_queue_ptr 0
		.amdhsa_user_sgpr_kernarg_segment_ptr 1
		.amdhsa_user_sgpr_dispatch_id 0
		.amdhsa_user_sgpr_private_segment_size 0
		.amdhsa_wavefront_size32 1
		.amdhsa_uses_dynamic_stack 0
		.amdhsa_enable_private_segment 0
		.amdhsa_system_sgpr_workgroup_id_x 1
		.amdhsa_system_sgpr_workgroup_id_y 0
		.amdhsa_system_sgpr_workgroup_id_z 0
		.amdhsa_system_sgpr_workgroup_info 0
		.amdhsa_system_vgpr_workitem_id 0
		.amdhsa_next_free_vgpr 1
		.amdhsa_next_free_sgpr 1
		.amdhsa_reserve_vcc 0
		.amdhsa_float_round_mode_32 0
		.amdhsa_float_round_mode_16_64 0
		.amdhsa_float_denorm_mode_32 3
		.amdhsa_float_denorm_mode_16_64 3
		.amdhsa_dx10_clamp 1
		.amdhsa_ieee_mode 1
		.amdhsa_fp16_overflow 0
		.amdhsa_workgroup_processor_mode 1
		.amdhsa_memory_ordered 1
		.amdhsa_forward_progress 0
		.amdhsa_shared_vgpr_count 0
		.amdhsa_exception_fp_ieee_invalid_op 0
		.amdhsa_exception_fp_denorm_src 0
		.amdhsa_exception_fp_ieee_div_zero 0
		.amdhsa_exception_fp_ieee_overflow 0
		.amdhsa_exception_fp_ieee_underflow 0
		.amdhsa_exception_fp_ieee_inexact 0
		.amdhsa_exception_int_div_zero 0
	.end_amdhsa_kernel
	.section	.text._ZN7rocprim17ROCPRIM_400000_NS6detail17trampoline_kernelINS0_14default_configENS1_32segmented_reduce_config_selectorIfEEZNS1_21segmented_reduce_implIS3_PKfPfPKlfN6hipcub16HIPCUB_304000_NS6detail27convert_result_type_wrapperIS8_S9_N2at6native12_GLOBAL__N_19CustomMaxEEEEE10hipError_tPvRmT0_T1_jT2_SQ_T4_T3_P12ihipStream_tbEUlT_E_NS1_11comp_targetILNS1_3genE10ELNS1_11target_archE1201ELNS1_3gpuE5ELNS1_3repE0EEENS1_30default_config_static_selectorELNS0_4arch9wavefront6targetE0EEEvSP_,"axG",@progbits,_ZN7rocprim17ROCPRIM_400000_NS6detail17trampoline_kernelINS0_14default_configENS1_32segmented_reduce_config_selectorIfEEZNS1_21segmented_reduce_implIS3_PKfPfPKlfN6hipcub16HIPCUB_304000_NS6detail27convert_result_type_wrapperIS8_S9_N2at6native12_GLOBAL__N_19CustomMaxEEEEE10hipError_tPvRmT0_T1_jT2_SQ_T4_T3_P12ihipStream_tbEUlT_E_NS1_11comp_targetILNS1_3genE10ELNS1_11target_archE1201ELNS1_3gpuE5ELNS1_3repE0EEENS1_30default_config_static_selectorELNS0_4arch9wavefront6targetE0EEEvSP_,comdat
.Lfunc_end181:
	.size	_ZN7rocprim17ROCPRIM_400000_NS6detail17trampoline_kernelINS0_14default_configENS1_32segmented_reduce_config_selectorIfEEZNS1_21segmented_reduce_implIS3_PKfPfPKlfN6hipcub16HIPCUB_304000_NS6detail27convert_result_type_wrapperIS8_S9_N2at6native12_GLOBAL__N_19CustomMaxEEEEE10hipError_tPvRmT0_T1_jT2_SQ_T4_T3_P12ihipStream_tbEUlT_E_NS1_11comp_targetILNS1_3genE10ELNS1_11target_archE1201ELNS1_3gpuE5ELNS1_3repE0EEENS1_30default_config_static_selectorELNS0_4arch9wavefront6targetE0EEEvSP_, .Lfunc_end181-_ZN7rocprim17ROCPRIM_400000_NS6detail17trampoline_kernelINS0_14default_configENS1_32segmented_reduce_config_selectorIfEEZNS1_21segmented_reduce_implIS3_PKfPfPKlfN6hipcub16HIPCUB_304000_NS6detail27convert_result_type_wrapperIS8_S9_N2at6native12_GLOBAL__N_19CustomMaxEEEEE10hipError_tPvRmT0_T1_jT2_SQ_T4_T3_P12ihipStream_tbEUlT_E_NS1_11comp_targetILNS1_3genE10ELNS1_11target_archE1201ELNS1_3gpuE5ELNS1_3repE0EEENS1_30default_config_static_selectorELNS0_4arch9wavefront6targetE0EEEvSP_
                                        ; -- End function
	.section	.AMDGPU.csdata,"",@progbits
; Kernel info:
; codeLenInByte = 0
; NumSgprs: 0
; NumVgprs: 0
; ScratchSize: 0
; MemoryBound: 0
; FloatMode: 240
; IeeeMode: 1
; LDSByteSize: 0 bytes/workgroup (compile time only)
; SGPRBlocks: 0
; VGPRBlocks: 0
; NumSGPRsForWavesPerEU: 1
; NumVGPRsForWavesPerEU: 1
; Occupancy: 16
; WaveLimiterHint : 0
; COMPUTE_PGM_RSRC2:SCRATCH_EN: 0
; COMPUTE_PGM_RSRC2:USER_SGPR: 15
; COMPUTE_PGM_RSRC2:TRAP_HANDLER: 0
; COMPUTE_PGM_RSRC2:TGID_X_EN: 1
; COMPUTE_PGM_RSRC2:TGID_Y_EN: 0
; COMPUTE_PGM_RSRC2:TGID_Z_EN: 0
; COMPUTE_PGM_RSRC2:TIDIG_COMP_CNT: 0
	.section	.text._ZN7rocprim17ROCPRIM_400000_NS6detail17trampoline_kernelINS0_14default_configENS1_32segmented_reduce_config_selectorIfEEZNS1_21segmented_reduce_implIS3_PKfPfPKlfN6hipcub16HIPCUB_304000_NS6detail27convert_result_type_wrapperIS8_S9_N2at6native12_GLOBAL__N_19CustomMaxEEEEE10hipError_tPvRmT0_T1_jT2_SQ_T4_T3_P12ihipStream_tbEUlT_E_NS1_11comp_targetILNS1_3genE4ELNS1_11target_archE910ELNS1_3gpuE8ELNS1_3repE0EEENS1_30default_config_static_selectorELNS0_4arch9wavefront6targetE0EEEvSP_,"axG",@progbits,_ZN7rocprim17ROCPRIM_400000_NS6detail17trampoline_kernelINS0_14default_configENS1_32segmented_reduce_config_selectorIfEEZNS1_21segmented_reduce_implIS3_PKfPfPKlfN6hipcub16HIPCUB_304000_NS6detail27convert_result_type_wrapperIS8_S9_N2at6native12_GLOBAL__N_19CustomMaxEEEEE10hipError_tPvRmT0_T1_jT2_SQ_T4_T3_P12ihipStream_tbEUlT_E_NS1_11comp_targetILNS1_3genE4ELNS1_11target_archE910ELNS1_3gpuE8ELNS1_3repE0EEENS1_30default_config_static_selectorELNS0_4arch9wavefront6targetE0EEEvSP_,comdat
	.globl	_ZN7rocprim17ROCPRIM_400000_NS6detail17trampoline_kernelINS0_14default_configENS1_32segmented_reduce_config_selectorIfEEZNS1_21segmented_reduce_implIS3_PKfPfPKlfN6hipcub16HIPCUB_304000_NS6detail27convert_result_type_wrapperIS8_S9_N2at6native12_GLOBAL__N_19CustomMaxEEEEE10hipError_tPvRmT0_T1_jT2_SQ_T4_T3_P12ihipStream_tbEUlT_E_NS1_11comp_targetILNS1_3genE4ELNS1_11target_archE910ELNS1_3gpuE8ELNS1_3repE0EEENS1_30default_config_static_selectorELNS0_4arch9wavefront6targetE0EEEvSP_ ; -- Begin function _ZN7rocprim17ROCPRIM_400000_NS6detail17trampoline_kernelINS0_14default_configENS1_32segmented_reduce_config_selectorIfEEZNS1_21segmented_reduce_implIS3_PKfPfPKlfN6hipcub16HIPCUB_304000_NS6detail27convert_result_type_wrapperIS8_S9_N2at6native12_GLOBAL__N_19CustomMaxEEEEE10hipError_tPvRmT0_T1_jT2_SQ_T4_T3_P12ihipStream_tbEUlT_E_NS1_11comp_targetILNS1_3genE4ELNS1_11target_archE910ELNS1_3gpuE8ELNS1_3repE0EEENS1_30default_config_static_selectorELNS0_4arch9wavefront6targetE0EEEvSP_
	.p2align	8
	.type	_ZN7rocprim17ROCPRIM_400000_NS6detail17trampoline_kernelINS0_14default_configENS1_32segmented_reduce_config_selectorIfEEZNS1_21segmented_reduce_implIS3_PKfPfPKlfN6hipcub16HIPCUB_304000_NS6detail27convert_result_type_wrapperIS8_S9_N2at6native12_GLOBAL__N_19CustomMaxEEEEE10hipError_tPvRmT0_T1_jT2_SQ_T4_T3_P12ihipStream_tbEUlT_E_NS1_11comp_targetILNS1_3genE4ELNS1_11target_archE910ELNS1_3gpuE8ELNS1_3repE0EEENS1_30default_config_static_selectorELNS0_4arch9wavefront6targetE0EEEvSP_,@function
_ZN7rocprim17ROCPRIM_400000_NS6detail17trampoline_kernelINS0_14default_configENS1_32segmented_reduce_config_selectorIfEEZNS1_21segmented_reduce_implIS3_PKfPfPKlfN6hipcub16HIPCUB_304000_NS6detail27convert_result_type_wrapperIS8_S9_N2at6native12_GLOBAL__N_19CustomMaxEEEEE10hipError_tPvRmT0_T1_jT2_SQ_T4_T3_P12ihipStream_tbEUlT_E_NS1_11comp_targetILNS1_3genE4ELNS1_11target_archE910ELNS1_3gpuE8ELNS1_3repE0EEENS1_30default_config_static_selectorELNS0_4arch9wavefront6targetE0EEEvSP_: ; @_ZN7rocprim17ROCPRIM_400000_NS6detail17trampoline_kernelINS0_14default_configENS1_32segmented_reduce_config_selectorIfEEZNS1_21segmented_reduce_implIS3_PKfPfPKlfN6hipcub16HIPCUB_304000_NS6detail27convert_result_type_wrapperIS8_S9_N2at6native12_GLOBAL__N_19CustomMaxEEEEE10hipError_tPvRmT0_T1_jT2_SQ_T4_T3_P12ihipStream_tbEUlT_E_NS1_11comp_targetILNS1_3genE4ELNS1_11target_archE910ELNS1_3gpuE8ELNS1_3repE0EEENS1_30default_config_static_selectorELNS0_4arch9wavefront6targetE0EEEvSP_
; %bb.0:
	.section	.rodata,"a",@progbits
	.p2align	6, 0x0
	.amdhsa_kernel _ZN7rocprim17ROCPRIM_400000_NS6detail17trampoline_kernelINS0_14default_configENS1_32segmented_reduce_config_selectorIfEEZNS1_21segmented_reduce_implIS3_PKfPfPKlfN6hipcub16HIPCUB_304000_NS6detail27convert_result_type_wrapperIS8_S9_N2at6native12_GLOBAL__N_19CustomMaxEEEEE10hipError_tPvRmT0_T1_jT2_SQ_T4_T3_P12ihipStream_tbEUlT_E_NS1_11comp_targetILNS1_3genE4ELNS1_11target_archE910ELNS1_3gpuE8ELNS1_3repE0EEENS1_30default_config_static_selectorELNS0_4arch9wavefront6targetE0EEEvSP_
		.amdhsa_group_segment_fixed_size 0
		.amdhsa_private_segment_fixed_size 0
		.amdhsa_kernarg_size 48
		.amdhsa_user_sgpr_count 15
		.amdhsa_user_sgpr_dispatch_ptr 0
		.amdhsa_user_sgpr_queue_ptr 0
		.amdhsa_user_sgpr_kernarg_segment_ptr 1
		.amdhsa_user_sgpr_dispatch_id 0
		.amdhsa_user_sgpr_private_segment_size 0
		.amdhsa_wavefront_size32 1
		.amdhsa_uses_dynamic_stack 0
		.amdhsa_enable_private_segment 0
		.amdhsa_system_sgpr_workgroup_id_x 1
		.amdhsa_system_sgpr_workgroup_id_y 0
		.amdhsa_system_sgpr_workgroup_id_z 0
		.amdhsa_system_sgpr_workgroup_info 0
		.amdhsa_system_vgpr_workitem_id 0
		.amdhsa_next_free_vgpr 1
		.amdhsa_next_free_sgpr 1
		.amdhsa_reserve_vcc 0
		.amdhsa_float_round_mode_32 0
		.amdhsa_float_round_mode_16_64 0
		.amdhsa_float_denorm_mode_32 3
		.amdhsa_float_denorm_mode_16_64 3
		.amdhsa_dx10_clamp 1
		.amdhsa_ieee_mode 1
		.amdhsa_fp16_overflow 0
		.amdhsa_workgroup_processor_mode 1
		.amdhsa_memory_ordered 1
		.amdhsa_forward_progress 0
		.amdhsa_shared_vgpr_count 0
		.amdhsa_exception_fp_ieee_invalid_op 0
		.amdhsa_exception_fp_denorm_src 0
		.amdhsa_exception_fp_ieee_div_zero 0
		.amdhsa_exception_fp_ieee_overflow 0
		.amdhsa_exception_fp_ieee_underflow 0
		.amdhsa_exception_fp_ieee_inexact 0
		.amdhsa_exception_int_div_zero 0
	.end_amdhsa_kernel
	.section	.text._ZN7rocprim17ROCPRIM_400000_NS6detail17trampoline_kernelINS0_14default_configENS1_32segmented_reduce_config_selectorIfEEZNS1_21segmented_reduce_implIS3_PKfPfPKlfN6hipcub16HIPCUB_304000_NS6detail27convert_result_type_wrapperIS8_S9_N2at6native12_GLOBAL__N_19CustomMaxEEEEE10hipError_tPvRmT0_T1_jT2_SQ_T4_T3_P12ihipStream_tbEUlT_E_NS1_11comp_targetILNS1_3genE4ELNS1_11target_archE910ELNS1_3gpuE8ELNS1_3repE0EEENS1_30default_config_static_selectorELNS0_4arch9wavefront6targetE0EEEvSP_,"axG",@progbits,_ZN7rocprim17ROCPRIM_400000_NS6detail17trampoline_kernelINS0_14default_configENS1_32segmented_reduce_config_selectorIfEEZNS1_21segmented_reduce_implIS3_PKfPfPKlfN6hipcub16HIPCUB_304000_NS6detail27convert_result_type_wrapperIS8_S9_N2at6native12_GLOBAL__N_19CustomMaxEEEEE10hipError_tPvRmT0_T1_jT2_SQ_T4_T3_P12ihipStream_tbEUlT_E_NS1_11comp_targetILNS1_3genE4ELNS1_11target_archE910ELNS1_3gpuE8ELNS1_3repE0EEENS1_30default_config_static_selectorELNS0_4arch9wavefront6targetE0EEEvSP_,comdat
.Lfunc_end182:
	.size	_ZN7rocprim17ROCPRIM_400000_NS6detail17trampoline_kernelINS0_14default_configENS1_32segmented_reduce_config_selectorIfEEZNS1_21segmented_reduce_implIS3_PKfPfPKlfN6hipcub16HIPCUB_304000_NS6detail27convert_result_type_wrapperIS8_S9_N2at6native12_GLOBAL__N_19CustomMaxEEEEE10hipError_tPvRmT0_T1_jT2_SQ_T4_T3_P12ihipStream_tbEUlT_E_NS1_11comp_targetILNS1_3genE4ELNS1_11target_archE910ELNS1_3gpuE8ELNS1_3repE0EEENS1_30default_config_static_selectorELNS0_4arch9wavefront6targetE0EEEvSP_, .Lfunc_end182-_ZN7rocprim17ROCPRIM_400000_NS6detail17trampoline_kernelINS0_14default_configENS1_32segmented_reduce_config_selectorIfEEZNS1_21segmented_reduce_implIS3_PKfPfPKlfN6hipcub16HIPCUB_304000_NS6detail27convert_result_type_wrapperIS8_S9_N2at6native12_GLOBAL__N_19CustomMaxEEEEE10hipError_tPvRmT0_T1_jT2_SQ_T4_T3_P12ihipStream_tbEUlT_E_NS1_11comp_targetILNS1_3genE4ELNS1_11target_archE910ELNS1_3gpuE8ELNS1_3repE0EEENS1_30default_config_static_selectorELNS0_4arch9wavefront6targetE0EEEvSP_
                                        ; -- End function
	.section	.AMDGPU.csdata,"",@progbits
; Kernel info:
; codeLenInByte = 0
; NumSgprs: 0
; NumVgprs: 0
; ScratchSize: 0
; MemoryBound: 0
; FloatMode: 240
; IeeeMode: 1
; LDSByteSize: 0 bytes/workgroup (compile time only)
; SGPRBlocks: 0
; VGPRBlocks: 0
; NumSGPRsForWavesPerEU: 1
; NumVGPRsForWavesPerEU: 1
; Occupancy: 16
; WaveLimiterHint : 0
; COMPUTE_PGM_RSRC2:SCRATCH_EN: 0
; COMPUTE_PGM_RSRC2:USER_SGPR: 15
; COMPUTE_PGM_RSRC2:TRAP_HANDLER: 0
; COMPUTE_PGM_RSRC2:TGID_X_EN: 1
; COMPUTE_PGM_RSRC2:TGID_Y_EN: 0
; COMPUTE_PGM_RSRC2:TGID_Z_EN: 0
; COMPUTE_PGM_RSRC2:TIDIG_COMP_CNT: 0
	.section	.text._ZN7rocprim17ROCPRIM_400000_NS6detail17trampoline_kernelINS0_14default_configENS1_32segmented_reduce_config_selectorIfEEZNS1_21segmented_reduce_implIS3_PKfPfPKlfN6hipcub16HIPCUB_304000_NS6detail27convert_result_type_wrapperIS8_S9_N2at6native12_GLOBAL__N_19CustomMaxEEEEE10hipError_tPvRmT0_T1_jT2_SQ_T4_T3_P12ihipStream_tbEUlT_E_NS1_11comp_targetILNS1_3genE3ELNS1_11target_archE908ELNS1_3gpuE7ELNS1_3repE0EEENS1_30default_config_static_selectorELNS0_4arch9wavefront6targetE0EEEvSP_,"axG",@progbits,_ZN7rocprim17ROCPRIM_400000_NS6detail17trampoline_kernelINS0_14default_configENS1_32segmented_reduce_config_selectorIfEEZNS1_21segmented_reduce_implIS3_PKfPfPKlfN6hipcub16HIPCUB_304000_NS6detail27convert_result_type_wrapperIS8_S9_N2at6native12_GLOBAL__N_19CustomMaxEEEEE10hipError_tPvRmT0_T1_jT2_SQ_T4_T3_P12ihipStream_tbEUlT_E_NS1_11comp_targetILNS1_3genE3ELNS1_11target_archE908ELNS1_3gpuE7ELNS1_3repE0EEENS1_30default_config_static_selectorELNS0_4arch9wavefront6targetE0EEEvSP_,comdat
	.globl	_ZN7rocprim17ROCPRIM_400000_NS6detail17trampoline_kernelINS0_14default_configENS1_32segmented_reduce_config_selectorIfEEZNS1_21segmented_reduce_implIS3_PKfPfPKlfN6hipcub16HIPCUB_304000_NS6detail27convert_result_type_wrapperIS8_S9_N2at6native12_GLOBAL__N_19CustomMaxEEEEE10hipError_tPvRmT0_T1_jT2_SQ_T4_T3_P12ihipStream_tbEUlT_E_NS1_11comp_targetILNS1_3genE3ELNS1_11target_archE908ELNS1_3gpuE7ELNS1_3repE0EEENS1_30default_config_static_selectorELNS0_4arch9wavefront6targetE0EEEvSP_ ; -- Begin function _ZN7rocprim17ROCPRIM_400000_NS6detail17trampoline_kernelINS0_14default_configENS1_32segmented_reduce_config_selectorIfEEZNS1_21segmented_reduce_implIS3_PKfPfPKlfN6hipcub16HIPCUB_304000_NS6detail27convert_result_type_wrapperIS8_S9_N2at6native12_GLOBAL__N_19CustomMaxEEEEE10hipError_tPvRmT0_T1_jT2_SQ_T4_T3_P12ihipStream_tbEUlT_E_NS1_11comp_targetILNS1_3genE3ELNS1_11target_archE908ELNS1_3gpuE7ELNS1_3repE0EEENS1_30default_config_static_selectorELNS0_4arch9wavefront6targetE0EEEvSP_
	.p2align	8
	.type	_ZN7rocprim17ROCPRIM_400000_NS6detail17trampoline_kernelINS0_14default_configENS1_32segmented_reduce_config_selectorIfEEZNS1_21segmented_reduce_implIS3_PKfPfPKlfN6hipcub16HIPCUB_304000_NS6detail27convert_result_type_wrapperIS8_S9_N2at6native12_GLOBAL__N_19CustomMaxEEEEE10hipError_tPvRmT0_T1_jT2_SQ_T4_T3_P12ihipStream_tbEUlT_E_NS1_11comp_targetILNS1_3genE3ELNS1_11target_archE908ELNS1_3gpuE7ELNS1_3repE0EEENS1_30default_config_static_selectorELNS0_4arch9wavefront6targetE0EEEvSP_,@function
_ZN7rocprim17ROCPRIM_400000_NS6detail17trampoline_kernelINS0_14default_configENS1_32segmented_reduce_config_selectorIfEEZNS1_21segmented_reduce_implIS3_PKfPfPKlfN6hipcub16HIPCUB_304000_NS6detail27convert_result_type_wrapperIS8_S9_N2at6native12_GLOBAL__N_19CustomMaxEEEEE10hipError_tPvRmT0_T1_jT2_SQ_T4_T3_P12ihipStream_tbEUlT_E_NS1_11comp_targetILNS1_3genE3ELNS1_11target_archE908ELNS1_3gpuE7ELNS1_3repE0EEENS1_30default_config_static_selectorELNS0_4arch9wavefront6targetE0EEEvSP_: ; @_ZN7rocprim17ROCPRIM_400000_NS6detail17trampoline_kernelINS0_14default_configENS1_32segmented_reduce_config_selectorIfEEZNS1_21segmented_reduce_implIS3_PKfPfPKlfN6hipcub16HIPCUB_304000_NS6detail27convert_result_type_wrapperIS8_S9_N2at6native12_GLOBAL__N_19CustomMaxEEEEE10hipError_tPvRmT0_T1_jT2_SQ_T4_T3_P12ihipStream_tbEUlT_E_NS1_11comp_targetILNS1_3genE3ELNS1_11target_archE908ELNS1_3gpuE7ELNS1_3repE0EEENS1_30default_config_static_selectorELNS0_4arch9wavefront6targetE0EEEvSP_
; %bb.0:
	.section	.rodata,"a",@progbits
	.p2align	6, 0x0
	.amdhsa_kernel _ZN7rocprim17ROCPRIM_400000_NS6detail17trampoline_kernelINS0_14default_configENS1_32segmented_reduce_config_selectorIfEEZNS1_21segmented_reduce_implIS3_PKfPfPKlfN6hipcub16HIPCUB_304000_NS6detail27convert_result_type_wrapperIS8_S9_N2at6native12_GLOBAL__N_19CustomMaxEEEEE10hipError_tPvRmT0_T1_jT2_SQ_T4_T3_P12ihipStream_tbEUlT_E_NS1_11comp_targetILNS1_3genE3ELNS1_11target_archE908ELNS1_3gpuE7ELNS1_3repE0EEENS1_30default_config_static_selectorELNS0_4arch9wavefront6targetE0EEEvSP_
		.amdhsa_group_segment_fixed_size 0
		.amdhsa_private_segment_fixed_size 0
		.amdhsa_kernarg_size 48
		.amdhsa_user_sgpr_count 15
		.amdhsa_user_sgpr_dispatch_ptr 0
		.amdhsa_user_sgpr_queue_ptr 0
		.amdhsa_user_sgpr_kernarg_segment_ptr 1
		.amdhsa_user_sgpr_dispatch_id 0
		.amdhsa_user_sgpr_private_segment_size 0
		.amdhsa_wavefront_size32 1
		.amdhsa_uses_dynamic_stack 0
		.amdhsa_enable_private_segment 0
		.amdhsa_system_sgpr_workgroup_id_x 1
		.amdhsa_system_sgpr_workgroup_id_y 0
		.amdhsa_system_sgpr_workgroup_id_z 0
		.amdhsa_system_sgpr_workgroup_info 0
		.amdhsa_system_vgpr_workitem_id 0
		.amdhsa_next_free_vgpr 1
		.amdhsa_next_free_sgpr 1
		.amdhsa_reserve_vcc 0
		.amdhsa_float_round_mode_32 0
		.amdhsa_float_round_mode_16_64 0
		.amdhsa_float_denorm_mode_32 3
		.amdhsa_float_denorm_mode_16_64 3
		.amdhsa_dx10_clamp 1
		.amdhsa_ieee_mode 1
		.amdhsa_fp16_overflow 0
		.amdhsa_workgroup_processor_mode 1
		.amdhsa_memory_ordered 1
		.amdhsa_forward_progress 0
		.amdhsa_shared_vgpr_count 0
		.amdhsa_exception_fp_ieee_invalid_op 0
		.amdhsa_exception_fp_denorm_src 0
		.amdhsa_exception_fp_ieee_div_zero 0
		.amdhsa_exception_fp_ieee_overflow 0
		.amdhsa_exception_fp_ieee_underflow 0
		.amdhsa_exception_fp_ieee_inexact 0
		.amdhsa_exception_int_div_zero 0
	.end_amdhsa_kernel
	.section	.text._ZN7rocprim17ROCPRIM_400000_NS6detail17trampoline_kernelINS0_14default_configENS1_32segmented_reduce_config_selectorIfEEZNS1_21segmented_reduce_implIS3_PKfPfPKlfN6hipcub16HIPCUB_304000_NS6detail27convert_result_type_wrapperIS8_S9_N2at6native12_GLOBAL__N_19CustomMaxEEEEE10hipError_tPvRmT0_T1_jT2_SQ_T4_T3_P12ihipStream_tbEUlT_E_NS1_11comp_targetILNS1_3genE3ELNS1_11target_archE908ELNS1_3gpuE7ELNS1_3repE0EEENS1_30default_config_static_selectorELNS0_4arch9wavefront6targetE0EEEvSP_,"axG",@progbits,_ZN7rocprim17ROCPRIM_400000_NS6detail17trampoline_kernelINS0_14default_configENS1_32segmented_reduce_config_selectorIfEEZNS1_21segmented_reduce_implIS3_PKfPfPKlfN6hipcub16HIPCUB_304000_NS6detail27convert_result_type_wrapperIS8_S9_N2at6native12_GLOBAL__N_19CustomMaxEEEEE10hipError_tPvRmT0_T1_jT2_SQ_T4_T3_P12ihipStream_tbEUlT_E_NS1_11comp_targetILNS1_3genE3ELNS1_11target_archE908ELNS1_3gpuE7ELNS1_3repE0EEENS1_30default_config_static_selectorELNS0_4arch9wavefront6targetE0EEEvSP_,comdat
.Lfunc_end183:
	.size	_ZN7rocprim17ROCPRIM_400000_NS6detail17trampoline_kernelINS0_14default_configENS1_32segmented_reduce_config_selectorIfEEZNS1_21segmented_reduce_implIS3_PKfPfPKlfN6hipcub16HIPCUB_304000_NS6detail27convert_result_type_wrapperIS8_S9_N2at6native12_GLOBAL__N_19CustomMaxEEEEE10hipError_tPvRmT0_T1_jT2_SQ_T4_T3_P12ihipStream_tbEUlT_E_NS1_11comp_targetILNS1_3genE3ELNS1_11target_archE908ELNS1_3gpuE7ELNS1_3repE0EEENS1_30default_config_static_selectorELNS0_4arch9wavefront6targetE0EEEvSP_, .Lfunc_end183-_ZN7rocprim17ROCPRIM_400000_NS6detail17trampoline_kernelINS0_14default_configENS1_32segmented_reduce_config_selectorIfEEZNS1_21segmented_reduce_implIS3_PKfPfPKlfN6hipcub16HIPCUB_304000_NS6detail27convert_result_type_wrapperIS8_S9_N2at6native12_GLOBAL__N_19CustomMaxEEEEE10hipError_tPvRmT0_T1_jT2_SQ_T4_T3_P12ihipStream_tbEUlT_E_NS1_11comp_targetILNS1_3genE3ELNS1_11target_archE908ELNS1_3gpuE7ELNS1_3repE0EEENS1_30default_config_static_selectorELNS0_4arch9wavefront6targetE0EEEvSP_
                                        ; -- End function
	.section	.AMDGPU.csdata,"",@progbits
; Kernel info:
; codeLenInByte = 0
; NumSgprs: 0
; NumVgprs: 0
; ScratchSize: 0
; MemoryBound: 0
; FloatMode: 240
; IeeeMode: 1
; LDSByteSize: 0 bytes/workgroup (compile time only)
; SGPRBlocks: 0
; VGPRBlocks: 0
; NumSGPRsForWavesPerEU: 1
; NumVGPRsForWavesPerEU: 1
; Occupancy: 16
; WaveLimiterHint : 0
; COMPUTE_PGM_RSRC2:SCRATCH_EN: 0
; COMPUTE_PGM_RSRC2:USER_SGPR: 15
; COMPUTE_PGM_RSRC2:TRAP_HANDLER: 0
; COMPUTE_PGM_RSRC2:TGID_X_EN: 1
; COMPUTE_PGM_RSRC2:TGID_Y_EN: 0
; COMPUTE_PGM_RSRC2:TGID_Z_EN: 0
; COMPUTE_PGM_RSRC2:TIDIG_COMP_CNT: 0
	.section	.text._ZN7rocprim17ROCPRIM_400000_NS6detail17trampoline_kernelINS0_14default_configENS1_32segmented_reduce_config_selectorIfEEZNS1_21segmented_reduce_implIS3_PKfPfPKlfN6hipcub16HIPCUB_304000_NS6detail27convert_result_type_wrapperIS8_S9_N2at6native12_GLOBAL__N_19CustomMaxEEEEE10hipError_tPvRmT0_T1_jT2_SQ_T4_T3_P12ihipStream_tbEUlT_E_NS1_11comp_targetILNS1_3genE2ELNS1_11target_archE906ELNS1_3gpuE6ELNS1_3repE0EEENS1_30default_config_static_selectorELNS0_4arch9wavefront6targetE0EEEvSP_,"axG",@progbits,_ZN7rocprim17ROCPRIM_400000_NS6detail17trampoline_kernelINS0_14default_configENS1_32segmented_reduce_config_selectorIfEEZNS1_21segmented_reduce_implIS3_PKfPfPKlfN6hipcub16HIPCUB_304000_NS6detail27convert_result_type_wrapperIS8_S9_N2at6native12_GLOBAL__N_19CustomMaxEEEEE10hipError_tPvRmT0_T1_jT2_SQ_T4_T3_P12ihipStream_tbEUlT_E_NS1_11comp_targetILNS1_3genE2ELNS1_11target_archE906ELNS1_3gpuE6ELNS1_3repE0EEENS1_30default_config_static_selectorELNS0_4arch9wavefront6targetE0EEEvSP_,comdat
	.globl	_ZN7rocprim17ROCPRIM_400000_NS6detail17trampoline_kernelINS0_14default_configENS1_32segmented_reduce_config_selectorIfEEZNS1_21segmented_reduce_implIS3_PKfPfPKlfN6hipcub16HIPCUB_304000_NS6detail27convert_result_type_wrapperIS8_S9_N2at6native12_GLOBAL__N_19CustomMaxEEEEE10hipError_tPvRmT0_T1_jT2_SQ_T4_T3_P12ihipStream_tbEUlT_E_NS1_11comp_targetILNS1_3genE2ELNS1_11target_archE906ELNS1_3gpuE6ELNS1_3repE0EEENS1_30default_config_static_selectorELNS0_4arch9wavefront6targetE0EEEvSP_ ; -- Begin function _ZN7rocprim17ROCPRIM_400000_NS6detail17trampoline_kernelINS0_14default_configENS1_32segmented_reduce_config_selectorIfEEZNS1_21segmented_reduce_implIS3_PKfPfPKlfN6hipcub16HIPCUB_304000_NS6detail27convert_result_type_wrapperIS8_S9_N2at6native12_GLOBAL__N_19CustomMaxEEEEE10hipError_tPvRmT0_T1_jT2_SQ_T4_T3_P12ihipStream_tbEUlT_E_NS1_11comp_targetILNS1_3genE2ELNS1_11target_archE906ELNS1_3gpuE6ELNS1_3repE0EEENS1_30default_config_static_selectorELNS0_4arch9wavefront6targetE0EEEvSP_
	.p2align	8
	.type	_ZN7rocprim17ROCPRIM_400000_NS6detail17trampoline_kernelINS0_14default_configENS1_32segmented_reduce_config_selectorIfEEZNS1_21segmented_reduce_implIS3_PKfPfPKlfN6hipcub16HIPCUB_304000_NS6detail27convert_result_type_wrapperIS8_S9_N2at6native12_GLOBAL__N_19CustomMaxEEEEE10hipError_tPvRmT0_T1_jT2_SQ_T4_T3_P12ihipStream_tbEUlT_E_NS1_11comp_targetILNS1_3genE2ELNS1_11target_archE906ELNS1_3gpuE6ELNS1_3repE0EEENS1_30default_config_static_selectorELNS0_4arch9wavefront6targetE0EEEvSP_,@function
_ZN7rocprim17ROCPRIM_400000_NS6detail17trampoline_kernelINS0_14default_configENS1_32segmented_reduce_config_selectorIfEEZNS1_21segmented_reduce_implIS3_PKfPfPKlfN6hipcub16HIPCUB_304000_NS6detail27convert_result_type_wrapperIS8_S9_N2at6native12_GLOBAL__N_19CustomMaxEEEEE10hipError_tPvRmT0_T1_jT2_SQ_T4_T3_P12ihipStream_tbEUlT_E_NS1_11comp_targetILNS1_3genE2ELNS1_11target_archE906ELNS1_3gpuE6ELNS1_3repE0EEENS1_30default_config_static_selectorELNS0_4arch9wavefront6targetE0EEEvSP_: ; @_ZN7rocprim17ROCPRIM_400000_NS6detail17trampoline_kernelINS0_14default_configENS1_32segmented_reduce_config_selectorIfEEZNS1_21segmented_reduce_implIS3_PKfPfPKlfN6hipcub16HIPCUB_304000_NS6detail27convert_result_type_wrapperIS8_S9_N2at6native12_GLOBAL__N_19CustomMaxEEEEE10hipError_tPvRmT0_T1_jT2_SQ_T4_T3_P12ihipStream_tbEUlT_E_NS1_11comp_targetILNS1_3genE2ELNS1_11target_archE906ELNS1_3gpuE6ELNS1_3repE0EEENS1_30default_config_static_selectorELNS0_4arch9wavefront6targetE0EEEvSP_
; %bb.0:
	.section	.rodata,"a",@progbits
	.p2align	6, 0x0
	.amdhsa_kernel _ZN7rocprim17ROCPRIM_400000_NS6detail17trampoline_kernelINS0_14default_configENS1_32segmented_reduce_config_selectorIfEEZNS1_21segmented_reduce_implIS3_PKfPfPKlfN6hipcub16HIPCUB_304000_NS6detail27convert_result_type_wrapperIS8_S9_N2at6native12_GLOBAL__N_19CustomMaxEEEEE10hipError_tPvRmT0_T1_jT2_SQ_T4_T3_P12ihipStream_tbEUlT_E_NS1_11comp_targetILNS1_3genE2ELNS1_11target_archE906ELNS1_3gpuE6ELNS1_3repE0EEENS1_30default_config_static_selectorELNS0_4arch9wavefront6targetE0EEEvSP_
		.amdhsa_group_segment_fixed_size 0
		.amdhsa_private_segment_fixed_size 0
		.amdhsa_kernarg_size 48
		.amdhsa_user_sgpr_count 15
		.amdhsa_user_sgpr_dispatch_ptr 0
		.amdhsa_user_sgpr_queue_ptr 0
		.amdhsa_user_sgpr_kernarg_segment_ptr 1
		.amdhsa_user_sgpr_dispatch_id 0
		.amdhsa_user_sgpr_private_segment_size 0
		.amdhsa_wavefront_size32 1
		.amdhsa_uses_dynamic_stack 0
		.amdhsa_enable_private_segment 0
		.amdhsa_system_sgpr_workgroup_id_x 1
		.amdhsa_system_sgpr_workgroup_id_y 0
		.amdhsa_system_sgpr_workgroup_id_z 0
		.amdhsa_system_sgpr_workgroup_info 0
		.amdhsa_system_vgpr_workitem_id 0
		.amdhsa_next_free_vgpr 1
		.amdhsa_next_free_sgpr 1
		.amdhsa_reserve_vcc 0
		.amdhsa_float_round_mode_32 0
		.amdhsa_float_round_mode_16_64 0
		.amdhsa_float_denorm_mode_32 3
		.amdhsa_float_denorm_mode_16_64 3
		.amdhsa_dx10_clamp 1
		.amdhsa_ieee_mode 1
		.amdhsa_fp16_overflow 0
		.amdhsa_workgroup_processor_mode 1
		.amdhsa_memory_ordered 1
		.amdhsa_forward_progress 0
		.amdhsa_shared_vgpr_count 0
		.amdhsa_exception_fp_ieee_invalid_op 0
		.amdhsa_exception_fp_denorm_src 0
		.amdhsa_exception_fp_ieee_div_zero 0
		.amdhsa_exception_fp_ieee_overflow 0
		.amdhsa_exception_fp_ieee_underflow 0
		.amdhsa_exception_fp_ieee_inexact 0
		.amdhsa_exception_int_div_zero 0
	.end_amdhsa_kernel
	.section	.text._ZN7rocprim17ROCPRIM_400000_NS6detail17trampoline_kernelINS0_14default_configENS1_32segmented_reduce_config_selectorIfEEZNS1_21segmented_reduce_implIS3_PKfPfPKlfN6hipcub16HIPCUB_304000_NS6detail27convert_result_type_wrapperIS8_S9_N2at6native12_GLOBAL__N_19CustomMaxEEEEE10hipError_tPvRmT0_T1_jT2_SQ_T4_T3_P12ihipStream_tbEUlT_E_NS1_11comp_targetILNS1_3genE2ELNS1_11target_archE906ELNS1_3gpuE6ELNS1_3repE0EEENS1_30default_config_static_selectorELNS0_4arch9wavefront6targetE0EEEvSP_,"axG",@progbits,_ZN7rocprim17ROCPRIM_400000_NS6detail17trampoline_kernelINS0_14default_configENS1_32segmented_reduce_config_selectorIfEEZNS1_21segmented_reduce_implIS3_PKfPfPKlfN6hipcub16HIPCUB_304000_NS6detail27convert_result_type_wrapperIS8_S9_N2at6native12_GLOBAL__N_19CustomMaxEEEEE10hipError_tPvRmT0_T1_jT2_SQ_T4_T3_P12ihipStream_tbEUlT_E_NS1_11comp_targetILNS1_3genE2ELNS1_11target_archE906ELNS1_3gpuE6ELNS1_3repE0EEENS1_30default_config_static_selectorELNS0_4arch9wavefront6targetE0EEEvSP_,comdat
.Lfunc_end184:
	.size	_ZN7rocprim17ROCPRIM_400000_NS6detail17trampoline_kernelINS0_14default_configENS1_32segmented_reduce_config_selectorIfEEZNS1_21segmented_reduce_implIS3_PKfPfPKlfN6hipcub16HIPCUB_304000_NS6detail27convert_result_type_wrapperIS8_S9_N2at6native12_GLOBAL__N_19CustomMaxEEEEE10hipError_tPvRmT0_T1_jT2_SQ_T4_T3_P12ihipStream_tbEUlT_E_NS1_11comp_targetILNS1_3genE2ELNS1_11target_archE906ELNS1_3gpuE6ELNS1_3repE0EEENS1_30default_config_static_selectorELNS0_4arch9wavefront6targetE0EEEvSP_, .Lfunc_end184-_ZN7rocprim17ROCPRIM_400000_NS6detail17trampoline_kernelINS0_14default_configENS1_32segmented_reduce_config_selectorIfEEZNS1_21segmented_reduce_implIS3_PKfPfPKlfN6hipcub16HIPCUB_304000_NS6detail27convert_result_type_wrapperIS8_S9_N2at6native12_GLOBAL__N_19CustomMaxEEEEE10hipError_tPvRmT0_T1_jT2_SQ_T4_T3_P12ihipStream_tbEUlT_E_NS1_11comp_targetILNS1_3genE2ELNS1_11target_archE906ELNS1_3gpuE6ELNS1_3repE0EEENS1_30default_config_static_selectorELNS0_4arch9wavefront6targetE0EEEvSP_
                                        ; -- End function
	.section	.AMDGPU.csdata,"",@progbits
; Kernel info:
; codeLenInByte = 0
; NumSgprs: 0
; NumVgprs: 0
; ScratchSize: 0
; MemoryBound: 0
; FloatMode: 240
; IeeeMode: 1
; LDSByteSize: 0 bytes/workgroup (compile time only)
; SGPRBlocks: 0
; VGPRBlocks: 0
; NumSGPRsForWavesPerEU: 1
; NumVGPRsForWavesPerEU: 1
; Occupancy: 16
; WaveLimiterHint : 0
; COMPUTE_PGM_RSRC2:SCRATCH_EN: 0
; COMPUTE_PGM_RSRC2:USER_SGPR: 15
; COMPUTE_PGM_RSRC2:TRAP_HANDLER: 0
; COMPUTE_PGM_RSRC2:TGID_X_EN: 1
; COMPUTE_PGM_RSRC2:TGID_Y_EN: 0
; COMPUTE_PGM_RSRC2:TGID_Z_EN: 0
; COMPUTE_PGM_RSRC2:TIDIG_COMP_CNT: 0
	.section	.text._ZN7rocprim17ROCPRIM_400000_NS6detail17trampoline_kernelINS0_14default_configENS1_32segmented_reduce_config_selectorIfEEZNS1_21segmented_reduce_implIS3_PKfPfPKlfN6hipcub16HIPCUB_304000_NS6detail27convert_result_type_wrapperIS8_S9_N2at6native12_GLOBAL__N_19CustomMaxEEEEE10hipError_tPvRmT0_T1_jT2_SQ_T4_T3_P12ihipStream_tbEUlT_E_NS1_11comp_targetILNS1_3genE9ELNS1_11target_archE1100ELNS1_3gpuE3ELNS1_3repE0EEENS1_30default_config_static_selectorELNS0_4arch9wavefront6targetE0EEEvSP_,"axG",@progbits,_ZN7rocprim17ROCPRIM_400000_NS6detail17trampoline_kernelINS0_14default_configENS1_32segmented_reduce_config_selectorIfEEZNS1_21segmented_reduce_implIS3_PKfPfPKlfN6hipcub16HIPCUB_304000_NS6detail27convert_result_type_wrapperIS8_S9_N2at6native12_GLOBAL__N_19CustomMaxEEEEE10hipError_tPvRmT0_T1_jT2_SQ_T4_T3_P12ihipStream_tbEUlT_E_NS1_11comp_targetILNS1_3genE9ELNS1_11target_archE1100ELNS1_3gpuE3ELNS1_3repE0EEENS1_30default_config_static_selectorELNS0_4arch9wavefront6targetE0EEEvSP_,comdat
	.globl	_ZN7rocprim17ROCPRIM_400000_NS6detail17trampoline_kernelINS0_14default_configENS1_32segmented_reduce_config_selectorIfEEZNS1_21segmented_reduce_implIS3_PKfPfPKlfN6hipcub16HIPCUB_304000_NS6detail27convert_result_type_wrapperIS8_S9_N2at6native12_GLOBAL__N_19CustomMaxEEEEE10hipError_tPvRmT0_T1_jT2_SQ_T4_T3_P12ihipStream_tbEUlT_E_NS1_11comp_targetILNS1_3genE9ELNS1_11target_archE1100ELNS1_3gpuE3ELNS1_3repE0EEENS1_30default_config_static_selectorELNS0_4arch9wavefront6targetE0EEEvSP_ ; -- Begin function _ZN7rocprim17ROCPRIM_400000_NS6detail17trampoline_kernelINS0_14default_configENS1_32segmented_reduce_config_selectorIfEEZNS1_21segmented_reduce_implIS3_PKfPfPKlfN6hipcub16HIPCUB_304000_NS6detail27convert_result_type_wrapperIS8_S9_N2at6native12_GLOBAL__N_19CustomMaxEEEEE10hipError_tPvRmT0_T1_jT2_SQ_T4_T3_P12ihipStream_tbEUlT_E_NS1_11comp_targetILNS1_3genE9ELNS1_11target_archE1100ELNS1_3gpuE3ELNS1_3repE0EEENS1_30default_config_static_selectorELNS0_4arch9wavefront6targetE0EEEvSP_
	.p2align	8
	.type	_ZN7rocprim17ROCPRIM_400000_NS6detail17trampoline_kernelINS0_14default_configENS1_32segmented_reduce_config_selectorIfEEZNS1_21segmented_reduce_implIS3_PKfPfPKlfN6hipcub16HIPCUB_304000_NS6detail27convert_result_type_wrapperIS8_S9_N2at6native12_GLOBAL__N_19CustomMaxEEEEE10hipError_tPvRmT0_T1_jT2_SQ_T4_T3_P12ihipStream_tbEUlT_E_NS1_11comp_targetILNS1_3genE9ELNS1_11target_archE1100ELNS1_3gpuE3ELNS1_3repE0EEENS1_30default_config_static_selectorELNS0_4arch9wavefront6targetE0EEEvSP_,@function
_ZN7rocprim17ROCPRIM_400000_NS6detail17trampoline_kernelINS0_14default_configENS1_32segmented_reduce_config_selectorIfEEZNS1_21segmented_reduce_implIS3_PKfPfPKlfN6hipcub16HIPCUB_304000_NS6detail27convert_result_type_wrapperIS8_S9_N2at6native12_GLOBAL__N_19CustomMaxEEEEE10hipError_tPvRmT0_T1_jT2_SQ_T4_T3_P12ihipStream_tbEUlT_E_NS1_11comp_targetILNS1_3genE9ELNS1_11target_archE1100ELNS1_3gpuE3ELNS1_3repE0EEENS1_30default_config_static_selectorELNS0_4arch9wavefront6targetE0EEEvSP_: ; @_ZN7rocprim17ROCPRIM_400000_NS6detail17trampoline_kernelINS0_14default_configENS1_32segmented_reduce_config_selectorIfEEZNS1_21segmented_reduce_implIS3_PKfPfPKlfN6hipcub16HIPCUB_304000_NS6detail27convert_result_type_wrapperIS8_S9_N2at6native12_GLOBAL__N_19CustomMaxEEEEE10hipError_tPvRmT0_T1_jT2_SQ_T4_T3_P12ihipStream_tbEUlT_E_NS1_11comp_targetILNS1_3genE9ELNS1_11target_archE1100ELNS1_3gpuE3ELNS1_3repE0EEENS1_30default_config_static_selectorELNS0_4arch9wavefront6targetE0EEEvSP_
; %bb.0:
	s_clause 0x1
	s_load_b256 s[4:11], s[0:1], 0x0
	s_load_b64 s[12:13], s[0:1], 0x20
	s_mov_b32 s2, s15
	s_mov_b32 s3, 0
	s_load_b32 s16, s[0:1], 0x2c
	s_waitcnt lgkmcnt(0)
	s_lshl_b64 s[14:15], s[8:9], 3
	s_delay_alu instid0(SALU_CYCLE_1) | instskip(SKIP_4) | instid1(SALU_CYCLE_1)
	s_add_u32 s10, s10, s14
	s_addc_u32 s11, s11, s15
	s_add_u32 s12, s12, s14
	s_addc_u32 s13, s13, s15
	s_lshl_b64 s[0:1], s[2:3], 3
	s_add_u32 s10, s10, s0
	s_addc_u32 s11, s11, s1
	s_add_u32 s0, s12, s0
	s_addc_u32 s1, s13, s1
	s_load_b64 s[12:13], s[10:11], 0x0
	s_load_b64 s[10:11], s[0:1], 0x0
	s_waitcnt lgkmcnt(0)
	v_cmp_gt_i64_e64 s0, s[10:11], s[12:13]
	s_delay_alu instid0(VALU_DEP_1)
	s_and_b32 vcc_lo, exec_lo, s0
	v_cmp_eq_u32_e64 s0, 0, v0
	s_cbranch_vccnz .LBB185_3
; %bb.1:
	s_delay_alu instid0(VALU_DEP_1)
	s_and_b32 s17, s0, exec_lo
	s_cbranch_execz .LBB185_4
; %bb.2:
	v_mov_b32_e32 v1, s16
	s_and_saveexec_b32 s0, s17
	s_cbranch_execnz .LBB185_373
	s_branch .LBB185_374
.LBB185_3:
	s_mov_b32 s17, s3
.LBB185_4:
	s_add_u32 s0, s12, 0x1000
	s_addc_u32 s1, s13, 0
	s_delay_alu instid0(SALU_CYCLE_1) | instskip(NEXT) | instid1(VALU_DEP_1)
	v_cmp_le_i64_e64 s14, s[0:1], s[10:11]
	s_and_b32 vcc_lo, exec_lo, s14
	s_cbranch_vccz .LBB185_133
; %bb.5:
	v_lshlrev_b32_e32 v20, 2, v0
	s_lshl_b64 s[14:15], s[12:13], 2
	s_delay_alu instid0(SALU_CYCLE_1) | instskip(SKIP_1) | instid1(VALU_DEP_1)
	s_add_u32 s18, s4, s14
	s_addc_u32 s19, s5, s15
	v_add_co_u32 v5, s20, s18, v20
	s_delay_alu instid0(VALU_DEP_1) | instskip(NEXT) | instid1(VALU_DEP_2)
	v_add_co_ci_u32_e64 v6, null, s19, 0, s20
	v_add_co_u32 v1, vcc_lo, 0x1000, v5
	s_delay_alu instid0(VALU_DEP_2)
	v_add_co_ci_u32_e32 v2, vcc_lo, 0, v6, vcc_lo
	v_add_co_u32 v21, vcc_lo, v5, 0x2000
	v_add_co_ci_u32_e32 v22, vcc_lo, 0, v6, vcc_lo
	v_add_co_u32 v3, vcc_lo, 0x2000, v5
	v_add_co_ci_u32_e32 v4, vcc_lo, 0, v6, vcc_lo
	global_load_b32 v11, v[21:22], off
	v_add_co_u32 v23, vcc_lo, 0x3000, v5
	v_add_co_ci_u32_e32 v24, vcc_lo, 0, v6, vcc_lo
	s_clause 0xe
	global_load_b32 v19, v20, s[18:19]
	global_load_b32 v18, v20, s[18:19] offset:1024
	global_load_b32 v17, v20, s[18:19] offset:2048
	;; [unrolled: 1-line block ×3, first 2 shown]
	global_load_b32 v14, v[1:2], off offset:1024
	global_load_b32 v13, v[1:2], off offset:2048
	;; [unrolled: 1-line block ×6, first 2 shown]
	global_load_b32 v6, v[23:24], off
	global_load_b32 v5, v[23:24], off offset:1024
	global_load_b32 v4, v[23:24], off offset:2048
	global_load_b32 v16, v[21:22], off offset:-4096
	global_load_b32 v3, v[23:24], off offset:3072
	s_mov_b32 s18, exec_lo
	s_waitcnt vmcnt(14)
	v_mov_b32_e32 v9, v19
	v_cmpx_o_f32_e32 v19, v19
	s_cbranch_execz .LBB185_9
; %bb.6:
	s_waitcnt vmcnt(13)
	v_mov_b32_e32 v9, v18
	s_mov_b32 s19, exec_lo
	v_cmpx_o_f32_e32 v18, v18
; %bb.7:
	v_cmp_lt_f32_e32 vcc_lo, v19, v18
	v_cndmask_b32_e32 v9, v19, v18, vcc_lo
; %bb.8:
	s_or_b32 exec_lo, exec_lo, s19
.LBB185_9:
	s_delay_alu instid0(SALU_CYCLE_1) | instskip(NEXT) | instid1(SALU_CYCLE_1)
	s_or_b32 exec_lo, exec_lo, s18
	s_mov_b32 s18, exec_lo
	s_delay_alu instid0(VALU_DEP_1)
	v_cmpx_o_f32_e32 v9, v9
	s_cbranch_execz .LBB185_13
; %bb.10:
	s_waitcnt vmcnt(12)
	v_mov_b32_e32 v1, v17
	s_mov_b32 s19, exec_lo
	v_cmpx_o_f32_e32 v17, v17
; %bb.11:
	v_cmp_lt_f32_e32 vcc_lo, v9, v17
	v_cndmask_b32_e32 v1, v9, v17, vcc_lo
; %bb.12:
	s_or_b32 exec_lo, exec_lo, s19
	s_delay_alu instid0(VALU_DEP_1)
	v_mov_b32_e32 v9, v1
.LBB185_13:
	s_or_b32 exec_lo, exec_lo, s18
	s_delay_alu instid0(SALU_CYCLE_1) | instskip(NEXT) | instid1(VALU_DEP_1)
	s_mov_b32 s18, exec_lo
	v_cmpx_o_f32_e32 v9, v9
	s_cbranch_execz .LBB185_17
; %bb.14:
	s_waitcnt vmcnt(11)
	v_mov_b32_e32 v1, v15
	s_mov_b32 s19, exec_lo
	v_cmpx_o_f32_e32 v15, v15
; %bb.15:
	v_cmp_lt_f32_e32 vcc_lo, v9, v15
	v_cndmask_b32_e32 v1, v9, v15, vcc_lo
; %bb.16:
	s_or_b32 exec_lo, exec_lo, s19
	s_delay_alu instid0(VALU_DEP_1)
	v_mov_b32_e32 v9, v1
.LBB185_17:
	s_or_b32 exec_lo, exec_lo, s18
	s_delay_alu instid0(SALU_CYCLE_1) | instskip(NEXT) | instid1(VALU_DEP_1)
	s_mov_b32 s18, exec_lo
	;; [unrolled: 18-line block ×6, first 2 shown]
	v_cmpx_o_f32_e32 v9, v9
	s_cbranch_execz .LBB185_37
; %bb.34:
	v_mov_b32_e32 v1, v11
	s_mov_b32 s19, exec_lo
	v_cmpx_o_f32_e32 v11, v11
; %bb.35:
	v_cmp_lt_f32_e32 vcc_lo, v9, v11
	v_cndmask_b32_e32 v1, v9, v11, vcc_lo
; %bb.36:
	s_or_b32 exec_lo, exec_lo, s19
	s_delay_alu instid0(VALU_DEP_1)
	v_mov_b32_e32 v9, v1
.LBB185_37:
	s_or_b32 exec_lo, exec_lo, s18
	s_delay_alu instid0(SALU_CYCLE_1) | instskip(NEXT) | instid1(VALU_DEP_1)
	s_mov_b32 s18, exec_lo
	v_cmpx_o_f32_e32 v9, v9
	s_cbranch_execz .LBB185_41
; %bb.38:
	s_waitcnt vmcnt(7)
	v_mov_b32_e32 v1, v10
	s_mov_b32 s19, exec_lo
	v_cmpx_o_f32_e32 v10, v10
; %bb.39:
	v_cmp_lt_f32_e32 vcc_lo, v9, v10
	v_cndmask_b32_e32 v1, v9, v10, vcc_lo
; %bb.40:
	s_or_b32 exec_lo, exec_lo, s19
	s_delay_alu instid0(VALU_DEP_1)
	v_mov_b32_e32 v9, v1
.LBB185_41:
	s_or_b32 exec_lo, exec_lo, s18
	s_delay_alu instid0(SALU_CYCLE_1) | instskip(NEXT) | instid1(VALU_DEP_1)
	s_mov_b32 s18, exec_lo
	v_cmpx_o_f32_e32 v9, v9
	s_cbranch_execz .LBB185_45
; %bb.42:
	s_waitcnt vmcnt(6)
	v_mov_b32_e32 v1, v8
	s_mov_b32 s19, exec_lo
	v_cmpx_o_f32_e32 v8, v8
; %bb.43:
	v_cmp_lt_f32_e32 vcc_lo, v9, v8
	v_cndmask_b32_e32 v1, v9, v8, vcc_lo
; %bb.44:
	s_or_b32 exec_lo, exec_lo, s19
	s_delay_alu instid0(VALU_DEP_1)
	v_mov_b32_e32 v9, v1
.LBB185_45:
	;; [unrolled: 18-line block ×7, first 2 shown]
	s_or_b32 exec_lo, exec_lo, s18
	s_add_u32 s18, s12, 0x2000
	s_addc_u32 s19, s13, 0
	s_delay_alu instid0(SALU_CYCLE_1) | instskip(NEXT) | instid1(VALU_DEP_1)
	v_cmp_ge_i64_e64 s18, s[18:19], s[10:11]
	s_and_b32 vcc_lo, exec_lo, s18
	s_cbranch_vccnz .LBB185_134
; %bb.66:
	s_add_u32 s14, s4, s14
	s_addc_u32 s15, s5, s15
	v_add_co_u32 v1, s14, s14, v20
	s_delay_alu instid0(VALU_DEP_1) | instskip(NEXT) | instid1(VALU_DEP_2)
	v_add_co_ci_u32_e64 v2, null, s15, 0, s14
	v_add_co_u32 v1, vcc_lo, 0x4000, v1
	s_delay_alu instid0(VALU_DEP_2)
	v_add_co_ci_u32_e32 v2, vcc_lo, 0, v2, vcc_lo
.LBB185_67:                             ; =>This Inner Loop Header: Depth=1
	s_waitcnt vmcnt(0)
	s_delay_alu instid0(VALU_DEP_2) | instskip(NEXT) | instid1(VALU_DEP_2)
	v_add_co_u32 v3, vcc_lo, 0x1000, v1
	v_add_co_ci_u32_e32 v4, vcc_lo, 0, v2, vcc_lo
	v_add_co_u32 v21, vcc_lo, v1, 0x2000
	v_add_co_ci_u32_e32 v22, vcc_lo, 0, v2, vcc_lo
	;; [unrolled: 2-line block ×3, first 2 shown]
	v_add_co_u32 v23, vcc_lo, 0x3000, v1
	s_clause 0x4
	global_load_b32 v18, v[1:2], off offset:1024
	global_load_b32 v17, v[1:2], off offset:2048
	;; [unrolled: 1-line block ×3, first 2 shown]
	global_load_b32 v19, v[1:2], off
	global_load_b32 v11, v[21:22], off
	v_add_co_ci_u32_e32 v24, vcc_lo, 0, v2, vcc_lo
	s_clause 0xa
	global_load_b32 v14, v[3:4], off offset:1024
	global_load_b32 v13, v[3:4], off offset:2048
	;; [unrolled: 1-line block ×6, first 2 shown]
	global_load_b32 v6, v[23:24], off
	global_load_b32 v5, v[23:24], off offset:1024
	global_load_b32 v4, v[23:24], off offset:2048
	global_load_b32 v16, v[21:22], off offset:-4096
	global_load_b32 v3, v[23:24], off offset:3072
	s_mov_b32 s14, exec_lo
	v_cmpx_o_f32_e32 v9, v9
	s_cbranch_execz .LBB185_71
; %bb.68:                               ;   in Loop: Header=BB185_67 Depth=1
	s_waitcnt vmcnt(12)
	v_mov_b32_e32 v21, v19
	s_mov_b32 s15, exec_lo
	v_cmpx_o_f32_e32 v19, v19
; %bb.69:                               ;   in Loop: Header=BB185_67 Depth=1
	v_cmp_lt_f32_e32 vcc_lo, v9, v19
	v_cndmask_b32_e32 v21, v9, v19, vcc_lo
; %bb.70:                               ;   in Loop: Header=BB185_67 Depth=1
	s_or_b32 exec_lo, exec_lo, s15
	s_delay_alu instid0(VALU_DEP_1)
	v_mov_b32_e32 v9, v21
.LBB185_71:                             ;   in Loop: Header=BB185_67 Depth=1
	s_or_b32 exec_lo, exec_lo, s14
	s_delay_alu instid0(SALU_CYCLE_1) | instskip(NEXT) | instid1(VALU_DEP_1)
	s_mov_b32 s14, exec_lo
	v_cmpx_o_f32_e32 v9, v9
	s_cbranch_execz .LBB185_75
; %bb.72:                               ;   in Loop: Header=BB185_67 Depth=1
	s_waitcnt vmcnt(15)
	v_mov_b32_e32 v21, v18
	s_mov_b32 s15, exec_lo
	v_cmpx_o_f32_e32 v18, v18
; %bb.73:                               ;   in Loop: Header=BB185_67 Depth=1
	v_cmp_lt_f32_e32 vcc_lo, v9, v18
	v_cndmask_b32_e32 v21, v9, v18, vcc_lo
; %bb.74:                               ;   in Loop: Header=BB185_67 Depth=1
	s_or_b32 exec_lo, exec_lo, s15
	s_delay_alu instid0(VALU_DEP_1)
	v_mov_b32_e32 v9, v21
.LBB185_75:                             ;   in Loop: Header=BB185_67 Depth=1
	s_or_b32 exec_lo, exec_lo, s14
	s_delay_alu instid0(SALU_CYCLE_1) | instskip(NEXT) | instid1(VALU_DEP_1)
	;; [unrolled: 18-line block ×8, first 2 shown]
	s_mov_b32 s14, exec_lo
	v_cmpx_o_f32_e32 v9, v9
	s_cbranch_execz .LBB185_103
; %bb.100:                              ;   in Loop: Header=BB185_67 Depth=1
	s_waitcnt vmcnt(11)
	v_mov_b32_e32 v21, v11
	s_mov_b32 s15, exec_lo
	v_cmpx_o_f32_e32 v11, v11
; %bb.101:                              ;   in Loop: Header=BB185_67 Depth=1
	v_cmp_lt_f32_e32 vcc_lo, v9, v11
	v_cndmask_b32_e32 v21, v9, v11, vcc_lo
; %bb.102:                              ;   in Loop: Header=BB185_67 Depth=1
	s_or_b32 exec_lo, exec_lo, s15
	s_delay_alu instid0(VALU_DEP_1)
	v_mov_b32_e32 v9, v21
.LBB185_103:                            ;   in Loop: Header=BB185_67 Depth=1
	s_or_b32 exec_lo, exec_lo, s14
	s_delay_alu instid0(SALU_CYCLE_1) | instskip(NEXT) | instid1(VALU_DEP_1)
	s_mov_b32 s14, exec_lo
	v_cmpx_o_f32_e32 v9, v9
	s_cbranch_execz .LBB185_107
; %bb.104:                              ;   in Loop: Header=BB185_67 Depth=1
	s_waitcnt vmcnt(7)
	v_mov_b32_e32 v21, v10
	s_mov_b32 s15, exec_lo
	v_cmpx_o_f32_e32 v10, v10
; %bb.105:                              ;   in Loop: Header=BB185_67 Depth=1
	v_cmp_lt_f32_e32 vcc_lo, v9, v10
	v_cndmask_b32_e32 v21, v9, v10, vcc_lo
; %bb.106:                              ;   in Loop: Header=BB185_67 Depth=1
	s_or_b32 exec_lo, exec_lo, s15
	s_delay_alu instid0(VALU_DEP_1)
	v_mov_b32_e32 v9, v21
.LBB185_107:                            ;   in Loop: Header=BB185_67 Depth=1
	s_or_b32 exec_lo, exec_lo, s14
	s_delay_alu instid0(SALU_CYCLE_1) | instskip(NEXT) | instid1(VALU_DEP_1)
	;; [unrolled: 18-line block ×7, first 2 shown]
	s_mov_b32 s14, exec_lo
	v_cmpx_o_f32_e32 v9, v9
	s_cbranch_execz .LBB185_131
; %bb.128:                              ;   in Loop: Header=BB185_67 Depth=1
	s_waitcnt vmcnt(0)
	v_mov_b32_e32 v21, v3
	s_mov_b32 s15, exec_lo
	v_cmpx_o_f32_e32 v3, v3
; %bb.129:                              ;   in Loop: Header=BB185_67 Depth=1
	v_cmp_lt_f32_e32 vcc_lo, v9, v3
	v_cndmask_b32_e32 v21, v9, v3, vcc_lo
; %bb.130:                              ;   in Loop: Header=BB185_67 Depth=1
	s_or_b32 exec_lo, exec_lo, s15
	s_delay_alu instid0(VALU_DEP_1)
	v_mov_b32_e32 v9, v21
.LBB185_131:                            ;   in Loop: Header=BB185_67 Depth=1
	s_or_b32 exec_lo, exec_lo, s14
	s_add_u32 s14, s0, 0x1000
	s_addc_u32 s15, s1, 0
	s_add_u32 s0, s0, 0x2000
	s_addc_u32 s1, s1, 0
	v_add_co_u32 v1, vcc_lo, 0x4000, v1
	v_cmp_lt_i64_e64 s0, s[0:1], s[10:11]
	v_add_co_ci_u32_e32 v2, vcc_lo, 0, v2, vcc_lo
	s_delay_alu instid0(VALU_DEP_2)
	s_and_b32 vcc_lo, exec_lo, s0
	s_cbranch_vccz .LBB185_135
; %bb.132:                              ;   in Loop: Header=BB185_67 Depth=1
	s_mov_b64 s[0:1], s[14:15]
	s_branch .LBB185_67
.LBB185_133:
                                        ; implicit-def: $vgpr2
	s_cbranch_execnz .LBB185_268
	s_branch .LBB185_366
.LBB185_134:
	s_mov_b64 s[14:15], s[0:1]
.LBB185_135:
	s_delay_alu instid0(SALU_CYCLE_1)
	s_lshl_b64 s[0:1], s[14:15], 2
	s_sub_i32 s18, s10, s14
	s_add_u32 s0, s4, s0
	s_addc_u32 s1, s5, s1
	s_mov_b32 s14, exec_lo
	v_cmpx_gt_u32_e64 s18, v0
	s_cbranch_execz .LBB185_137
; %bb.136:
	global_load_b32 v19, v20, s[0:1]
.LBB185_137:
	s_or_b32 exec_lo, exec_lo, s14
	v_or_b32_e32 v32, 0x100, v0
	s_mov_b32 s14, exec_lo
	s_delay_alu instid0(VALU_DEP_1)
	v_cmpx_gt_u32_e64 s18, v32
	s_cbranch_execz .LBB185_139
; %bb.138:
	global_load_b32 v18, v20, s[0:1] offset:1024
.LBB185_139:
	s_or_b32 exec_lo, exec_lo, s14
	v_or_b32_e32 v31, 0x200, v0
	s_mov_b32 s14, exec_lo
	s_delay_alu instid0(VALU_DEP_1)
	v_cmpx_gt_u32_e64 s18, v31
	s_cbranch_execz .LBB185_141
; %bb.140:
	global_load_b32 v17, v20, s[0:1] offset:2048
.LBB185_141:
	;; [unrolled: 9-line block ×3, first 2 shown]
	s_or_b32 exec_lo, exec_lo, s14
	v_or_b32_e32 v29, 0x400, v0
	s_mov_b32 s14, exec_lo
	s_delay_alu instid0(VALU_DEP_1)
	v_cmpx_gt_u32_e64 s18, v29
	s_cbranch_execz .LBB185_145
; %bb.144:
	v_lshlrev_b32_e32 v1, 2, v29
	global_load_b32 v16, v1, s[0:1]
.LBB185_145:
	s_or_b32 exec_lo, exec_lo, s14
	v_or_b32_e32 v28, 0x500, v0
	s_mov_b32 s14, exec_lo
	s_delay_alu instid0(VALU_DEP_1)
	v_cmpx_gt_u32_e64 s18, v28
	s_cbranch_execz .LBB185_147
; %bb.146:
	v_lshlrev_b32_e32 v1, 2, v28
	global_load_b32 v14, v1, s[0:1]
.LBB185_147:
	;; [unrolled: 10-line block ×11, first 2 shown]
	s_or_b32 exec_lo, exec_lo, s14
	v_or_b32_e32 v1, 0xf00, v0
	s_mov_b32 s14, exec_lo
	s_delay_alu instid0(VALU_DEP_1)
	v_cmpx_gt_u32_e64 s18, v1
	s_cbranch_execz .LBB185_167
; %bb.166:
	s_waitcnt vmcnt(0)
	v_lshlrev_b32_e32 v3, 2, v1
	global_load_b32 v3, v3, s[0:1]
.LBB185_167:
	s_or_b32 exec_lo, exec_lo, s14
	v_cmp_gt_u32_e32 vcc_lo, s18, v0
	v_cmp_o_f32_e64 s0, v9, v9
	s_delay_alu instid0(VALU_DEP_1) | instskip(NEXT) | instid1(SALU_CYCLE_1)
	s_and_b32 s1, vcc_lo, s0
	s_and_saveexec_b32 s0, s1
	s_cbranch_execz .LBB185_171
; %bb.168:
	s_mov_b32 s1, exec_lo
	s_waitcnt vmcnt(0)
	v_cmpx_o_f32_e32 v19, v19
; %bb.169:
	v_cmp_lt_f32_e32 vcc_lo, v9, v19
	v_cndmask_b32_e32 v19, v9, v19, vcc_lo
; %bb.170:
	s_or_b32 exec_lo, exec_lo, s1
	s_delay_alu instid0(VALU_DEP_1)
	v_mov_b32_e32 v9, v19
.LBB185_171:
	s_or_b32 exec_lo, exec_lo, s0
	v_cmp_gt_u32_e32 vcc_lo, s18, v32
	s_delay_alu instid0(VALU_DEP_2) | instskip(NEXT) | instid1(VALU_DEP_1)
	v_cmp_o_f32_e64 s0, v9, v9
	s_and_b32 s1, vcc_lo, s0
	s_delay_alu instid0(SALU_CYCLE_1)
	s_and_saveexec_b32 s0, s1
	s_cbranch_execz .LBB185_175
; %bb.172:
	s_mov_b32 s1, exec_lo
	s_waitcnt vmcnt(0)
	v_cmpx_o_f32_e32 v18, v18
; %bb.173:
	v_cmp_lt_f32_e32 vcc_lo, v9, v18
	v_cndmask_b32_e32 v18, v9, v18, vcc_lo
; %bb.174:
	s_or_b32 exec_lo, exec_lo, s1
	s_delay_alu instid0(VALU_DEP_1)
	v_mov_b32_e32 v9, v18
.LBB185_175:
	s_or_b32 exec_lo, exec_lo, s0
	v_cmp_gt_u32_e32 vcc_lo, s18, v31
	s_delay_alu instid0(VALU_DEP_2) | instskip(NEXT) | instid1(VALU_DEP_1)
	v_cmp_o_f32_e64 s0, v9, v9
	s_and_b32 s1, vcc_lo, s0
	s_delay_alu instid0(SALU_CYCLE_1)
	s_and_saveexec_b32 s0, s1
	s_cbranch_execz .LBB185_179
; %bb.176:
	s_mov_b32 s1, exec_lo
	s_waitcnt vmcnt(0)
	v_cmpx_o_f32_e32 v17, v17
; %bb.177:
	v_cmp_lt_f32_e32 vcc_lo, v9, v17
	v_cndmask_b32_e32 v17, v9, v17, vcc_lo
; %bb.178:
	s_or_b32 exec_lo, exec_lo, s1
	s_delay_alu instid0(VALU_DEP_1)
	v_mov_b32_e32 v9, v17
.LBB185_179:
	s_or_b32 exec_lo, exec_lo, s0
	v_cmp_gt_u32_e32 vcc_lo, s18, v30
	s_delay_alu instid0(VALU_DEP_2) | instskip(NEXT) | instid1(VALU_DEP_1)
	v_cmp_o_f32_e64 s0, v9, v9
	s_and_b32 s1, vcc_lo, s0
	s_delay_alu instid0(SALU_CYCLE_1)
	s_and_saveexec_b32 s0, s1
	s_cbranch_execz .LBB185_183
; %bb.180:
	s_mov_b32 s1, exec_lo
	s_waitcnt vmcnt(0)
	v_cmpx_o_f32_e32 v15, v15
; %bb.181:
	v_cmp_lt_f32_e32 vcc_lo, v9, v15
	v_cndmask_b32_e32 v15, v9, v15, vcc_lo
; %bb.182:
	s_or_b32 exec_lo, exec_lo, s1
	s_delay_alu instid0(VALU_DEP_1)
	v_mov_b32_e32 v9, v15
.LBB185_183:
	s_or_b32 exec_lo, exec_lo, s0
	v_cmp_gt_u32_e32 vcc_lo, s18, v29
	s_delay_alu instid0(VALU_DEP_2) | instskip(NEXT) | instid1(VALU_DEP_1)
	v_cmp_o_f32_e64 s0, v9, v9
	s_and_b32 s1, vcc_lo, s0
	s_delay_alu instid0(SALU_CYCLE_1)
	s_and_saveexec_b32 s0, s1
	s_cbranch_execz .LBB185_187
; %bb.184:
	s_mov_b32 s1, exec_lo
	s_waitcnt vmcnt(0)
	v_cmpx_o_f32_e32 v16, v16
; %bb.185:
	v_cmp_lt_f32_e32 vcc_lo, v9, v16
	v_cndmask_b32_e32 v16, v9, v16, vcc_lo
; %bb.186:
	s_or_b32 exec_lo, exec_lo, s1
	s_delay_alu instid0(VALU_DEP_1)
	v_mov_b32_e32 v9, v16
.LBB185_187:
	s_or_b32 exec_lo, exec_lo, s0
	v_cmp_gt_u32_e32 vcc_lo, s18, v28
	s_delay_alu instid0(VALU_DEP_2) | instskip(NEXT) | instid1(VALU_DEP_1)
	v_cmp_o_f32_e64 s0, v9, v9
	s_and_b32 s1, vcc_lo, s0
	s_delay_alu instid0(SALU_CYCLE_1)
	s_and_saveexec_b32 s0, s1
	s_cbranch_execz .LBB185_191
; %bb.188:
	s_mov_b32 s1, exec_lo
	s_waitcnt vmcnt(0)
	v_cmpx_o_f32_e32 v14, v14
; %bb.189:
	v_cmp_lt_f32_e32 vcc_lo, v9, v14
	v_cndmask_b32_e32 v14, v9, v14, vcc_lo
; %bb.190:
	s_or_b32 exec_lo, exec_lo, s1
	s_delay_alu instid0(VALU_DEP_1)
	v_mov_b32_e32 v9, v14
.LBB185_191:
	s_or_b32 exec_lo, exec_lo, s0
	v_cmp_gt_u32_e32 vcc_lo, s18, v27
	s_delay_alu instid0(VALU_DEP_2) | instskip(NEXT) | instid1(VALU_DEP_1)
	v_cmp_o_f32_e64 s0, v9, v9
	s_and_b32 s1, vcc_lo, s0
	s_delay_alu instid0(SALU_CYCLE_1)
	s_and_saveexec_b32 s0, s1
	s_cbranch_execz .LBB185_195
; %bb.192:
	s_mov_b32 s1, exec_lo
	s_waitcnt vmcnt(0)
	v_cmpx_o_f32_e32 v13, v13
; %bb.193:
	v_cmp_lt_f32_e32 vcc_lo, v9, v13
	v_cndmask_b32_e32 v13, v9, v13, vcc_lo
; %bb.194:
	s_or_b32 exec_lo, exec_lo, s1
	s_delay_alu instid0(VALU_DEP_1)
	v_mov_b32_e32 v9, v13
.LBB185_195:
	s_or_b32 exec_lo, exec_lo, s0
	v_cmp_gt_u32_e32 vcc_lo, s18, v26
	s_delay_alu instid0(VALU_DEP_2) | instskip(NEXT) | instid1(VALU_DEP_1)
	v_cmp_o_f32_e64 s0, v9, v9
	s_and_b32 s1, vcc_lo, s0
	s_delay_alu instid0(SALU_CYCLE_1)
	s_and_saveexec_b32 s0, s1
	s_cbranch_execz .LBB185_199
; %bb.196:
	s_mov_b32 s1, exec_lo
	s_waitcnt vmcnt(0)
	v_cmpx_o_f32_e32 v12, v12
; %bb.197:
	v_cmp_lt_f32_e32 vcc_lo, v9, v12
	v_cndmask_b32_e32 v12, v9, v12, vcc_lo
; %bb.198:
	s_or_b32 exec_lo, exec_lo, s1
	s_delay_alu instid0(VALU_DEP_1)
	v_mov_b32_e32 v9, v12
.LBB185_199:
	s_or_b32 exec_lo, exec_lo, s0
	v_cmp_gt_u32_e32 vcc_lo, s18, v25
	s_delay_alu instid0(VALU_DEP_2) | instskip(NEXT) | instid1(VALU_DEP_1)
	v_cmp_o_f32_e64 s0, v9, v9
	s_and_b32 s1, vcc_lo, s0
	s_delay_alu instid0(SALU_CYCLE_1)
	s_and_saveexec_b32 s0, s1
	s_cbranch_execz .LBB185_203
; %bb.200:
	s_mov_b32 s1, exec_lo
	s_waitcnt vmcnt(0)
	v_cmpx_o_f32_e32 v11, v11
; %bb.201:
	v_cmp_lt_f32_e32 vcc_lo, v9, v11
	v_cndmask_b32_e32 v11, v9, v11, vcc_lo
; %bb.202:
	s_or_b32 exec_lo, exec_lo, s1
	s_delay_alu instid0(VALU_DEP_1)
	v_mov_b32_e32 v9, v11
.LBB185_203:
	s_or_b32 exec_lo, exec_lo, s0
	v_cmp_gt_u32_e32 vcc_lo, s18, v24
	s_delay_alu instid0(VALU_DEP_2) | instskip(NEXT) | instid1(VALU_DEP_1)
	v_cmp_o_f32_e64 s0, v9, v9
	s_and_b32 s1, vcc_lo, s0
	s_delay_alu instid0(SALU_CYCLE_1)
	s_and_saveexec_b32 s0, s1
	s_cbranch_execz .LBB185_207
; %bb.204:
	s_mov_b32 s1, exec_lo
	s_waitcnt vmcnt(0)
	v_cmpx_o_f32_e32 v10, v10
; %bb.205:
	v_cmp_lt_f32_e32 vcc_lo, v9, v10
	v_cndmask_b32_e32 v10, v9, v10, vcc_lo
; %bb.206:
	s_or_b32 exec_lo, exec_lo, s1
	s_delay_alu instid0(VALU_DEP_1)
	v_mov_b32_e32 v9, v10
.LBB185_207:
	s_or_b32 exec_lo, exec_lo, s0
	v_cmp_gt_u32_e32 vcc_lo, s18, v23
	s_delay_alu instid0(VALU_DEP_2) | instskip(NEXT) | instid1(VALU_DEP_1)
	v_cmp_o_f32_e64 s0, v9, v9
	s_and_b32 s1, vcc_lo, s0
	s_delay_alu instid0(SALU_CYCLE_1)
	s_and_saveexec_b32 s0, s1
	s_cbranch_execz .LBB185_211
; %bb.208:
	s_mov_b32 s1, exec_lo
	s_waitcnt vmcnt(0)
	v_cmpx_o_f32_e32 v8, v8
; %bb.209:
	v_cmp_lt_f32_e32 vcc_lo, v9, v8
	v_cndmask_b32_e32 v8, v9, v8, vcc_lo
; %bb.210:
	s_or_b32 exec_lo, exec_lo, s1
	s_delay_alu instid0(VALU_DEP_1)
	v_mov_b32_e32 v9, v8
.LBB185_211:
	s_or_b32 exec_lo, exec_lo, s0
	v_cmp_gt_u32_e32 vcc_lo, s18, v22
	s_delay_alu instid0(VALU_DEP_2) | instskip(NEXT) | instid1(VALU_DEP_1)
	v_cmp_o_f32_e64 s0, v9, v9
	s_and_b32 s1, vcc_lo, s0
	s_delay_alu instid0(SALU_CYCLE_1)
	s_and_saveexec_b32 s0, s1
	s_cbranch_execz .LBB185_215
; %bb.212:
	s_mov_b32 s1, exec_lo
	s_waitcnt vmcnt(0)
	v_cmpx_o_f32_e32 v7, v7
; %bb.213:
	v_cmp_lt_f32_e32 vcc_lo, v9, v7
	v_cndmask_b32_e32 v7, v9, v7, vcc_lo
; %bb.214:
	s_or_b32 exec_lo, exec_lo, s1
	s_delay_alu instid0(VALU_DEP_1)
	v_mov_b32_e32 v9, v7
.LBB185_215:
	s_or_b32 exec_lo, exec_lo, s0
	v_cmp_gt_u32_e32 vcc_lo, s18, v21
	s_delay_alu instid0(VALU_DEP_2) | instskip(NEXT) | instid1(VALU_DEP_1)
	v_cmp_o_f32_e64 s0, v9, v9
	s_and_b32 s1, vcc_lo, s0
	s_delay_alu instid0(SALU_CYCLE_1)
	s_and_saveexec_b32 s0, s1
	s_cbranch_execz .LBB185_219
; %bb.216:
	s_mov_b32 s1, exec_lo
	s_waitcnt vmcnt(0)
	v_cmpx_o_f32_e32 v6, v6
; %bb.217:
	v_cmp_lt_f32_e32 vcc_lo, v9, v6
	v_cndmask_b32_e32 v6, v9, v6, vcc_lo
; %bb.218:
	s_or_b32 exec_lo, exec_lo, s1
	s_delay_alu instid0(VALU_DEP_1)
	v_mov_b32_e32 v9, v6
.LBB185_219:
	s_or_b32 exec_lo, exec_lo, s0
	v_cmp_gt_u32_e32 vcc_lo, s18, v20
	s_delay_alu instid0(VALU_DEP_2) | instskip(NEXT) | instid1(VALU_DEP_1)
	v_cmp_o_f32_e64 s0, v9, v9
	s_and_b32 s1, vcc_lo, s0
	s_delay_alu instid0(SALU_CYCLE_1)
	s_and_saveexec_b32 s0, s1
	s_cbranch_execz .LBB185_223
; %bb.220:
	s_mov_b32 s1, exec_lo
	s_waitcnt vmcnt(0)
	v_cmpx_o_f32_e32 v5, v5
; %bb.221:
	v_cmp_lt_f32_e32 vcc_lo, v9, v5
	v_cndmask_b32_e32 v5, v9, v5, vcc_lo
; %bb.222:
	s_or_b32 exec_lo, exec_lo, s1
	s_delay_alu instid0(VALU_DEP_1)
	v_mov_b32_e32 v9, v5
.LBB185_223:
	s_or_b32 exec_lo, exec_lo, s0
	v_cmp_gt_u32_e32 vcc_lo, s18, v2
	s_delay_alu instid0(VALU_DEP_2) | instskip(NEXT) | instid1(VALU_DEP_1)
	v_cmp_o_f32_e64 s0, v9, v9
	s_and_b32 s1, vcc_lo, s0
	s_delay_alu instid0(SALU_CYCLE_1)
	s_and_saveexec_b32 s0, s1
	s_cbranch_execz .LBB185_227
; %bb.224:
	s_mov_b32 s1, exec_lo
	s_waitcnt vmcnt(0)
	v_cmpx_o_f32_e32 v4, v4
; %bb.225:
	v_cmp_lt_f32_e32 vcc_lo, v9, v4
	v_cndmask_b32_e32 v4, v9, v4, vcc_lo
; %bb.226:
	s_or_b32 exec_lo, exec_lo, s1
	s_delay_alu instid0(VALU_DEP_1)
	v_mov_b32_e32 v9, v4
.LBB185_227:
	s_or_b32 exec_lo, exec_lo, s0
	v_cmp_gt_u32_e32 vcc_lo, s18, v1
	s_delay_alu instid0(VALU_DEP_2) | instskip(NEXT) | instid1(VALU_DEP_1)
	v_cmp_o_f32_e64 s0, v9, v9
	s_and_b32 s1, vcc_lo, s0
	s_delay_alu instid0(SALU_CYCLE_1)
	s_and_saveexec_b32 s0, s1
	s_cbranch_execz .LBB185_231
; %bb.228:
	s_mov_b32 s1, exec_lo
	s_waitcnt vmcnt(0)
	v_cmpx_o_f32_e32 v3, v3
; %bb.229:
	v_cmp_lt_f32_e32 vcc_lo, v9, v3
	v_cndmask_b32_e32 v3, v9, v3, vcc_lo
; %bb.230:
	s_or_b32 exec_lo, exec_lo, s1
	s_delay_alu instid0(VALU_DEP_1)
	v_mov_b32_e32 v9, v3
.LBB185_231:
	s_or_b32 exec_lo, exec_lo, s0
	s_delay_alu instid0(VALU_DEP_1) | instskip(SKIP_1) | instid1(VALU_DEP_1)
	v_mov_b32_dpp v1, v9 quad_perm:[1,0,3,2] row_mask:0xf bank_mask:0xf
	s_mov_b32 s0, exec_lo
	v_cmpx_o_f32_e32 v1, v1
	s_xor_b32 s0, exec_lo, s0
	s_cbranch_execz .LBB185_235
; %bb.232:
	s_mov_b32 s1, exec_lo
	v_cmpx_o_f32_e32 v9, v9
; %bb.233:
	v_cmp_gt_f32_e32 vcc_lo, v9, v1
	v_cndmask_b32_e32 v9, v1, v9, vcc_lo
; %bb.234:
	s_or_b32 exec_lo, exec_lo, s1
	s_delay_alu instid0(VALU_DEP_1)
	v_mov_b32_e32 v1, v9
.LBB185_235:
	s_or_b32 exec_lo, exec_lo, s0
	s_delay_alu instid0(VALU_DEP_1) | instskip(SKIP_1) | instid1(VALU_DEP_1)
	v_mov_b32_dpp v2, v1 quad_perm:[2,3,0,1] row_mask:0xf bank_mask:0xf
	s_mov_b32 s0, exec_lo
	v_cmpx_o_f32_e32 v2, v2
	s_cbranch_execz .LBB185_239
; %bb.236:
	s_mov_b32 s1, exec_lo
	v_cmpx_o_f32_e32 v1, v1
; %bb.237:
	v_cmp_gt_f32_e32 vcc_lo, v1, v2
	v_cndmask_b32_e32 v1, v2, v1, vcc_lo
; %bb.238:
	s_or_b32 exec_lo, exec_lo, s1
	s_delay_alu instid0(VALU_DEP_1)
	v_mov_b32_e32 v2, v1
.LBB185_239:
	s_or_b32 exec_lo, exec_lo, s0
	s_delay_alu instid0(VALU_DEP_1) | instskip(SKIP_1) | instid1(VALU_DEP_1)
	v_mov_b32_dpp v1, v2 row_ror:4 row_mask:0xf bank_mask:0xf
	s_mov_b32 s0, exec_lo
	v_cmpx_o_f32_e32 v1, v1
	s_cbranch_execz .LBB185_243
; %bb.240:
	s_mov_b32 s1, exec_lo
	v_cmpx_o_f32_e32 v2, v2
; %bb.241:
	v_cmp_gt_f32_e32 vcc_lo, v2, v1
	v_cndmask_b32_e32 v2, v1, v2, vcc_lo
; %bb.242:
	s_or_b32 exec_lo, exec_lo, s1
	s_delay_alu instid0(VALU_DEP_1)
	v_mov_b32_e32 v1, v2
.LBB185_243:
	s_or_b32 exec_lo, exec_lo, s0
	s_delay_alu instid0(VALU_DEP_1) | instskip(SKIP_1) | instid1(VALU_DEP_1)
	v_mov_b32_dpp v2, v1 row_ror:8 row_mask:0xf bank_mask:0xf
	s_mov_b32 s0, exec_lo
	v_cmpx_o_f32_e32 v2, v2
	s_cbranch_execz .LBB185_247
; %bb.244:
	s_mov_b32 s1, exec_lo
	v_cmpx_o_f32_e32 v1, v1
; %bb.245:
	v_cmp_gt_f32_e32 vcc_lo, v1, v2
	v_cndmask_b32_e32 v1, v2, v1, vcc_lo
; %bb.246:
	s_or_b32 exec_lo, exec_lo, s1
	s_delay_alu instid0(VALU_DEP_1)
	v_mov_b32_e32 v2, v1
.LBB185_247:
	s_or_b32 exec_lo, exec_lo, s0
	ds_swizzle_b32 v1, v2 offset:swizzle(BROADCAST,32,15)
	s_mov_b32 s0, exec_lo
	s_waitcnt lgkmcnt(0)
	v_cmpx_o_f32_e32 v1, v1
	s_cbranch_execz .LBB185_251
; %bb.248:
	s_mov_b32 s1, exec_lo
	v_cmpx_o_f32_e32 v2, v2
; %bb.249:
	v_cmp_gt_f32_e32 vcc_lo, v2, v1
	v_cndmask_b32_e32 v2, v1, v2, vcc_lo
; %bb.250:
	s_or_b32 exec_lo, exec_lo, s1
	s_delay_alu instid0(VALU_DEP_1)
	v_mov_b32_e32 v1, v2
.LBB185_251:
	s_or_b32 exec_lo, exec_lo, s0
	v_mov_b32_e32 v2, 0
	s_mov_b32 s0, exec_lo
	ds_bpermute_b32 v2, v2, v1 offset:124
	v_mbcnt_lo_u32_b32 v1, -1, 0
	s_delay_alu instid0(VALU_DEP_1)
	v_cmpx_eq_u32_e32 0, v1
	s_cbranch_execz .LBB185_253
; %bb.252:
	s_waitcnt vmcnt(0)
	v_lshrrev_b32_e32 v3, 3, v0
	s_delay_alu instid0(VALU_DEP_1)
	v_and_b32_e32 v3, 28, v3
	s_waitcnt lgkmcnt(0)
	ds_store_b32 v3, v2
.LBB185_253:
	s_or_b32 exec_lo, exec_lo, s0
	s_delay_alu instid0(SALU_CYCLE_1)
	s_mov_b32 s0, exec_lo
	s_waitcnt vmcnt(0) lgkmcnt(0)
	s_barrier
	buffer_gl0_inv
	v_cmpx_gt_u32_e32 32, v0
	s_cbranch_execz .LBB185_267
; %bb.254:
	v_and_b32_e32 v3, 7, v1
	s_mov_b32 s1, exec_lo
	s_delay_alu instid0(VALU_DEP_1) | instskip(SKIP_3) | instid1(VALU_DEP_1)
	v_lshlrev_b32_e32 v2, 2, v3
	v_cmp_ne_u32_e32 vcc_lo, 7, v3
	ds_load_b32 v2, v2
	v_add_co_ci_u32_e32 v4, vcc_lo, 0, v1, vcc_lo
	v_lshlrev_b32_e32 v4, 2, v4
	s_waitcnt lgkmcnt(0)
	ds_bpermute_b32 v4, v4, v2
	v_cmpx_o_f32_e32 v2, v2
	s_cbranch_execz .LBB185_258
; %bb.255:
	s_mov_b32 s14, exec_lo
	s_waitcnt lgkmcnt(0)
	v_cmpx_o_f32_e32 v4, v4
; %bb.256:
	v_cmp_lt_f32_e32 vcc_lo, v2, v4
	v_cndmask_b32_e32 v4, v2, v4, vcc_lo
; %bb.257:
	s_or_b32 exec_lo, exec_lo, s14
	s_delay_alu instid0(VALU_DEP_1)
	v_mov_b32_e32 v2, v4
.LBB185_258:
	s_or_b32 exec_lo, exec_lo, s1
	v_cmp_gt_u32_e32 vcc_lo, 6, v3
	s_mov_b32 s1, exec_lo
	s_waitcnt lgkmcnt(0)
	v_cndmask_b32_e64 v4, 0, 1, vcc_lo
	s_delay_alu instid0(VALU_DEP_1) | instskip(NEXT) | instid1(VALU_DEP_1)
	v_lshlrev_b32_e32 v4, 1, v4
	v_add_lshl_u32 v4, v4, v1, 2
	ds_bpermute_b32 v4, v4, v2
	v_cmpx_o_f32_e32 v2, v2
	s_cbranch_execz .LBB185_262
; %bb.259:
	s_mov_b32 s14, exec_lo
	s_waitcnt lgkmcnt(0)
	v_cmpx_o_f32_e32 v4, v4
; %bb.260:
	v_cmp_lt_f32_e32 vcc_lo, v2, v4
	v_cndmask_b32_e32 v4, v2, v4, vcc_lo
; %bb.261:
	s_or_b32 exec_lo, exec_lo, s14
	s_delay_alu instid0(VALU_DEP_1)
	v_mov_b32_e32 v2, v4
.LBB185_262:
	s_or_b32 exec_lo, exec_lo, s1
	v_cmp_gt_u32_e32 vcc_lo, 4, v3
	s_mov_b32 s1, exec_lo
	v_cndmask_b32_e64 v3, 0, 1, vcc_lo
	s_delay_alu instid0(VALU_DEP_1) | instskip(NEXT) | instid1(VALU_DEP_1)
	v_lshlrev_b32_e32 v3, 2, v3
	v_add_lshl_u32 v1, v3, v1, 2
	ds_bpermute_b32 v1, v1, v2
	v_cmpx_o_f32_e32 v2, v2
	s_cbranch_execz .LBB185_266
; %bb.263:
	s_mov_b32 s14, exec_lo
	s_waitcnt lgkmcnt(0)
	v_cmpx_o_f32_e32 v1, v1
; %bb.264:
	v_cmp_lt_f32_e32 vcc_lo, v2, v1
	v_cndmask_b32_e32 v1, v2, v1, vcc_lo
; %bb.265:
	s_or_b32 exec_lo, exec_lo, s14
	s_delay_alu instid0(VALU_DEP_1)
	v_mov_b32_e32 v2, v1
.LBB185_266:
	s_or_b32 exec_lo, exec_lo, s1
.LBB185_267:
	s_delay_alu instid0(SALU_CYCLE_1)
	s_or_b32 exec_lo, exec_lo, s0
	s_branch .LBB185_366
.LBB185_268:
	s_sub_i32 s1, s10, s12
	s_mov_b32 s14, exec_lo
                                        ; implicit-def: $vgpr5
	v_cmpx_gt_u32_e64 s1, v0
	s_cbranch_execz .LBB185_278
; %bb.269:
	s_waitcnt lgkmcnt(0)
	v_add_co_u32 v1, s0, s12, v0
	s_delay_alu instid0(VALU_DEP_1) | instskip(NEXT) | instid1(VALU_DEP_1)
	v_add_co_ci_u32_e64 v2, null, s13, 0, s0
	v_lshlrev_b64 v[3:4], 2, v[1:2]
	s_delay_alu instid0(VALU_DEP_1) | instskip(NEXT) | instid1(VALU_DEP_2)
	v_add_co_u32 v3, vcc_lo, s4, v3
	v_add_co_ci_u32_e32 v4, vcc_lo, s5, v4, vcc_lo
	v_add_co_u32 v1, vcc_lo, 0x100, v1
	v_add_co_ci_u32_e32 v2, vcc_lo, 0, v2, vcc_lo
	global_load_b32 v5, v[3:4], off
	s_mov_b32 s4, exec_lo
	v_cmpx_gt_i64_e64 s[10:11], v[1:2]
	s_cbranch_execz .LBB185_277
; %bb.270:
	v_add_co_u32 v3, vcc_lo, 0x400, v3
	v_add_co_ci_u32_e32 v4, vcc_lo, 0, v4, vcc_lo
	s_mov_b32 s5, 0
	s_set_inst_prefetch_distance 0x1
	s_branch .LBB185_273
	.p2align	6
.LBB185_271:                            ;   in Loop: Header=BB185_273 Depth=1
	s_or_b32 exec_lo, exec_lo, s12
	s_delay_alu instid0(VALU_DEP_1)
	v_mov_b32_e32 v5, v6
.LBB185_272:                            ;   in Loop: Header=BB185_273 Depth=1
	s_or_b32 exec_lo, exec_lo, s0
	v_add_co_u32 v1, vcc_lo, 0x100, v1
	v_add_co_ci_u32_e32 v2, vcc_lo, 0, v2, vcc_lo
	v_add_co_u32 v3, s0, 0x400, v3
	s_delay_alu instid0(VALU_DEP_1) | instskip(NEXT) | instid1(VALU_DEP_3)
	v_add_co_ci_u32_e64 v4, s0, 0, v4, s0
	v_cmp_le_i64_e32 vcc_lo, s[10:11], v[1:2]
	s_or_b32 s5, vcc_lo, s5
	s_delay_alu instid0(SALU_CYCLE_1)
	s_and_not1_b32 exec_lo, exec_lo, s5
	s_cbranch_execz .LBB185_276
.LBB185_273:                            ; =>This Inner Loop Header: Depth=1
	s_mov_b32 s0, exec_lo
	s_waitcnt vmcnt(0)
	v_cmpx_o_f32_e32 v5, v5
	s_cbranch_execz .LBB185_272
; %bb.274:                              ;   in Loop: Header=BB185_273 Depth=1
	global_load_b32 v6, v[3:4], off
	s_mov_b32 s12, exec_lo
	s_waitcnt vmcnt(0)
	v_cmpx_o_f32_e32 v6, v6
	s_cbranch_execz .LBB185_271
; %bb.275:                              ;   in Loop: Header=BB185_273 Depth=1
	v_cmp_lt_f32_e32 vcc_lo, v5, v6
	v_cndmask_b32_e32 v6, v5, v6, vcc_lo
	s_branch .LBB185_271
.LBB185_276:
	s_set_inst_prefetch_distance 0x2
	s_or_b32 exec_lo, exec_lo, s5
.LBB185_277:
	s_delay_alu instid0(SALU_CYCLE_1)
	s_or_b32 exec_lo, exec_lo, s4
.LBB185_278:
	s_delay_alu instid0(SALU_CYCLE_1)
	s_or_b32 exec_lo, exec_lo, s14
	v_lshrrev_b32_e32 v3, 5, v0
	s_waitcnt lgkmcnt(0)
	v_mbcnt_lo_u32_b32 v1, -1, 0
	s_cmpk_lt_u32 s1, 0x100
	s_mov_b32 s0, -1
	s_cbranch_scc0 .LBB185_328
; %bb.279:
	s_delay_alu instid0(VALU_DEP_1) | instskip(SKIP_1) | instid1(VALU_DEP_1)
	v_cmp_ne_u32_e32 vcc_lo, 31, v1
	v_add_co_ci_u32_e32 v2, vcc_lo, 0, v1, vcc_lo
	v_lshlrev_b32_e32 v2, 2, v2
	s_waitcnt vmcnt(0)
	ds_bpermute_b32 v6, v2, v5
	v_and_b32_e32 v2, 0xe0, v0
	s_delay_alu instid0(VALU_DEP_1) | instskip(SKIP_1) | instid1(VALU_DEP_1)
	v_sub_nc_u32_e64 v4, s1, v2 clamp
	v_add_nc_u32_e32 v2, 1, v1
	v_cmp_lt_u32_e32 vcc_lo, v2, v4
	v_mov_b32_e32 v2, v5
	s_and_saveexec_b32 s0, vcc_lo
	s_cbranch_execz .LBB185_285
; %bb.280:
	v_mov_b32_e32 v2, v5
	s_mov_b32 s4, exec_lo
	v_cmpx_o_f32_e32 v5, v5
	s_cbranch_execz .LBB185_284
; %bb.281:
	s_mov_b32 s5, exec_lo
	s_waitcnt lgkmcnt(0)
	v_cmpx_o_f32_e32 v6, v6
; %bb.282:
	v_cmp_lt_f32_e32 vcc_lo, v5, v6
	v_cndmask_b32_e32 v6, v5, v6, vcc_lo
; %bb.283:
	s_or_b32 exec_lo, exec_lo, s5
	s_delay_alu instid0(VALU_DEP_1)
	v_mov_b32_e32 v2, v6
.LBB185_284:
	s_or_b32 exec_lo, exec_lo, s4
.LBB185_285:
	s_delay_alu instid0(SALU_CYCLE_1)
	s_or_b32 exec_lo, exec_lo, s0
	v_cmp_gt_u32_e32 vcc_lo, 30, v1
	v_add_nc_u32_e32 v7, 2, v1
	s_mov_b32 s0, exec_lo
	s_waitcnt lgkmcnt(0)
	v_cndmask_b32_e64 v6, 0, 1, vcc_lo
	s_delay_alu instid0(VALU_DEP_1) | instskip(NEXT) | instid1(VALU_DEP_1)
	v_lshlrev_b32_e32 v6, 1, v6
	v_add_lshl_u32 v6, v6, v1, 2
	ds_bpermute_b32 v6, v6, v2
	v_cmpx_lt_u32_e64 v7, v4
	s_cbranch_execz .LBB185_291
; %bb.286:
	s_mov_b32 s4, exec_lo
	v_cmpx_o_f32_e32 v2, v2
	s_cbranch_execz .LBB185_290
; %bb.287:
	s_mov_b32 s5, exec_lo
	s_waitcnt lgkmcnt(0)
	v_cmpx_o_f32_e32 v6, v6
; %bb.288:
	v_cmp_lt_f32_e32 vcc_lo, v2, v6
	v_cndmask_b32_e32 v6, v2, v6, vcc_lo
; %bb.289:
	s_or_b32 exec_lo, exec_lo, s5
	s_delay_alu instid0(VALU_DEP_1)
	v_mov_b32_e32 v2, v6
.LBB185_290:
	s_or_b32 exec_lo, exec_lo, s4
.LBB185_291:
	s_delay_alu instid0(SALU_CYCLE_1)
	s_or_b32 exec_lo, exec_lo, s0
	v_cmp_gt_u32_e32 vcc_lo, 28, v1
	v_add_nc_u32_e32 v7, 4, v1
	s_mov_b32 s0, exec_lo
	s_waitcnt lgkmcnt(0)
	v_cndmask_b32_e64 v6, 0, 1, vcc_lo
	s_delay_alu instid0(VALU_DEP_1) | instskip(NEXT) | instid1(VALU_DEP_1)
	v_lshlrev_b32_e32 v6, 2, v6
	v_add_lshl_u32 v6, v6, v1, 2
	ds_bpermute_b32 v6, v6, v2
	v_cmpx_lt_u32_e64 v7, v4
	s_cbranch_execz .LBB185_297
; %bb.292:
	s_mov_b32 s4, exec_lo
	v_cmpx_o_f32_e32 v2, v2
	s_cbranch_execz .LBB185_296
; %bb.293:
	s_mov_b32 s5, exec_lo
	s_waitcnt lgkmcnt(0)
	v_cmpx_o_f32_e32 v6, v6
; %bb.294:
	v_cmp_lt_f32_e32 vcc_lo, v2, v6
	v_cndmask_b32_e32 v6, v2, v6, vcc_lo
; %bb.295:
	s_or_b32 exec_lo, exec_lo, s5
	s_delay_alu instid0(VALU_DEP_1)
	v_mov_b32_e32 v2, v6
.LBB185_296:
	s_or_b32 exec_lo, exec_lo, s4
.LBB185_297:
	;; [unrolled: 31-line block ×3, first 2 shown]
	s_delay_alu instid0(SALU_CYCLE_1)
	s_or_b32 exec_lo, exec_lo, s0
	v_cmp_gt_u32_e32 vcc_lo, 16, v1
	v_add_nc_u32_e32 v7, 16, v1
	v_cmp_o_f32_e64 s0, v2, v2
	s_waitcnt lgkmcnt(0)
	v_cndmask_b32_e64 v6, 0, 1, vcc_lo
	s_delay_alu instid0(VALU_DEP_3) | instskip(NEXT) | instid1(VALU_DEP_2)
	v_cmp_lt_u32_e32 vcc_lo, v7, v4
	v_lshlrev_b32_e32 v6, 4, v6
	s_and_b32 s4, vcc_lo, s0
	s_delay_alu instid0(VALU_DEP_1)
	v_add_lshl_u32 v6, v6, v1, 2
	ds_bpermute_b32 v6, v6, v2
	s_and_saveexec_b32 s0, s4
	s_cbranch_execz .LBB185_307
; %bb.304:
	s_mov_b32 s4, exec_lo
	s_waitcnt lgkmcnt(0)
	v_cmpx_o_f32_e32 v6, v6
; %bb.305:
	v_cmp_lt_f32_e32 vcc_lo, v2, v6
	v_cndmask_b32_e32 v6, v2, v6, vcc_lo
; %bb.306:
	s_or_b32 exec_lo, exec_lo, s4
	s_delay_alu instid0(VALU_DEP_1)
	v_mov_b32_e32 v2, v6
.LBB185_307:
	s_or_b32 exec_lo, exec_lo, s0
	s_delay_alu instid0(SALU_CYCLE_1)
	s_mov_b32 s0, exec_lo
	v_cmpx_eq_u32_e32 0, v1
	s_cbranch_execz .LBB185_309
; %bb.308:
	v_lshlrev_b32_e32 v4, 2, v3
	ds_store_b32 v4, v2
.LBB185_309:
	s_or_b32 exec_lo, exec_lo, s0
	s_delay_alu instid0(SALU_CYCLE_1)
	s_mov_b32 s4, exec_lo
	s_waitcnt lgkmcnt(0)
	s_barrier
	buffer_gl0_inv
	v_cmpx_gt_u32_e32 8, v0
	s_cbranch_execz .LBB185_327
; %bb.310:
	v_lshlrev_b32_e32 v2, 2, v1
	v_and_b32_e32 v4, 7, v1
	s_add_i32 s1, s1, 31
	s_delay_alu instid0(SALU_CYCLE_1)
	s_lshr_b32 s0, s1, 5
	ds_load_b32 v2, v2
	v_cmp_ne_u32_e32 vcc_lo, 7, v4
	v_add_nc_u32_e32 v7, 1, v4
	s_mov_b32 s1, exec_lo
	v_add_co_ci_u32_e32 v6, vcc_lo, 0, v1, vcc_lo
	s_delay_alu instid0(VALU_DEP_1)
	v_lshlrev_b32_e32 v6, 2, v6
	s_waitcnt lgkmcnt(0)
	ds_bpermute_b32 v6, v6, v2
	v_cmpx_gt_u32_e64 s0, v7
	s_cbranch_execz .LBB185_316
; %bb.311:
	s_mov_b32 s5, exec_lo
	v_cmpx_o_f32_e32 v2, v2
	s_cbranch_execz .LBB185_315
; %bb.312:
	s_mov_b32 s10, exec_lo
	s_waitcnt lgkmcnt(0)
	v_cmpx_o_f32_e32 v6, v6
; %bb.313:
	v_cmp_lt_f32_e32 vcc_lo, v2, v6
	v_cndmask_b32_e32 v6, v2, v6, vcc_lo
; %bb.314:
	s_or_b32 exec_lo, exec_lo, s10
	s_delay_alu instid0(VALU_DEP_1)
	v_mov_b32_e32 v2, v6
.LBB185_315:
	s_or_b32 exec_lo, exec_lo, s5
.LBB185_316:
	s_delay_alu instid0(SALU_CYCLE_1)
	s_or_b32 exec_lo, exec_lo, s1
	v_cmp_gt_u32_e32 vcc_lo, 6, v4
	v_add_nc_u32_e32 v7, 2, v4
	s_mov_b32 s1, exec_lo
	s_waitcnt lgkmcnt(0)
	v_cndmask_b32_e64 v6, 0, 1, vcc_lo
	s_delay_alu instid0(VALU_DEP_1) | instskip(NEXT) | instid1(VALU_DEP_1)
	v_lshlrev_b32_e32 v6, 1, v6
	v_add_lshl_u32 v6, v6, v1, 2
	ds_bpermute_b32 v6, v6, v2
	v_cmpx_gt_u32_e64 s0, v7
	s_cbranch_execz .LBB185_322
; %bb.317:
	s_mov_b32 s5, exec_lo
	v_cmpx_o_f32_e32 v2, v2
	s_cbranch_execz .LBB185_321
; %bb.318:
	s_mov_b32 s10, exec_lo
	s_waitcnt lgkmcnt(0)
	v_cmpx_o_f32_e32 v6, v6
; %bb.319:
	v_cmp_lt_f32_e32 vcc_lo, v2, v6
	v_cndmask_b32_e32 v6, v2, v6, vcc_lo
; %bb.320:
	s_or_b32 exec_lo, exec_lo, s10
	s_delay_alu instid0(VALU_DEP_1)
	v_mov_b32_e32 v2, v6
.LBB185_321:
	s_or_b32 exec_lo, exec_lo, s5
.LBB185_322:
	s_delay_alu instid0(SALU_CYCLE_1) | instskip(SKIP_4) | instid1(VALU_DEP_2)
	s_or_b32 exec_lo, exec_lo, s1
	v_cmp_gt_u32_e32 vcc_lo, 4, v4
	v_add_nc_u32_e32 v4, 4, v4
	s_waitcnt lgkmcnt(0)
	v_cndmask_b32_e64 v6, 0, 1, vcc_lo
	v_cmp_gt_u32_e32 vcc_lo, s0, v4
	v_cmp_o_f32_e64 s0, v2, v2
	s_delay_alu instid0(VALU_DEP_3) | instskip(NEXT) | instid1(VALU_DEP_2)
	v_lshlrev_b32_e32 v6, 2, v6
	s_and_b32 s1, vcc_lo, s0
	s_delay_alu instid0(VALU_DEP_1)
	v_add_lshl_u32 v6, v6, v1, 2
	ds_bpermute_b32 v6, v6, v2
	s_and_saveexec_b32 s0, s1
	s_cbranch_execz .LBB185_326
; %bb.323:
	s_mov_b32 s1, exec_lo
	s_waitcnt lgkmcnt(0)
	v_cmpx_o_f32_e32 v6, v6
; %bb.324:
	v_cmp_lt_f32_e32 vcc_lo, v2, v6
	v_cndmask_b32_e32 v6, v2, v6, vcc_lo
; %bb.325:
	s_or_b32 exec_lo, exec_lo, s1
	s_delay_alu instid0(VALU_DEP_1)
	v_mov_b32_e32 v2, v6
.LBB185_326:
	s_or_b32 exec_lo, exec_lo, s0
.LBB185_327:
	s_delay_alu instid0(SALU_CYCLE_1)
	s_or_b32 exec_lo, exec_lo, s4
	s_branch .LBB185_366
.LBB185_328:
                                        ; implicit-def: $vgpr2
	s_and_b32 vcc_lo, exec_lo, s0
	s_cbranch_vccz .LBB185_366
; %bb.329:
	s_waitcnt vmcnt(0)
	v_mov_b32_dpp v2, v5 quad_perm:[1,0,3,2] row_mask:0xf bank_mask:0xf
	s_mov_b32 s0, exec_lo
	s_delay_alu instid0(VALU_DEP_1)
	v_cmpx_o_f32_e32 v2, v2
	s_cbranch_execz .LBB185_333
; %bb.330:
	s_mov_b32 s1, exec_lo
	v_cmpx_o_f32_e32 v5, v5
; %bb.331:
	v_cmp_gt_f32_e32 vcc_lo, v5, v2
	v_cndmask_b32_e32 v5, v2, v5, vcc_lo
; %bb.332:
	s_or_b32 exec_lo, exec_lo, s1
	s_delay_alu instid0(VALU_DEP_1)
	v_mov_b32_e32 v2, v5
.LBB185_333:
	s_or_b32 exec_lo, exec_lo, s0
	s_delay_alu instid0(VALU_DEP_1) | instskip(SKIP_1) | instid1(VALU_DEP_1)
	v_mov_b32_dpp v4, v2 quad_perm:[2,3,0,1] row_mask:0xf bank_mask:0xf
	s_mov_b32 s0, exec_lo
	v_cmpx_o_f32_e32 v4, v4
	s_cbranch_execz .LBB185_337
; %bb.334:
	s_mov_b32 s1, exec_lo
	v_cmpx_o_f32_e32 v2, v2
; %bb.335:
	v_cmp_gt_f32_e32 vcc_lo, v2, v4
	v_cndmask_b32_e32 v2, v4, v2, vcc_lo
; %bb.336:
	s_or_b32 exec_lo, exec_lo, s1
	s_delay_alu instid0(VALU_DEP_1)
	v_mov_b32_e32 v4, v2
.LBB185_337:
	s_or_b32 exec_lo, exec_lo, s0
	s_delay_alu instid0(VALU_DEP_1) | instskip(SKIP_1) | instid1(VALU_DEP_1)
	v_mov_b32_dpp v2, v4 row_ror:4 row_mask:0xf bank_mask:0xf
	s_mov_b32 s0, exec_lo
	v_cmpx_o_f32_e32 v2, v2
	s_cbranch_execz .LBB185_341
; %bb.338:
	s_mov_b32 s1, exec_lo
	v_cmpx_o_f32_e32 v4, v4
; %bb.339:
	v_cmp_gt_f32_e32 vcc_lo, v4, v2
	v_cndmask_b32_e32 v4, v2, v4, vcc_lo
; %bb.340:
	s_or_b32 exec_lo, exec_lo, s1
	s_delay_alu instid0(VALU_DEP_1)
	v_mov_b32_e32 v2, v4
.LBB185_341:
	s_or_b32 exec_lo, exec_lo, s0
	s_delay_alu instid0(VALU_DEP_1) | instskip(SKIP_1) | instid1(VALU_DEP_1)
	v_mov_b32_dpp v4, v2 row_ror:8 row_mask:0xf bank_mask:0xf
	s_mov_b32 s0, exec_lo
	v_cmpx_o_f32_e32 v4, v4
	s_cbranch_execz .LBB185_345
; %bb.342:
	s_mov_b32 s1, exec_lo
	v_cmpx_o_f32_e32 v2, v2
; %bb.343:
	v_cmp_gt_f32_e32 vcc_lo, v2, v4
	v_cndmask_b32_e32 v2, v4, v2, vcc_lo
; %bb.344:
	s_or_b32 exec_lo, exec_lo, s1
	s_delay_alu instid0(VALU_DEP_1)
	v_mov_b32_e32 v4, v2
.LBB185_345:
	s_or_b32 exec_lo, exec_lo, s0
	ds_swizzle_b32 v2, v4 offset:swizzle(BROADCAST,32,15)
	s_mov_b32 s0, exec_lo
	s_waitcnt lgkmcnt(0)
	v_cmpx_o_f32_e32 v2, v2
	s_cbranch_execz .LBB185_349
; %bb.346:
	s_mov_b32 s1, exec_lo
	v_cmpx_o_f32_e32 v4, v4
; %bb.347:
	v_cmp_gt_f32_e32 vcc_lo, v4, v2
	v_cndmask_b32_e32 v4, v2, v4, vcc_lo
; %bb.348:
	s_or_b32 exec_lo, exec_lo, s1
	s_delay_alu instid0(VALU_DEP_1)
	v_mov_b32_e32 v2, v4
.LBB185_349:
	s_or_b32 exec_lo, exec_lo, s0
	v_mov_b32_e32 v4, 0
	s_mov_b32 s0, exec_lo
	ds_bpermute_b32 v2, v4, v2 offset:124
	v_cmpx_eq_u32_e32 0, v1
	s_cbranch_execz .LBB185_351
; %bb.350:
	v_lshlrev_b32_e32 v3, 2, v3
	s_waitcnt lgkmcnt(0)
	ds_store_b32 v3, v2
.LBB185_351:
	s_or_b32 exec_lo, exec_lo, s0
	s_delay_alu instid0(SALU_CYCLE_1)
	s_mov_b32 s0, exec_lo
	s_waitcnt lgkmcnt(0)
	s_barrier
	buffer_gl0_inv
	v_cmpx_gt_u32_e32 32, v0
	s_cbranch_execz .LBB185_365
; %bb.352:
	v_and_b32_e32 v3, 7, v1
	s_mov_b32 s1, exec_lo
	s_delay_alu instid0(VALU_DEP_1) | instskip(SKIP_3) | instid1(VALU_DEP_1)
	v_lshlrev_b32_e32 v2, 2, v3
	v_cmp_ne_u32_e32 vcc_lo, 7, v3
	ds_load_b32 v2, v2
	v_add_co_ci_u32_e32 v4, vcc_lo, 0, v1, vcc_lo
	v_lshlrev_b32_e32 v4, 2, v4
	s_waitcnt lgkmcnt(0)
	ds_bpermute_b32 v4, v4, v2
	v_cmpx_o_f32_e32 v2, v2
	s_cbranch_execz .LBB185_356
; %bb.353:
	s_mov_b32 s4, exec_lo
	s_waitcnt lgkmcnt(0)
	v_cmpx_o_f32_e32 v4, v4
; %bb.354:
	v_cmp_lt_f32_e32 vcc_lo, v2, v4
	v_cndmask_b32_e32 v4, v2, v4, vcc_lo
; %bb.355:
	s_or_b32 exec_lo, exec_lo, s4
	s_delay_alu instid0(VALU_DEP_1)
	v_mov_b32_e32 v2, v4
.LBB185_356:
	s_or_b32 exec_lo, exec_lo, s1
	v_cmp_gt_u32_e32 vcc_lo, 6, v3
	s_mov_b32 s1, exec_lo
	s_waitcnt lgkmcnt(0)
	v_cndmask_b32_e64 v4, 0, 1, vcc_lo
	s_delay_alu instid0(VALU_DEP_1) | instskip(NEXT) | instid1(VALU_DEP_1)
	v_lshlrev_b32_e32 v4, 1, v4
	v_add_lshl_u32 v4, v4, v1, 2
	ds_bpermute_b32 v4, v4, v2
	v_cmpx_o_f32_e32 v2, v2
	s_cbranch_execz .LBB185_360
; %bb.357:
	s_mov_b32 s4, exec_lo
	s_waitcnt lgkmcnt(0)
	v_cmpx_o_f32_e32 v4, v4
; %bb.358:
	v_cmp_lt_f32_e32 vcc_lo, v2, v4
	v_cndmask_b32_e32 v4, v2, v4, vcc_lo
; %bb.359:
	s_or_b32 exec_lo, exec_lo, s4
	s_delay_alu instid0(VALU_DEP_1)
	v_mov_b32_e32 v2, v4
.LBB185_360:
	s_or_b32 exec_lo, exec_lo, s1
	v_cmp_gt_u32_e32 vcc_lo, 4, v3
	s_mov_b32 s1, exec_lo
	v_cndmask_b32_e64 v3, 0, 1, vcc_lo
	s_delay_alu instid0(VALU_DEP_1) | instskip(NEXT) | instid1(VALU_DEP_1)
	v_lshlrev_b32_e32 v3, 2, v3
	v_add_lshl_u32 v1, v3, v1, 2
	ds_bpermute_b32 v1, v1, v2
	v_cmpx_o_f32_e32 v2, v2
	s_cbranch_execz .LBB185_364
; %bb.361:
	s_mov_b32 s4, exec_lo
	s_waitcnt lgkmcnt(0)
	v_cmpx_o_f32_e32 v1, v1
; %bb.362:
	v_cmp_lt_f32_e32 vcc_lo, v2, v1
	v_cndmask_b32_e32 v1, v2, v1, vcc_lo
; %bb.363:
	s_or_b32 exec_lo, exec_lo, s4
	s_delay_alu instid0(VALU_DEP_1)
	v_mov_b32_e32 v2, v1
.LBB185_364:
	s_or_b32 exec_lo, exec_lo, s1
.LBB185_365:
	s_delay_alu instid0(SALU_CYCLE_1)
	s_or_b32 exec_lo, exec_lo, s0
.LBB185_366:
	s_delay_alu instid0(SALU_CYCLE_1)
	s_mov_b32 s0, exec_lo
                                        ; implicit-def: $vgpr1
	v_cmpx_eq_u32_e32 0, v0
	s_cbranch_execz .LBB185_372
; %bb.367:
	v_cmp_u_f32_e64 s1, s16, s16
	s_waitcnt lgkmcnt(0)
	v_mov_b32_e32 v1, s16
	s_delay_alu instid0(VALU_DEP_2)
	s_and_b32 vcc_lo, exec_lo, s1
	s_cbranch_vccnz .LBB185_371
; %bb.368:
	s_mov_b32 s1, exec_lo
	v_cmpx_o_f32_e32 v2, v2
; %bb.369:
	v_cmp_lt_f32_e32 vcc_lo, s16, v2
	v_cndmask_b32_e32 v2, s16, v2, vcc_lo
; %bb.370:
	s_or_b32 exec_lo, exec_lo, s1
	s_delay_alu instid0(VALU_DEP_1)
	v_mov_b32_e32 v1, v2
.LBB185_371:
	s_or_b32 s17, s17, exec_lo
.LBB185_372:
	s_or_b32 exec_lo, exec_lo, s0
	s_and_saveexec_b32 s0, s17
	s_cbranch_execz .LBB185_374
.LBB185_373:
	s_lshl_b64 s[0:1], s[8:9], 2
	v_mov_b32_e32 v0, 0
	s_add_u32 s4, s6, s0
	s_addc_u32 s5, s7, s1
	s_lshl_b64 s[0:1], s[2:3], 2
	s_delay_alu instid0(SALU_CYCLE_1)
	s_add_u32 s0, s4, s0
	s_addc_u32 s1, s5, s1
	s_waitcnt lgkmcnt(0)
	global_store_b32 v0, v1, s[0:1]
.LBB185_374:
	s_nop 0
	s_sendmsg sendmsg(MSG_DEALLOC_VGPRS)
	s_endpgm
	.section	.rodata,"a",@progbits
	.p2align	6, 0x0
	.amdhsa_kernel _ZN7rocprim17ROCPRIM_400000_NS6detail17trampoline_kernelINS0_14default_configENS1_32segmented_reduce_config_selectorIfEEZNS1_21segmented_reduce_implIS3_PKfPfPKlfN6hipcub16HIPCUB_304000_NS6detail27convert_result_type_wrapperIS8_S9_N2at6native12_GLOBAL__N_19CustomMaxEEEEE10hipError_tPvRmT0_T1_jT2_SQ_T4_T3_P12ihipStream_tbEUlT_E_NS1_11comp_targetILNS1_3genE9ELNS1_11target_archE1100ELNS1_3gpuE3ELNS1_3repE0EEENS1_30default_config_static_selectorELNS0_4arch9wavefront6targetE0EEEvSP_
		.amdhsa_group_segment_fixed_size 32
		.amdhsa_private_segment_fixed_size 0
		.amdhsa_kernarg_size 48
		.amdhsa_user_sgpr_count 15
		.amdhsa_user_sgpr_dispatch_ptr 0
		.amdhsa_user_sgpr_queue_ptr 0
		.amdhsa_user_sgpr_kernarg_segment_ptr 1
		.amdhsa_user_sgpr_dispatch_id 0
		.amdhsa_user_sgpr_private_segment_size 0
		.amdhsa_wavefront_size32 1
		.amdhsa_uses_dynamic_stack 0
		.amdhsa_enable_private_segment 0
		.amdhsa_system_sgpr_workgroup_id_x 1
		.amdhsa_system_sgpr_workgroup_id_y 0
		.amdhsa_system_sgpr_workgroup_id_z 0
		.amdhsa_system_sgpr_workgroup_info 0
		.amdhsa_system_vgpr_workitem_id 0
		.amdhsa_next_free_vgpr 33
		.amdhsa_next_free_sgpr 21
		.amdhsa_reserve_vcc 1
		.amdhsa_float_round_mode_32 0
		.amdhsa_float_round_mode_16_64 0
		.amdhsa_float_denorm_mode_32 3
		.amdhsa_float_denorm_mode_16_64 3
		.amdhsa_dx10_clamp 1
		.amdhsa_ieee_mode 1
		.amdhsa_fp16_overflow 0
		.amdhsa_workgroup_processor_mode 1
		.amdhsa_memory_ordered 1
		.amdhsa_forward_progress 0
		.amdhsa_shared_vgpr_count 0
		.amdhsa_exception_fp_ieee_invalid_op 0
		.amdhsa_exception_fp_denorm_src 0
		.amdhsa_exception_fp_ieee_div_zero 0
		.amdhsa_exception_fp_ieee_overflow 0
		.amdhsa_exception_fp_ieee_underflow 0
		.amdhsa_exception_fp_ieee_inexact 0
		.amdhsa_exception_int_div_zero 0
	.end_amdhsa_kernel
	.section	.text._ZN7rocprim17ROCPRIM_400000_NS6detail17trampoline_kernelINS0_14default_configENS1_32segmented_reduce_config_selectorIfEEZNS1_21segmented_reduce_implIS3_PKfPfPKlfN6hipcub16HIPCUB_304000_NS6detail27convert_result_type_wrapperIS8_S9_N2at6native12_GLOBAL__N_19CustomMaxEEEEE10hipError_tPvRmT0_T1_jT2_SQ_T4_T3_P12ihipStream_tbEUlT_E_NS1_11comp_targetILNS1_3genE9ELNS1_11target_archE1100ELNS1_3gpuE3ELNS1_3repE0EEENS1_30default_config_static_selectorELNS0_4arch9wavefront6targetE0EEEvSP_,"axG",@progbits,_ZN7rocprim17ROCPRIM_400000_NS6detail17trampoline_kernelINS0_14default_configENS1_32segmented_reduce_config_selectorIfEEZNS1_21segmented_reduce_implIS3_PKfPfPKlfN6hipcub16HIPCUB_304000_NS6detail27convert_result_type_wrapperIS8_S9_N2at6native12_GLOBAL__N_19CustomMaxEEEEE10hipError_tPvRmT0_T1_jT2_SQ_T4_T3_P12ihipStream_tbEUlT_E_NS1_11comp_targetILNS1_3genE9ELNS1_11target_archE1100ELNS1_3gpuE3ELNS1_3repE0EEENS1_30default_config_static_selectorELNS0_4arch9wavefront6targetE0EEEvSP_,comdat
.Lfunc_end185:
	.size	_ZN7rocprim17ROCPRIM_400000_NS6detail17trampoline_kernelINS0_14default_configENS1_32segmented_reduce_config_selectorIfEEZNS1_21segmented_reduce_implIS3_PKfPfPKlfN6hipcub16HIPCUB_304000_NS6detail27convert_result_type_wrapperIS8_S9_N2at6native12_GLOBAL__N_19CustomMaxEEEEE10hipError_tPvRmT0_T1_jT2_SQ_T4_T3_P12ihipStream_tbEUlT_E_NS1_11comp_targetILNS1_3genE9ELNS1_11target_archE1100ELNS1_3gpuE3ELNS1_3repE0EEENS1_30default_config_static_selectorELNS0_4arch9wavefront6targetE0EEEvSP_, .Lfunc_end185-_ZN7rocprim17ROCPRIM_400000_NS6detail17trampoline_kernelINS0_14default_configENS1_32segmented_reduce_config_selectorIfEEZNS1_21segmented_reduce_implIS3_PKfPfPKlfN6hipcub16HIPCUB_304000_NS6detail27convert_result_type_wrapperIS8_S9_N2at6native12_GLOBAL__N_19CustomMaxEEEEE10hipError_tPvRmT0_T1_jT2_SQ_T4_T3_P12ihipStream_tbEUlT_E_NS1_11comp_targetILNS1_3genE9ELNS1_11target_archE1100ELNS1_3gpuE3ELNS1_3repE0EEENS1_30default_config_static_selectorELNS0_4arch9wavefront6targetE0EEEvSP_
                                        ; -- End function
	.section	.AMDGPU.csdata,"",@progbits
; Kernel info:
; codeLenInByte = 7092
; NumSgprs: 23
; NumVgprs: 33
; ScratchSize: 0
; MemoryBound: 0
; FloatMode: 240
; IeeeMode: 1
; LDSByteSize: 32 bytes/workgroup (compile time only)
; SGPRBlocks: 2
; VGPRBlocks: 4
; NumSGPRsForWavesPerEU: 23
; NumVGPRsForWavesPerEU: 33
; Occupancy: 16
; WaveLimiterHint : 1
; COMPUTE_PGM_RSRC2:SCRATCH_EN: 0
; COMPUTE_PGM_RSRC2:USER_SGPR: 15
; COMPUTE_PGM_RSRC2:TRAP_HANDLER: 0
; COMPUTE_PGM_RSRC2:TGID_X_EN: 1
; COMPUTE_PGM_RSRC2:TGID_Y_EN: 0
; COMPUTE_PGM_RSRC2:TGID_Z_EN: 0
; COMPUTE_PGM_RSRC2:TIDIG_COMP_CNT: 0
	.section	.text._ZN7rocprim17ROCPRIM_400000_NS6detail17trampoline_kernelINS0_14default_configENS1_32segmented_reduce_config_selectorIfEEZNS1_21segmented_reduce_implIS3_PKfPfPKlfN6hipcub16HIPCUB_304000_NS6detail27convert_result_type_wrapperIS8_S9_N2at6native12_GLOBAL__N_19CustomMaxEEEEE10hipError_tPvRmT0_T1_jT2_SQ_T4_T3_P12ihipStream_tbEUlT_E_NS1_11comp_targetILNS1_3genE8ELNS1_11target_archE1030ELNS1_3gpuE2ELNS1_3repE0EEENS1_30default_config_static_selectorELNS0_4arch9wavefront6targetE0EEEvSP_,"axG",@progbits,_ZN7rocprim17ROCPRIM_400000_NS6detail17trampoline_kernelINS0_14default_configENS1_32segmented_reduce_config_selectorIfEEZNS1_21segmented_reduce_implIS3_PKfPfPKlfN6hipcub16HIPCUB_304000_NS6detail27convert_result_type_wrapperIS8_S9_N2at6native12_GLOBAL__N_19CustomMaxEEEEE10hipError_tPvRmT0_T1_jT2_SQ_T4_T3_P12ihipStream_tbEUlT_E_NS1_11comp_targetILNS1_3genE8ELNS1_11target_archE1030ELNS1_3gpuE2ELNS1_3repE0EEENS1_30default_config_static_selectorELNS0_4arch9wavefront6targetE0EEEvSP_,comdat
	.globl	_ZN7rocprim17ROCPRIM_400000_NS6detail17trampoline_kernelINS0_14default_configENS1_32segmented_reduce_config_selectorIfEEZNS1_21segmented_reduce_implIS3_PKfPfPKlfN6hipcub16HIPCUB_304000_NS6detail27convert_result_type_wrapperIS8_S9_N2at6native12_GLOBAL__N_19CustomMaxEEEEE10hipError_tPvRmT0_T1_jT2_SQ_T4_T3_P12ihipStream_tbEUlT_E_NS1_11comp_targetILNS1_3genE8ELNS1_11target_archE1030ELNS1_3gpuE2ELNS1_3repE0EEENS1_30default_config_static_selectorELNS0_4arch9wavefront6targetE0EEEvSP_ ; -- Begin function _ZN7rocprim17ROCPRIM_400000_NS6detail17trampoline_kernelINS0_14default_configENS1_32segmented_reduce_config_selectorIfEEZNS1_21segmented_reduce_implIS3_PKfPfPKlfN6hipcub16HIPCUB_304000_NS6detail27convert_result_type_wrapperIS8_S9_N2at6native12_GLOBAL__N_19CustomMaxEEEEE10hipError_tPvRmT0_T1_jT2_SQ_T4_T3_P12ihipStream_tbEUlT_E_NS1_11comp_targetILNS1_3genE8ELNS1_11target_archE1030ELNS1_3gpuE2ELNS1_3repE0EEENS1_30default_config_static_selectorELNS0_4arch9wavefront6targetE0EEEvSP_
	.p2align	8
	.type	_ZN7rocprim17ROCPRIM_400000_NS6detail17trampoline_kernelINS0_14default_configENS1_32segmented_reduce_config_selectorIfEEZNS1_21segmented_reduce_implIS3_PKfPfPKlfN6hipcub16HIPCUB_304000_NS6detail27convert_result_type_wrapperIS8_S9_N2at6native12_GLOBAL__N_19CustomMaxEEEEE10hipError_tPvRmT0_T1_jT2_SQ_T4_T3_P12ihipStream_tbEUlT_E_NS1_11comp_targetILNS1_3genE8ELNS1_11target_archE1030ELNS1_3gpuE2ELNS1_3repE0EEENS1_30default_config_static_selectorELNS0_4arch9wavefront6targetE0EEEvSP_,@function
_ZN7rocprim17ROCPRIM_400000_NS6detail17trampoline_kernelINS0_14default_configENS1_32segmented_reduce_config_selectorIfEEZNS1_21segmented_reduce_implIS3_PKfPfPKlfN6hipcub16HIPCUB_304000_NS6detail27convert_result_type_wrapperIS8_S9_N2at6native12_GLOBAL__N_19CustomMaxEEEEE10hipError_tPvRmT0_T1_jT2_SQ_T4_T3_P12ihipStream_tbEUlT_E_NS1_11comp_targetILNS1_3genE8ELNS1_11target_archE1030ELNS1_3gpuE2ELNS1_3repE0EEENS1_30default_config_static_selectorELNS0_4arch9wavefront6targetE0EEEvSP_: ; @_ZN7rocprim17ROCPRIM_400000_NS6detail17trampoline_kernelINS0_14default_configENS1_32segmented_reduce_config_selectorIfEEZNS1_21segmented_reduce_implIS3_PKfPfPKlfN6hipcub16HIPCUB_304000_NS6detail27convert_result_type_wrapperIS8_S9_N2at6native12_GLOBAL__N_19CustomMaxEEEEE10hipError_tPvRmT0_T1_jT2_SQ_T4_T3_P12ihipStream_tbEUlT_E_NS1_11comp_targetILNS1_3genE8ELNS1_11target_archE1030ELNS1_3gpuE2ELNS1_3repE0EEENS1_30default_config_static_selectorELNS0_4arch9wavefront6targetE0EEEvSP_
; %bb.0:
	.section	.rodata,"a",@progbits
	.p2align	6, 0x0
	.amdhsa_kernel _ZN7rocprim17ROCPRIM_400000_NS6detail17trampoline_kernelINS0_14default_configENS1_32segmented_reduce_config_selectorIfEEZNS1_21segmented_reduce_implIS3_PKfPfPKlfN6hipcub16HIPCUB_304000_NS6detail27convert_result_type_wrapperIS8_S9_N2at6native12_GLOBAL__N_19CustomMaxEEEEE10hipError_tPvRmT0_T1_jT2_SQ_T4_T3_P12ihipStream_tbEUlT_E_NS1_11comp_targetILNS1_3genE8ELNS1_11target_archE1030ELNS1_3gpuE2ELNS1_3repE0EEENS1_30default_config_static_selectorELNS0_4arch9wavefront6targetE0EEEvSP_
		.amdhsa_group_segment_fixed_size 0
		.amdhsa_private_segment_fixed_size 0
		.amdhsa_kernarg_size 48
		.amdhsa_user_sgpr_count 15
		.amdhsa_user_sgpr_dispatch_ptr 0
		.amdhsa_user_sgpr_queue_ptr 0
		.amdhsa_user_sgpr_kernarg_segment_ptr 1
		.amdhsa_user_sgpr_dispatch_id 0
		.amdhsa_user_sgpr_private_segment_size 0
		.amdhsa_wavefront_size32 1
		.amdhsa_uses_dynamic_stack 0
		.amdhsa_enable_private_segment 0
		.amdhsa_system_sgpr_workgroup_id_x 1
		.amdhsa_system_sgpr_workgroup_id_y 0
		.amdhsa_system_sgpr_workgroup_id_z 0
		.amdhsa_system_sgpr_workgroup_info 0
		.amdhsa_system_vgpr_workitem_id 0
		.amdhsa_next_free_vgpr 1
		.amdhsa_next_free_sgpr 1
		.amdhsa_reserve_vcc 0
		.amdhsa_float_round_mode_32 0
		.amdhsa_float_round_mode_16_64 0
		.amdhsa_float_denorm_mode_32 3
		.amdhsa_float_denorm_mode_16_64 3
		.amdhsa_dx10_clamp 1
		.amdhsa_ieee_mode 1
		.amdhsa_fp16_overflow 0
		.amdhsa_workgroup_processor_mode 1
		.amdhsa_memory_ordered 1
		.amdhsa_forward_progress 0
		.amdhsa_shared_vgpr_count 0
		.amdhsa_exception_fp_ieee_invalid_op 0
		.amdhsa_exception_fp_denorm_src 0
		.amdhsa_exception_fp_ieee_div_zero 0
		.amdhsa_exception_fp_ieee_overflow 0
		.amdhsa_exception_fp_ieee_underflow 0
		.amdhsa_exception_fp_ieee_inexact 0
		.amdhsa_exception_int_div_zero 0
	.end_amdhsa_kernel
	.section	.text._ZN7rocprim17ROCPRIM_400000_NS6detail17trampoline_kernelINS0_14default_configENS1_32segmented_reduce_config_selectorIfEEZNS1_21segmented_reduce_implIS3_PKfPfPKlfN6hipcub16HIPCUB_304000_NS6detail27convert_result_type_wrapperIS8_S9_N2at6native12_GLOBAL__N_19CustomMaxEEEEE10hipError_tPvRmT0_T1_jT2_SQ_T4_T3_P12ihipStream_tbEUlT_E_NS1_11comp_targetILNS1_3genE8ELNS1_11target_archE1030ELNS1_3gpuE2ELNS1_3repE0EEENS1_30default_config_static_selectorELNS0_4arch9wavefront6targetE0EEEvSP_,"axG",@progbits,_ZN7rocprim17ROCPRIM_400000_NS6detail17trampoline_kernelINS0_14default_configENS1_32segmented_reduce_config_selectorIfEEZNS1_21segmented_reduce_implIS3_PKfPfPKlfN6hipcub16HIPCUB_304000_NS6detail27convert_result_type_wrapperIS8_S9_N2at6native12_GLOBAL__N_19CustomMaxEEEEE10hipError_tPvRmT0_T1_jT2_SQ_T4_T3_P12ihipStream_tbEUlT_E_NS1_11comp_targetILNS1_3genE8ELNS1_11target_archE1030ELNS1_3gpuE2ELNS1_3repE0EEENS1_30default_config_static_selectorELNS0_4arch9wavefront6targetE0EEEvSP_,comdat
.Lfunc_end186:
	.size	_ZN7rocprim17ROCPRIM_400000_NS6detail17trampoline_kernelINS0_14default_configENS1_32segmented_reduce_config_selectorIfEEZNS1_21segmented_reduce_implIS3_PKfPfPKlfN6hipcub16HIPCUB_304000_NS6detail27convert_result_type_wrapperIS8_S9_N2at6native12_GLOBAL__N_19CustomMaxEEEEE10hipError_tPvRmT0_T1_jT2_SQ_T4_T3_P12ihipStream_tbEUlT_E_NS1_11comp_targetILNS1_3genE8ELNS1_11target_archE1030ELNS1_3gpuE2ELNS1_3repE0EEENS1_30default_config_static_selectorELNS0_4arch9wavefront6targetE0EEEvSP_, .Lfunc_end186-_ZN7rocprim17ROCPRIM_400000_NS6detail17trampoline_kernelINS0_14default_configENS1_32segmented_reduce_config_selectorIfEEZNS1_21segmented_reduce_implIS3_PKfPfPKlfN6hipcub16HIPCUB_304000_NS6detail27convert_result_type_wrapperIS8_S9_N2at6native12_GLOBAL__N_19CustomMaxEEEEE10hipError_tPvRmT0_T1_jT2_SQ_T4_T3_P12ihipStream_tbEUlT_E_NS1_11comp_targetILNS1_3genE8ELNS1_11target_archE1030ELNS1_3gpuE2ELNS1_3repE0EEENS1_30default_config_static_selectorELNS0_4arch9wavefront6targetE0EEEvSP_
                                        ; -- End function
	.section	.AMDGPU.csdata,"",@progbits
; Kernel info:
; codeLenInByte = 0
; NumSgprs: 0
; NumVgprs: 0
; ScratchSize: 0
; MemoryBound: 0
; FloatMode: 240
; IeeeMode: 1
; LDSByteSize: 0 bytes/workgroup (compile time only)
; SGPRBlocks: 0
; VGPRBlocks: 0
; NumSGPRsForWavesPerEU: 1
; NumVGPRsForWavesPerEU: 1
; Occupancy: 16
; WaveLimiterHint : 0
; COMPUTE_PGM_RSRC2:SCRATCH_EN: 0
; COMPUTE_PGM_RSRC2:USER_SGPR: 15
; COMPUTE_PGM_RSRC2:TRAP_HANDLER: 0
; COMPUTE_PGM_RSRC2:TGID_X_EN: 1
; COMPUTE_PGM_RSRC2:TGID_Y_EN: 0
; COMPUTE_PGM_RSRC2:TGID_Z_EN: 0
; COMPUTE_PGM_RSRC2:TIDIG_COMP_CNT: 0
	.section	.text._ZN7rocprim17ROCPRIM_400000_NS6detail17trampoline_kernelINS0_14default_configENS1_32segmented_reduce_config_selectorIfEEZNS1_21segmented_reduce_implIS3_PKfPfPKlfN6hipcub16HIPCUB_304000_NS6detail27convert_result_type_wrapperIS8_S9_N2at6native12_GLOBAL__N_19CustomSumEEEEE10hipError_tPvRmT0_T1_jT2_SQ_T4_T3_P12ihipStream_tbEUlT_E_NS1_11comp_targetILNS1_3genE0ELNS1_11target_archE4294967295ELNS1_3gpuE0ELNS1_3repE0EEENS1_30default_config_static_selectorELNS0_4arch9wavefront6targetE0EEEvSP_,"axG",@progbits,_ZN7rocprim17ROCPRIM_400000_NS6detail17trampoline_kernelINS0_14default_configENS1_32segmented_reduce_config_selectorIfEEZNS1_21segmented_reduce_implIS3_PKfPfPKlfN6hipcub16HIPCUB_304000_NS6detail27convert_result_type_wrapperIS8_S9_N2at6native12_GLOBAL__N_19CustomSumEEEEE10hipError_tPvRmT0_T1_jT2_SQ_T4_T3_P12ihipStream_tbEUlT_E_NS1_11comp_targetILNS1_3genE0ELNS1_11target_archE4294967295ELNS1_3gpuE0ELNS1_3repE0EEENS1_30default_config_static_selectorELNS0_4arch9wavefront6targetE0EEEvSP_,comdat
	.globl	_ZN7rocprim17ROCPRIM_400000_NS6detail17trampoline_kernelINS0_14default_configENS1_32segmented_reduce_config_selectorIfEEZNS1_21segmented_reduce_implIS3_PKfPfPKlfN6hipcub16HIPCUB_304000_NS6detail27convert_result_type_wrapperIS8_S9_N2at6native12_GLOBAL__N_19CustomSumEEEEE10hipError_tPvRmT0_T1_jT2_SQ_T4_T3_P12ihipStream_tbEUlT_E_NS1_11comp_targetILNS1_3genE0ELNS1_11target_archE4294967295ELNS1_3gpuE0ELNS1_3repE0EEENS1_30default_config_static_selectorELNS0_4arch9wavefront6targetE0EEEvSP_ ; -- Begin function _ZN7rocprim17ROCPRIM_400000_NS6detail17trampoline_kernelINS0_14default_configENS1_32segmented_reduce_config_selectorIfEEZNS1_21segmented_reduce_implIS3_PKfPfPKlfN6hipcub16HIPCUB_304000_NS6detail27convert_result_type_wrapperIS8_S9_N2at6native12_GLOBAL__N_19CustomSumEEEEE10hipError_tPvRmT0_T1_jT2_SQ_T4_T3_P12ihipStream_tbEUlT_E_NS1_11comp_targetILNS1_3genE0ELNS1_11target_archE4294967295ELNS1_3gpuE0ELNS1_3repE0EEENS1_30default_config_static_selectorELNS0_4arch9wavefront6targetE0EEEvSP_
	.p2align	8
	.type	_ZN7rocprim17ROCPRIM_400000_NS6detail17trampoline_kernelINS0_14default_configENS1_32segmented_reduce_config_selectorIfEEZNS1_21segmented_reduce_implIS3_PKfPfPKlfN6hipcub16HIPCUB_304000_NS6detail27convert_result_type_wrapperIS8_S9_N2at6native12_GLOBAL__N_19CustomSumEEEEE10hipError_tPvRmT0_T1_jT2_SQ_T4_T3_P12ihipStream_tbEUlT_E_NS1_11comp_targetILNS1_3genE0ELNS1_11target_archE4294967295ELNS1_3gpuE0ELNS1_3repE0EEENS1_30default_config_static_selectorELNS0_4arch9wavefront6targetE0EEEvSP_,@function
_ZN7rocprim17ROCPRIM_400000_NS6detail17trampoline_kernelINS0_14default_configENS1_32segmented_reduce_config_selectorIfEEZNS1_21segmented_reduce_implIS3_PKfPfPKlfN6hipcub16HIPCUB_304000_NS6detail27convert_result_type_wrapperIS8_S9_N2at6native12_GLOBAL__N_19CustomSumEEEEE10hipError_tPvRmT0_T1_jT2_SQ_T4_T3_P12ihipStream_tbEUlT_E_NS1_11comp_targetILNS1_3genE0ELNS1_11target_archE4294967295ELNS1_3gpuE0ELNS1_3repE0EEENS1_30default_config_static_selectorELNS0_4arch9wavefront6targetE0EEEvSP_: ; @_ZN7rocprim17ROCPRIM_400000_NS6detail17trampoline_kernelINS0_14default_configENS1_32segmented_reduce_config_selectorIfEEZNS1_21segmented_reduce_implIS3_PKfPfPKlfN6hipcub16HIPCUB_304000_NS6detail27convert_result_type_wrapperIS8_S9_N2at6native12_GLOBAL__N_19CustomSumEEEEE10hipError_tPvRmT0_T1_jT2_SQ_T4_T3_P12ihipStream_tbEUlT_E_NS1_11comp_targetILNS1_3genE0ELNS1_11target_archE4294967295ELNS1_3gpuE0ELNS1_3repE0EEENS1_30default_config_static_selectorELNS0_4arch9wavefront6targetE0EEEvSP_
; %bb.0:
	.section	.rodata,"a",@progbits
	.p2align	6, 0x0
	.amdhsa_kernel _ZN7rocprim17ROCPRIM_400000_NS6detail17trampoline_kernelINS0_14default_configENS1_32segmented_reduce_config_selectorIfEEZNS1_21segmented_reduce_implIS3_PKfPfPKlfN6hipcub16HIPCUB_304000_NS6detail27convert_result_type_wrapperIS8_S9_N2at6native12_GLOBAL__N_19CustomSumEEEEE10hipError_tPvRmT0_T1_jT2_SQ_T4_T3_P12ihipStream_tbEUlT_E_NS1_11comp_targetILNS1_3genE0ELNS1_11target_archE4294967295ELNS1_3gpuE0ELNS1_3repE0EEENS1_30default_config_static_selectorELNS0_4arch9wavefront6targetE0EEEvSP_
		.amdhsa_group_segment_fixed_size 0
		.amdhsa_private_segment_fixed_size 0
		.amdhsa_kernarg_size 48
		.amdhsa_user_sgpr_count 15
		.amdhsa_user_sgpr_dispatch_ptr 0
		.amdhsa_user_sgpr_queue_ptr 0
		.amdhsa_user_sgpr_kernarg_segment_ptr 1
		.amdhsa_user_sgpr_dispatch_id 0
		.amdhsa_user_sgpr_private_segment_size 0
		.amdhsa_wavefront_size32 1
		.amdhsa_uses_dynamic_stack 0
		.amdhsa_enable_private_segment 0
		.amdhsa_system_sgpr_workgroup_id_x 1
		.amdhsa_system_sgpr_workgroup_id_y 0
		.amdhsa_system_sgpr_workgroup_id_z 0
		.amdhsa_system_sgpr_workgroup_info 0
		.amdhsa_system_vgpr_workitem_id 0
		.amdhsa_next_free_vgpr 1
		.amdhsa_next_free_sgpr 1
		.amdhsa_reserve_vcc 0
		.amdhsa_float_round_mode_32 0
		.amdhsa_float_round_mode_16_64 0
		.amdhsa_float_denorm_mode_32 3
		.amdhsa_float_denorm_mode_16_64 3
		.amdhsa_dx10_clamp 1
		.amdhsa_ieee_mode 1
		.amdhsa_fp16_overflow 0
		.amdhsa_workgroup_processor_mode 1
		.amdhsa_memory_ordered 1
		.amdhsa_forward_progress 0
		.amdhsa_shared_vgpr_count 0
		.amdhsa_exception_fp_ieee_invalid_op 0
		.amdhsa_exception_fp_denorm_src 0
		.amdhsa_exception_fp_ieee_div_zero 0
		.amdhsa_exception_fp_ieee_overflow 0
		.amdhsa_exception_fp_ieee_underflow 0
		.amdhsa_exception_fp_ieee_inexact 0
		.amdhsa_exception_int_div_zero 0
	.end_amdhsa_kernel
	.section	.text._ZN7rocprim17ROCPRIM_400000_NS6detail17trampoline_kernelINS0_14default_configENS1_32segmented_reduce_config_selectorIfEEZNS1_21segmented_reduce_implIS3_PKfPfPKlfN6hipcub16HIPCUB_304000_NS6detail27convert_result_type_wrapperIS8_S9_N2at6native12_GLOBAL__N_19CustomSumEEEEE10hipError_tPvRmT0_T1_jT2_SQ_T4_T3_P12ihipStream_tbEUlT_E_NS1_11comp_targetILNS1_3genE0ELNS1_11target_archE4294967295ELNS1_3gpuE0ELNS1_3repE0EEENS1_30default_config_static_selectorELNS0_4arch9wavefront6targetE0EEEvSP_,"axG",@progbits,_ZN7rocprim17ROCPRIM_400000_NS6detail17trampoline_kernelINS0_14default_configENS1_32segmented_reduce_config_selectorIfEEZNS1_21segmented_reduce_implIS3_PKfPfPKlfN6hipcub16HIPCUB_304000_NS6detail27convert_result_type_wrapperIS8_S9_N2at6native12_GLOBAL__N_19CustomSumEEEEE10hipError_tPvRmT0_T1_jT2_SQ_T4_T3_P12ihipStream_tbEUlT_E_NS1_11comp_targetILNS1_3genE0ELNS1_11target_archE4294967295ELNS1_3gpuE0ELNS1_3repE0EEENS1_30default_config_static_selectorELNS0_4arch9wavefront6targetE0EEEvSP_,comdat
.Lfunc_end187:
	.size	_ZN7rocprim17ROCPRIM_400000_NS6detail17trampoline_kernelINS0_14default_configENS1_32segmented_reduce_config_selectorIfEEZNS1_21segmented_reduce_implIS3_PKfPfPKlfN6hipcub16HIPCUB_304000_NS6detail27convert_result_type_wrapperIS8_S9_N2at6native12_GLOBAL__N_19CustomSumEEEEE10hipError_tPvRmT0_T1_jT2_SQ_T4_T3_P12ihipStream_tbEUlT_E_NS1_11comp_targetILNS1_3genE0ELNS1_11target_archE4294967295ELNS1_3gpuE0ELNS1_3repE0EEENS1_30default_config_static_selectorELNS0_4arch9wavefront6targetE0EEEvSP_, .Lfunc_end187-_ZN7rocprim17ROCPRIM_400000_NS6detail17trampoline_kernelINS0_14default_configENS1_32segmented_reduce_config_selectorIfEEZNS1_21segmented_reduce_implIS3_PKfPfPKlfN6hipcub16HIPCUB_304000_NS6detail27convert_result_type_wrapperIS8_S9_N2at6native12_GLOBAL__N_19CustomSumEEEEE10hipError_tPvRmT0_T1_jT2_SQ_T4_T3_P12ihipStream_tbEUlT_E_NS1_11comp_targetILNS1_3genE0ELNS1_11target_archE4294967295ELNS1_3gpuE0ELNS1_3repE0EEENS1_30default_config_static_selectorELNS0_4arch9wavefront6targetE0EEEvSP_
                                        ; -- End function
	.section	.AMDGPU.csdata,"",@progbits
; Kernel info:
; codeLenInByte = 0
; NumSgprs: 0
; NumVgprs: 0
; ScratchSize: 0
; MemoryBound: 0
; FloatMode: 240
; IeeeMode: 1
; LDSByteSize: 0 bytes/workgroup (compile time only)
; SGPRBlocks: 0
; VGPRBlocks: 0
; NumSGPRsForWavesPerEU: 1
; NumVGPRsForWavesPerEU: 1
; Occupancy: 16
; WaveLimiterHint : 0
; COMPUTE_PGM_RSRC2:SCRATCH_EN: 0
; COMPUTE_PGM_RSRC2:USER_SGPR: 15
; COMPUTE_PGM_RSRC2:TRAP_HANDLER: 0
; COMPUTE_PGM_RSRC2:TGID_X_EN: 1
; COMPUTE_PGM_RSRC2:TGID_Y_EN: 0
; COMPUTE_PGM_RSRC2:TGID_Z_EN: 0
; COMPUTE_PGM_RSRC2:TIDIG_COMP_CNT: 0
	.section	.text._ZN7rocprim17ROCPRIM_400000_NS6detail17trampoline_kernelINS0_14default_configENS1_32segmented_reduce_config_selectorIfEEZNS1_21segmented_reduce_implIS3_PKfPfPKlfN6hipcub16HIPCUB_304000_NS6detail27convert_result_type_wrapperIS8_S9_N2at6native12_GLOBAL__N_19CustomSumEEEEE10hipError_tPvRmT0_T1_jT2_SQ_T4_T3_P12ihipStream_tbEUlT_E_NS1_11comp_targetILNS1_3genE5ELNS1_11target_archE942ELNS1_3gpuE9ELNS1_3repE0EEENS1_30default_config_static_selectorELNS0_4arch9wavefront6targetE0EEEvSP_,"axG",@progbits,_ZN7rocprim17ROCPRIM_400000_NS6detail17trampoline_kernelINS0_14default_configENS1_32segmented_reduce_config_selectorIfEEZNS1_21segmented_reduce_implIS3_PKfPfPKlfN6hipcub16HIPCUB_304000_NS6detail27convert_result_type_wrapperIS8_S9_N2at6native12_GLOBAL__N_19CustomSumEEEEE10hipError_tPvRmT0_T1_jT2_SQ_T4_T3_P12ihipStream_tbEUlT_E_NS1_11comp_targetILNS1_3genE5ELNS1_11target_archE942ELNS1_3gpuE9ELNS1_3repE0EEENS1_30default_config_static_selectorELNS0_4arch9wavefront6targetE0EEEvSP_,comdat
	.globl	_ZN7rocprim17ROCPRIM_400000_NS6detail17trampoline_kernelINS0_14default_configENS1_32segmented_reduce_config_selectorIfEEZNS1_21segmented_reduce_implIS3_PKfPfPKlfN6hipcub16HIPCUB_304000_NS6detail27convert_result_type_wrapperIS8_S9_N2at6native12_GLOBAL__N_19CustomSumEEEEE10hipError_tPvRmT0_T1_jT2_SQ_T4_T3_P12ihipStream_tbEUlT_E_NS1_11comp_targetILNS1_3genE5ELNS1_11target_archE942ELNS1_3gpuE9ELNS1_3repE0EEENS1_30default_config_static_selectorELNS0_4arch9wavefront6targetE0EEEvSP_ ; -- Begin function _ZN7rocprim17ROCPRIM_400000_NS6detail17trampoline_kernelINS0_14default_configENS1_32segmented_reduce_config_selectorIfEEZNS1_21segmented_reduce_implIS3_PKfPfPKlfN6hipcub16HIPCUB_304000_NS6detail27convert_result_type_wrapperIS8_S9_N2at6native12_GLOBAL__N_19CustomSumEEEEE10hipError_tPvRmT0_T1_jT2_SQ_T4_T3_P12ihipStream_tbEUlT_E_NS1_11comp_targetILNS1_3genE5ELNS1_11target_archE942ELNS1_3gpuE9ELNS1_3repE0EEENS1_30default_config_static_selectorELNS0_4arch9wavefront6targetE0EEEvSP_
	.p2align	8
	.type	_ZN7rocprim17ROCPRIM_400000_NS6detail17trampoline_kernelINS0_14default_configENS1_32segmented_reduce_config_selectorIfEEZNS1_21segmented_reduce_implIS3_PKfPfPKlfN6hipcub16HIPCUB_304000_NS6detail27convert_result_type_wrapperIS8_S9_N2at6native12_GLOBAL__N_19CustomSumEEEEE10hipError_tPvRmT0_T1_jT2_SQ_T4_T3_P12ihipStream_tbEUlT_E_NS1_11comp_targetILNS1_3genE5ELNS1_11target_archE942ELNS1_3gpuE9ELNS1_3repE0EEENS1_30default_config_static_selectorELNS0_4arch9wavefront6targetE0EEEvSP_,@function
_ZN7rocprim17ROCPRIM_400000_NS6detail17trampoline_kernelINS0_14default_configENS1_32segmented_reduce_config_selectorIfEEZNS1_21segmented_reduce_implIS3_PKfPfPKlfN6hipcub16HIPCUB_304000_NS6detail27convert_result_type_wrapperIS8_S9_N2at6native12_GLOBAL__N_19CustomSumEEEEE10hipError_tPvRmT0_T1_jT2_SQ_T4_T3_P12ihipStream_tbEUlT_E_NS1_11comp_targetILNS1_3genE5ELNS1_11target_archE942ELNS1_3gpuE9ELNS1_3repE0EEENS1_30default_config_static_selectorELNS0_4arch9wavefront6targetE0EEEvSP_: ; @_ZN7rocprim17ROCPRIM_400000_NS6detail17trampoline_kernelINS0_14default_configENS1_32segmented_reduce_config_selectorIfEEZNS1_21segmented_reduce_implIS3_PKfPfPKlfN6hipcub16HIPCUB_304000_NS6detail27convert_result_type_wrapperIS8_S9_N2at6native12_GLOBAL__N_19CustomSumEEEEE10hipError_tPvRmT0_T1_jT2_SQ_T4_T3_P12ihipStream_tbEUlT_E_NS1_11comp_targetILNS1_3genE5ELNS1_11target_archE942ELNS1_3gpuE9ELNS1_3repE0EEENS1_30default_config_static_selectorELNS0_4arch9wavefront6targetE0EEEvSP_
; %bb.0:
	.section	.rodata,"a",@progbits
	.p2align	6, 0x0
	.amdhsa_kernel _ZN7rocprim17ROCPRIM_400000_NS6detail17trampoline_kernelINS0_14default_configENS1_32segmented_reduce_config_selectorIfEEZNS1_21segmented_reduce_implIS3_PKfPfPKlfN6hipcub16HIPCUB_304000_NS6detail27convert_result_type_wrapperIS8_S9_N2at6native12_GLOBAL__N_19CustomSumEEEEE10hipError_tPvRmT0_T1_jT2_SQ_T4_T3_P12ihipStream_tbEUlT_E_NS1_11comp_targetILNS1_3genE5ELNS1_11target_archE942ELNS1_3gpuE9ELNS1_3repE0EEENS1_30default_config_static_selectorELNS0_4arch9wavefront6targetE0EEEvSP_
		.amdhsa_group_segment_fixed_size 0
		.amdhsa_private_segment_fixed_size 0
		.amdhsa_kernarg_size 48
		.amdhsa_user_sgpr_count 15
		.amdhsa_user_sgpr_dispatch_ptr 0
		.amdhsa_user_sgpr_queue_ptr 0
		.amdhsa_user_sgpr_kernarg_segment_ptr 1
		.amdhsa_user_sgpr_dispatch_id 0
		.amdhsa_user_sgpr_private_segment_size 0
		.amdhsa_wavefront_size32 1
		.amdhsa_uses_dynamic_stack 0
		.amdhsa_enable_private_segment 0
		.amdhsa_system_sgpr_workgroup_id_x 1
		.amdhsa_system_sgpr_workgroup_id_y 0
		.amdhsa_system_sgpr_workgroup_id_z 0
		.amdhsa_system_sgpr_workgroup_info 0
		.amdhsa_system_vgpr_workitem_id 0
		.amdhsa_next_free_vgpr 1
		.amdhsa_next_free_sgpr 1
		.amdhsa_reserve_vcc 0
		.amdhsa_float_round_mode_32 0
		.amdhsa_float_round_mode_16_64 0
		.amdhsa_float_denorm_mode_32 3
		.amdhsa_float_denorm_mode_16_64 3
		.amdhsa_dx10_clamp 1
		.amdhsa_ieee_mode 1
		.amdhsa_fp16_overflow 0
		.amdhsa_workgroup_processor_mode 1
		.amdhsa_memory_ordered 1
		.amdhsa_forward_progress 0
		.amdhsa_shared_vgpr_count 0
		.amdhsa_exception_fp_ieee_invalid_op 0
		.amdhsa_exception_fp_denorm_src 0
		.amdhsa_exception_fp_ieee_div_zero 0
		.amdhsa_exception_fp_ieee_overflow 0
		.amdhsa_exception_fp_ieee_underflow 0
		.amdhsa_exception_fp_ieee_inexact 0
		.amdhsa_exception_int_div_zero 0
	.end_amdhsa_kernel
	.section	.text._ZN7rocprim17ROCPRIM_400000_NS6detail17trampoline_kernelINS0_14default_configENS1_32segmented_reduce_config_selectorIfEEZNS1_21segmented_reduce_implIS3_PKfPfPKlfN6hipcub16HIPCUB_304000_NS6detail27convert_result_type_wrapperIS8_S9_N2at6native12_GLOBAL__N_19CustomSumEEEEE10hipError_tPvRmT0_T1_jT2_SQ_T4_T3_P12ihipStream_tbEUlT_E_NS1_11comp_targetILNS1_3genE5ELNS1_11target_archE942ELNS1_3gpuE9ELNS1_3repE0EEENS1_30default_config_static_selectorELNS0_4arch9wavefront6targetE0EEEvSP_,"axG",@progbits,_ZN7rocprim17ROCPRIM_400000_NS6detail17trampoline_kernelINS0_14default_configENS1_32segmented_reduce_config_selectorIfEEZNS1_21segmented_reduce_implIS3_PKfPfPKlfN6hipcub16HIPCUB_304000_NS6detail27convert_result_type_wrapperIS8_S9_N2at6native12_GLOBAL__N_19CustomSumEEEEE10hipError_tPvRmT0_T1_jT2_SQ_T4_T3_P12ihipStream_tbEUlT_E_NS1_11comp_targetILNS1_3genE5ELNS1_11target_archE942ELNS1_3gpuE9ELNS1_3repE0EEENS1_30default_config_static_selectorELNS0_4arch9wavefront6targetE0EEEvSP_,comdat
.Lfunc_end188:
	.size	_ZN7rocprim17ROCPRIM_400000_NS6detail17trampoline_kernelINS0_14default_configENS1_32segmented_reduce_config_selectorIfEEZNS1_21segmented_reduce_implIS3_PKfPfPKlfN6hipcub16HIPCUB_304000_NS6detail27convert_result_type_wrapperIS8_S9_N2at6native12_GLOBAL__N_19CustomSumEEEEE10hipError_tPvRmT0_T1_jT2_SQ_T4_T3_P12ihipStream_tbEUlT_E_NS1_11comp_targetILNS1_3genE5ELNS1_11target_archE942ELNS1_3gpuE9ELNS1_3repE0EEENS1_30default_config_static_selectorELNS0_4arch9wavefront6targetE0EEEvSP_, .Lfunc_end188-_ZN7rocprim17ROCPRIM_400000_NS6detail17trampoline_kernelINS0_14default_configENS1_32segmented_reduce_config_selectorIfEEZNS1_21segmented_reduce_implIS3_PKfPfPKlfN6hipcub16HIPCUB_304000_NS6detail27convert_result_type_wrapperIS8_S9_N2at6native12_GLOBAL__N_19CustomSumEEEEE10hipError_tPvRmT0_T1_jT2_SQ_T4_T3_P12ihipStream_tbEUlT_E_NS1_11comp_targetILNS1_3genE5ELNS1_11target_archE942ELNS1_3gpuE9ELNS1_3repE0EEENS1_30default_config_static_selectorELNS0_4arch9wavefront6targetE0EEEvSP_
                                        ; -- End function
	.section	.AMDGPU.csdata,"",@progbits
; Kernel info:
; codeLenInByte = 0
; NumSgprs: 0
; NumVgprs: 0
; ScratchSize: 0
; MemoryBound: 0
; FloatMode: 240
; IeeeMode: 1
; LDSByteSize: 0 bytes/workgroup (compile time only)
; SGPRBlocks: 0
; VGPRBlocks: 0
; NumSGPRsForWavesPerEU: 1
; NumVGPRsForWavesPerEU: 1
; Occupancy: 16
; WaveLimiterHint : 0
; COMPUTE_PGM_RSRC2:SCRATCH_EN: 0
; COMPUTE_PGM_RSRC2:USER_SGPR: 15
; COMPUTE_PGM_RSRC2:TRAP_HANDLER: 0
; COMPUTE_PGM_RSRC2:TGID_X_EN: 1
; COMPUTE_PGM_RSRC2:TGID_Y_EN: 0
; COMPUTE_PGM_RSRC2:TGID_Z_EN: 0
; COMPUTE_PGM_RSRC2:TIDIG_COMP_CNT: 0
	.section	.text._ZN7rocprim17ROCPRIM_400000_NS6detail17trampoline_kernelINS0_14default_configENS1_32segmented_reduce_config_selectorIfEEZNS1_21segmented_reduce_implIS3_PKfPfPKlfN6hipcub16HIPCUB_304000_NS6detail27convert_result_type_wrapperIS8_S9_N2at6native12_GLOBAL__N_19CustomSumEEEEE10hipError_tPvRmT0_T1_jT2_SQ_T4_T3_P12ihipStream_tbEUlT_E_NS1_11comp_targetILNS1_3genE10ELNS1_11target_archE1201ELNS1_3gpuE5ELNS1_3repE0EEENS1_30default_config_static_selectorELNS0_4arch9wavefront6targetE0EEEvSP_,"axG",@progbits,_ZN7rocprim17ROCPRIM_400000_NS6detail17trampoline_kernelINS0_14default_configENS1_32segmented_reduce_config_selectorIfEEZNS1_21segmented_reduce_implIS3_PKfPfPKlfN6hipcub16HIPCUB_304000_NS6detail27convert_result_type_wrapperIS8_S9_N2at6native12_GLOBAL__N_19CustomSumEEEEE10hipError_tPvRmT0_T1_jT2_SQ_T4_T3_P12ihipStream_tbEUlT_E_NS1_11comp_targetILNS1_3genE10ELNS1_11target_archE1201ELNS1_3gpuE5ELNS1_3repE0EEENS1_30default_config_static_selectorELNS0_4arch9wavefront6targetE0EEEvSP_,comdat
	.globl	_ZN7rocprim17ROCPRIM_400000_NS6detail17trampoline_kernelINS0_14default_configENS1_32segmented_reduce_config_selectorIfEEZNS1_21segmented_reduce_implIS3_PKfPfPKlfN6hipcub16HIPCUB_304000_NS6detail27convert_result_type_wrapperIS8_S9_N2at6native12_GLOBAL__N_19CustomSumEEEEE10hipError_tPvRmT0_T1_jT2_SQ_T4_T3_P12ihipStream_tbEUlT_E_NS1_11comp_targetILNS1_3genE10ELNS1_11target_archE1201ELNS1_3gpuE5ELNS1_3repE0EEENS1_30default_config_static_selectorELNS0_4arch9wavefront6targetE0EEEvSP_ ; -- Begin function _ZN7rocprim17ROCPRIM_400000_NS6detail17trampoline_kernelINS0_14default_configENS1_32segmented_reduce_config_selectorIfEEZNS1_21segmented_reduce_implIS3_PKfPfPKlfN6hipcub16HIPCUB_304000_NS6detail27convert_result_type_wrapperIS8_S9_N2at6native12_GLOBAL__N_19CustomSumEEEEE10hipError_tPvRmT0_T1_jT2_SQ_T4_T3_P12ihipStream_tbEUlT_E_NS1_11comp_targetILNS1_3genE10ELNS1_11target_archE1201ELNS1_3gpuE5ELNS1_3repE0EEENS1_30default_config_static_selectorELNS0_4arch9wavefront6targetE0EEEvSP_
	.p2align	8
	.type	_ZN7rocprim17ROCPRIM_400000_NS6detail17trampoline_kernelINS0_14default_configENS1_32segmented_reduce_config_selectorIfEEZNS1_21segmented_reduce_implIS3_PKfPfPKlfN6hipcub16HIPCUB_304000_NS6detail27convert_result_type_wrapperIS8_S9_N2at6native12_GLOBAL__N_19CustomSumEEEEE10hipError_tPvRmT0_T1_jT2_SQ_T4_T3_P12ihipStream_tbEUlT_E_NS1_11comp_targetILNS1_3genE10ELNS1_11target_archE1201ELNS1_3gpuE5ELNS1_3repE0EEENS1_30default_config_static_selectorELNS0_4arch9wavefront6targetE0EEEvSP_,@function
_ZN7rocprim17ROCPRIM_400000_NS6detail17trampoline_kernelINS0_14default_configENS1_32segmented_reduce_config_selectorIfEEZNS1_21segmented_reduce_implIS3_PKfPfPKlfN6hipcub16HIPCUB_304000_NS6detail27convert_result_type_wrapperIS8_S9_N2at6native12_GLOBAL__N_19CustomSumEEEEE10hipError_tPvRmT0_T1_jT2_SQ_T4_T3_P12ihipStream_tbEUlT_E_NS1_11comp_targetILNS1_3genE10ELNS1_11target_archE1201ELNS1_3gpuE5ELNS1_3repE0EEENS1_30default_config_static_selectorELNS0_4arch9wavefront6targetE0EEEvSP_: ; @_ZN7rocprim17ROCPRIM_400000_NS6detail17trampoline_kernelINS0_14default_configENS1_32segmented_reduce_config_selectorIfEEZNS1_21segmented_reduce_implIS3_PKfPfPKlfN6hipcub16HIPCUB_304000_NS6detail27convert_result_type_wrapperIS8_S9_N2at6native12_GLOBAL__N_19CustomSumEEEEE10hipError_tPvRmT0_T1_jT2_SQ_T4_T3_P12ihipStream_tbEUlT_E_NS1_11comp_targetILNS1_3genE10ELNS1_11target_archE1201ELNS1_3gpuE5ELNS1_3repE0EEENS1_30default_config_static_selectorELNS0_4arch9wavefront6targetE0EEEvSP_
; %bb.0:
	.section	.rodata,"a",@progbits
	.p2align	6, 0x0
	.amdhsa_kernel _ZN7rocprim17ROCPRIM_400000_NS6detail17trampoline_kernelINS0_14default_configENS1_32segmented_reduce_config_selectorIfEEZNS1_21segmented_reduce_implIS3_PKfPfPKlfN6hipcub16HIPCUB_304000_NS6detail27convert_result_type_wrapperIS8_S9_N2at6native12_GLOBAL__N_19CustomSumEEEEE10hipError_tPvRmT0_T1_jT2_SQ_T4_T3_P12ihipStream_tbEUlT_E_NS1_11comp_targetILNS1_3genE10ELNS1_11target_archE1201ELNS1_3gpuE5ELNS1_3repE0EEENS1_30default_config_static_selectorELNS0_4arch9wavefront6targetE0EEEvSP_
		.amdhsa_group_segment_fixed_size 0
		.amdhsa_private_segment_fixed_size 0
		.amdhsa_kernarg_size 48
		.amdhsa_user_sgpr_count 15
		.amdhsa_user_sgpr_dispatch_ptr 0
		.amdhsa_user_sgpr_queue_ptr 0
		.amdhsa_user_sgpr_kernarg_segment_ptr 1
		.amdhsa_user_sgpr_dispatch_id 0
		.amdhsa_user_sgpr_private_segment_size 0
		.amdhsa_wavefront_size32 1
		.amdhsa_uses_dynamic_stack 0
		.amdhsa_enable_private_segment 0
		.amdhsa_system_sgpr_workgroup_id_x 1
		.amdhsa_system_sgpr_workgroup_id_y 0
		.amdhsa_system_sgpr_workgroup_id_z 0
		.amdhsa_system_sgpr_workgroup_info 0
		.amdhsa_system_vgpr_workitem_id 0
		.amdhsa_next_free_vgpr 1
		.amdhsa_next_free_sgpr 1
		.amdhsa_reserve_vcc 0
		.amdhsa_float_round_mode_32 0
		.amdhsa_float_round_mode_16_64 0
		.amdhsa_float_denorm_mode_32 3
		.amdhsa_float_denorm_mode_16_64 3
		.amdhsa_dx10_clamp 1
		.amdhsa_ieee_mode 1
		.amdhsa_fp16_overflow 0
		.amdhsa_workgroup_processor_mode 1
		.amdhsa_memory_ordered 1
		.amdhsa_forward_progress 0
		.amdhsa_shared_vgpr_count 0
		.amdhsa_exception_fp_ieee_invalid_op 0
		.amdhsa_exception_fp_denorm_src 0
		.amdhsa_exception_fp_ieee_div_zero 0
		.amdhsa_exception_fp_ieee_overflow 0
		.amdhsa_exception_fp_ieee_underflow 0
		.amdhsa_exception_fp_ieee_inexact 0
		.amdhsa_exception_int_div_zero 0
	.end_amdhsa_kernel
	.section	.text._ZN7rocprim17ROCPRIM_400000_NS6detail17trampoline_kernelINS0_14default_configENS1_32segmented_reduce_config_selectorIfEEZNS1_21segmented_reduce_implIS3_PKfPfPKlfN6hipcub16HIPCUB_304000_NS6detail27convert_result_type_wrapperIS8_S9_N2at6native12_GLOBAL__N_19CustomSumEEEEE10hipError_tPvRmT0_T1_jT2_SQ_T4_T3_P12ihipStream_tbEUlT_E_NS1_11comp_targetILNS1_3genE10ELNS1_11target_archE1201ELNS1_3gpuE5ELNS1_3repE0EEENS1_30default_config_static_selectorELNS0_4arch9wavefront6targetE0EEEvSP_,"axG",@progbits,_ZN7rocprim17ROCPRIM_400000_NS6detail17trampoline_kernelINS0_14default_configENS1_32segmented_reduce_config_selectorIfEEZNS1_21segmented_reduce_implIS3_PKfPfPKlfN6hipcub16HIPCUB_304000_NS6detail27convert_result_type_wrapperIS8_S9_N2at6native12_GLOBAL__N_19CustomSumEEEEE10hipError_tPvRmT0_T1_jT2_SQ_T4_T3_P12ihipStream_tbEUlT_E_NS1_11comp_targetILNS1_3genE10ELNS1_11target_archE1201ELNS1_3gpuE5ELNS1_3repE0EEENS1_30default_config_static_selectorELNS0_4arch9wavefront6targetE0EEEvSP_,comdat
.Lfunc_end189:
	.size	_ZN7rocprim17ROCPRIM_400000_NS6detail17trampoline_kernelINS0_14default_configENS1_32segmented_reduce_config_selectorIfEEZNS1_21segmented_reduce_implIS3_PKfPfPKlfN6hipcub16HIPCUB_304000_NS6detail27convert_result_type_wrapperIS8_S9_N2at6native12_GLOBAL__N_19CustomSumEEEEE10hipError_tPvRmT0_T1_jT2_SQ_T4_T3_P12ihipStream_tbEUlT_E_NS1_11comp_targetILNS1_3genE10ELNS1_11target_archE1201ELNS1_3gpuE5ELNS1_3repE0EEENS1_30default_config_static_selectorELNS0_4arch9wavefront6targetE0EEEvSP_, .Lfunc_end189-_ZN7rocprim17ROCPRIM_400000_NS6detail17trampoline_kernelINS0_14default_configENS1_32segmented_reduce_config_selectorIfEEZNS1_21segmented_reduce_implIS3_PKfPfPKlfN6hipcub16HIPCUB_304000_NS6detail27convert_result_type_wrapperIS8_S9_N2at6native12_GLOBAL__N_19CustomSumEEEEE10hipError_tPvRmT0_T1_jT2_SQ_T4_T3_P12ihipStream_tbEUlT_E_NS1_11comp_targetILNS1_3genE10ELNS1_11target_archE1201ELNS1_3gpuE5ELNS1_3repE0EEENS1_30default_config_static_selectorELNS0_4arch9wavefront6targetE0EEEvSP_
                                        ; -- End function
	.section	.AMDGPU.csdata,"",@progbits
; Kernel info:
; codeLenInByte = 0
; NumSgprs: 0
; NumVgprs: 0
; ScratchSize: 0
; MemoryBound: 0
; FloatMode: 240
; IeeeMode: 1
; LDSByteSize: 0 bytes/workgroup (compile time only)
; SGPRBlocks: 0
; VGPRBlocks: 0
; NumSGPRsForWavesPerEU: 1
; NumVGPRsForWavesPerEU: 1
; Occupancy: 16
; WaveLimiterHint : 0
; COMPUTE_PGM_RSRC2:SCRATCH_EN: 0
; COMPUTE_PGM_RSRC2:USER_SGPR: 15
; COMPUTE_PGM_RSRC2:TRAP_HANDLER: 0
; COMPUTE_PGM_RSRC2:TGID_X_EN: 1
; COMPUTE_PGM_RSRC2:TGID_Y_EN: 0
; COMPUTE_PGM_RSRC2:TGID_Z_EN: 0
; COMPUTE_PGM_RSRC2:TIDIG_COMP_CNT: 0
	.section	.text._ZN7rocprim17ROCPRIM_400000_NS6detail17trampoline_kernelINS0_14default_configENS1_32segmented_reduce_config_selectorIfEEZNS1_21segmented_reduce_implIS3_PKfPfPKlfN6hipcub16HIPCUB_304000_NS6detail27convert_result_type_wrapperIS8_S9_N2at6native12_GLOBAL__N_19CustomSumEEEEE10hipError_tPvRmT0_T1_jT2_SQ_T4_T3_P12ihipStream_tbEUlT_E_NS1_11comp_targetILNS1_3genE4ELNS1_11target_archE910ELNS1_3gpuE8ELNS1_3repE0EEENS1_30default_config_static_selectorELNS0_4arch9wavefront6targetE0EEEvSP_,"axG",@progbits,_ZN7rocprim17ROCPRIM_400000_NS6detail17trampoline_kernelINS0_14default_configENS1_32segmented_reduce_config_selectorIfEEZNS1_21segmented_reduce_implIS3_PKfPfPKlfN6hipcub16HIPCUB_304000_NS6detail27convert_result_type_wrapperIS8_S9_N2at6native12_GLOBAL__N_19CustomSumEEEEE10hipError_tPvRmT0_T1_jT2_SQ_T4_T3_P12ihipStream_tbEUlT_E_NS1_11comp_targetILNS1_3genE4ELNS1_11target_archE910ELNS1_3gpuE8ELNS1_3repE0EEENS1_30default_config_static_selectorELNS0_4arch9wavefront6targetE0EEEvSP_,comdat
	.globl	_ZN7rocprim17ROCPRIM_400000_NS6detail17trampoline_kernelINS0_14default_configENS1_32segmented_reduce_config_selectorIfEEZNS1_21segmented_reduce_implIS3_PKfPfPKlfN6hipcub16HIPCUB_304000_NS6detail27convert_result_type_wrapperIS8_S9_N2at6native12_GLOBAL__N_19CustomSumEEEEE10hipError_tPvRmT0_T1_jT2_SQ_T4_T3_P12ihipStream_tbEUlT_E_NS1_11comp_targetILNS1_3genE4ELNS1_11target_archE910ELNS1_3gpuE8ELNS1_3repE0EEENS1_30default_config_static_selectorELNS0_4arch9wavefront6targetE0EEEvSP_ ; -- Begin function _ZN7rocprim17ROCPRIM_400000_NS6detail17trampoline_kernelINS0_14default_configENS1_32segmented_reduce_config_selectorIfEEZNS1_21segmented_reduce_implIS3_PKfPfPKlfN6hipcub16HIPCUB_304000_NS6detail27convert_result_type_wrapperIS8_S9_N2at6native12_GLOBAL__N_19CustomSumEEEEE10hipError_tPvRmT0_T1_jT2_SQ_T4_T3_P12ihipStream_tbEUlT_E_NS1_11comp_targetILNS1_3genE4ELNS1_11target_archE910ELNS1_3gpuE8ELNS1_3repE0EEENS1_30default_config_static_selectorELNS0_4arch9wavefront6targetE0EEEvSP_
	.p2align	8
	.type	_ZN7rocprim17ROCPRIM_400000_NS6detail17trampoline_kernelINS0_14default_configENS1_32segmented_reduce_config_selectorIfEEZNS1_21segmented_reduce_implIS3_PKfPfPKlfN6hipcub16HIPCUB_304000_NS6detail27convert_result_type_wrapperIS8_S9_N2at6native12_GLOBAL__N_19CustomSumEEEEE10hipError_tPvRmT0_T1_jT2_SQ_T4_T3_P12ihipStream_tbEUlT_E_NS1_11comp_targetILNS1_3genE4ELNS1_11target_archE910ELNS1_3gpuE8ELNS1_3repE0EEENS1_30default_config_static_selectorELNS0_4arch9wavefront6targetE0EEEvSP_,@function
_ZN7rocprim17ROCPRIM_400000_NS6detail17trampoline_kernelINS0_14default_configENS1_32segmented_reduce_config_selectorIfEEZNS1_21segmented_reduce_implIS3_PKfPfPKlfN6hipcub16HIPCUB_304000_NS6detail27convert_result_type_wrapperIS8_S9_N2at6native12_GLOBAL__N_19CustomSumEEEEE10hipError_tPvRmT0_T1_jT2_SQ_T4_T3_P12ihipStream_tbEUlT_E_NS1_11comp_targetILNS1_3genE4ELNS1_11target_archE910ELNS1_3gpuE8ELNS1_3repE0EEENS1_30default_config_static_selectorELNS0_4arch9wavefront6targetE0EEEvSP_: ; @_ZN7rocprim17ROCPRIM_400000_NS6detail17trampoline_kernelINS0_14default_configENS1_32segmented_reduce_config_selectorIfEEZNS1_21segmented_reduce_implIS3_PKfPfPKlfN6hipcub16HIPCUB_304000_NS6detail27convert_result_type_wrapperIS8_S9_N2at6native12_GLOBAL__N_19CustomSumEEEEE10hipError_tPvRmT0_T1_jT2_SQ_T4_T3_P12ihipStream_tbEUlT_E_NS1_11comp_targetILNS1_3genE4ELNS1_11target_archE910ELNS1_3gpuE8ELNS1_3repE0EEENS1_30default_config_static_selectorELNS0_4arch9wavefront6targetE0EEEvSP_
; %bb.0:
	.section	.rodata,"a",@progbits
	.p2align	6, 0x0
	.amdhsa_kernel _ZN7rocprim17ROCPRIM_400000_NS6detail17trampoline_kernelINS0_14default_configENS1_32segmented_reduce_config_selectorIfEEZNS1_21segmented_reduce_implIS3_PKfPfPKlfN6hipcub16HIPCUB_304000_NS6detail27convert_result_type_wrapperIS8_S9_N2at6native12_GLOBAL__N_19CustomSumEEEEE10hipError_tPvRmT0_T1_jT2_SQ_T4_T3_P12ihipStream_tbEUlT_E_NS1_11comp_targetILNS1_3genE4ELNS1_11target_archE910ELNS1_3gpuE8ELNS1_3repE0EEENS1_30default_config_static_selectorELNS0_4arch9wavefront6targetE0EEEvSP_
		.amdhsa_group_segment_fixed_size 0
		.amdhsa_private_segment_fixed_size 0
		.amdhsa_kernarg_size 48
		.amdhsa_user_sgpr_count 15
		.amdhsa_user_sgpr_dispatch_ptr 0
		.amdhsa_user_sgpr_queue_ptr 0
		.amdhsa_user_sgpr_kernarg_segment_ptr 1
		.amdhsa_user_sgpr_dispatch_id 0
		.amdhsa_user_sgpr_private_segment_size 0
		.amdhsa_wavefront_size32 1
		.amdhsa_uses_dynamic_stack 0
		.amdhsa_enable_private_segment 0
		.amdhsa_system_sgpr_workgroup_id_x 1
		.amdhsa_system_sgpr_workgroup_id_y 0
		.amdhsa_system_sgpr_workgroup_id_z 0
		.amdhsa_system_sgpr_workgroup_info 0
		.amdhsa_system_vgpr_workitem_id 0
		.amdhsa_next_free_vgpr 1
		.amdhsa_next_free_sgpr 1
		.amdhsa_reserve_vcc 0
		.amdhsa_float_round_mode_32 0
		.amdhsa_float_round_mode_16_64 0
		.amdhsa_float_denorm_mode_32 3
		.amdhsa_float_denorm_mode_16_64 3
		.amdhsa_dx10_clamp 1
		.amdhsa_ieee_mode 1
		.amdhsa_fp16_overflow 0
		.amdhsa_workgroup_processor_mode 1
		.amdhsa_memory_ordered 1
		.amdhsa_forward_progress 0
		.amdhsa_shared_vgpr_count 0
		.amdhsa_exception_fp_ieee_invalid_op 0
		.amdhsa_exception_fp_denorm_src 0
		.amdhsa_exception_fp_ieee_div_zero 0
		.amdhsa_exception_fp_ieee_overflow 0
		.amdhsa_exception_fp_ieee_underflow 0
		.amdhsa_exception_fp_ieee_inexact 0
		.amdhsa_exception_int_div_zero 0
	.end_amdhsa_kernel
	.section	.text._ZN7rocprim17ROCPRIM_400000_NS6detail17trampoline_kernelINS0_14default_configENS1_32segmented_reduce_config_selectorIfEEZNS1_21segmented_reduce_implIS3_PKfPfPKlfN6hipcub16HIPCUB_304000_NS6detail27convert_result_type_wrapperIS8_S9_N2at6native12_GLOBAL__N_19CustomSumEEEEE10hipError_tPvRmT0_T1_jT2_SQ_T4_T3_P12ihipStream_tbEUlT_E_NS1_11comp_targetILNS1_3genE4ELNS1_11target_archE910ELNS1_3gpuE8ELNS1_3repE0EEENS1_30default_config_static_selectorELNS0_4arch9wavefront6targetE0EEEvSP_,"axG",@progbits,_ZN7rocprim17ROCPRIM_400000_NS6detail17trampoline_kernelINS0_14default_configENS1_32segmented_reduce_config_selectorIfEEZNS1_21segmented_reduce_implIS3_PKfPfPKlfN6hipcub16HIPCUB_304000_NS6detail27convert_result_type_wrapperIS8_S9_N2at6native12_GLOBAL__N_19CustomSumEEEEE10hipError_tPvRmT0_T1_jT2_SQ_T4_T3_P12ihipStream_tbEUlT_E_NS1_11comp_targetILNS1_3genE4ELNS1_11target_archE910ELNS1_3gpuE8ELNS1_3repE0EEENS1_30default_config_static_selectorELNS0_4arch9wavefront6targetE0EEEvSP_,comdat
.Lfunc_end190:
	.size	_ZN7rocprim17ROCPRIM_400000_NS6detail17trampoline_kernelINS0_14default_configENS1_32segmented_reduce_config_selectorIfEEZNS1_21segmented_reduce_implIS3_PKfPfPKlfN6hipcub16HIPCUB_304000_NS6detail27convert_result_type_wrapperIS8_S9_N2at6native12_GLOBAL__N_19CustomSumEEEEE10hipError_tPvRmT0_T1_jT2_SQ_T4_T3_P12ihipStream_tbEUlT_E_NS1_11comp_targetILNS1_3genE4ELNS1_11target_archE910ELNS1_3gpuE8ELNS1_3repE0EEENS1_30default_config_static_selectorELNS0_4arch9wavefront6targetE0EEEvSP_, .Lfunc_end190-_ZN7rocprim17ROCPRIM_400000_NS6detail17trampoline_kernelINS0_14default_configENS1_32segmented_reduce_config_selectorIfEEZNS1_21segmented_reduce_implIS3_PKfPfPKlfN6hipcub16HIPCUB_304000_NS6detail27convert_result_type_wrapperIS8_S9_N2at6native12_GLOBAL__N_19CustomSumEEEEE10hipError_tPvRmT0_T1_jT2_SQ_T4_T3_P12ihipStream_tbEUlT_E_NS1_11comp_targetILNS1_3genE4ELNS1_11target_archE910ELNS1_3gpuE8ELNS1_3repE0EEENS1_30default_config_static_selectorELNS0_4arch9wavefront6targetE0EEEvSP_
                                        ; -- End function
	.section	.AMDGPU.csdata,"",@progbits
; Kernel info:
; codeLenInByte = 0
; NumSgprs: 0
; NumVgprs: 0
; ScratchSize: 0
; MemoryBound: 0
; FloatMode: 240
; IeeeMode: 1
; LDSByteSize: 0 bytes/workgroup (compile time only)
; SGPRBlocks: 0
; VGPRBlocks: 0
; NumSGPRsForWavesPerEU: 1
; NumVGPRsForWavesPerEU: 1
; Occupancy: 16
; WaveLimiterHint : 0
; COMPUTE_PGM_RSRC2:SCRATCH_EN: 0
; COMPUTE_PGM_RSRC2:USER_SGPR: 15
; COMPUTE_PGM_RSRC2:TRAP_HANDLER: 0
; COMPUTE_PGM_RSRC2:TGID_X_EN: 1
; COMPUTE_PGM_RSRC2:TGID_Y_EN: 0
; COMPUTE_PGM_RSRC2:TGID_Z_EN: 0
; COMPUTE_PGM_RSRC2:TIDIG_COMP_CNT: 0
	.section	.text._ZN7rocprim17ROCPRIM_400000_NS6detail17trampoline_kernelINS0_14default_configENS1_32segmented_reduce_config_selectorIfEEZNS1_21segmented_reduce_implIS3_PKfPfPKlfN6hipcub16HIPCUB_304000_NS6detail27convert_result_type_wrapperIS8_S9_N2at6native12_GLOBAL__N_19CustomSumEEEEE10hipError_tPvRmT0_T1_jT2_SQ_T4_T3_P12ihipStream_tbEUlT_E_NS1_11comp_targetILNS1_3genE3ELNS1_11target_archE908ELNS1_3gpuE7ELNS1_3repE0EEENS1_30default_config_static_selectorELNS0_4arch9wavefront6targetE0EEEvSP_,"axG",@progbits,_ZN7rocprim17ROCPRIM_400000_NS6detail17trampoline_kernelINS0_14default_configENS1_32segmented_reduce_config_selectorIfEEZNS1_21segmented_reduce_implIS3_PKfPfPKlfN6hipcub16HIPCUB_304000_NS6detail27convert_result_type_wrapperIS8_S9_N2at6native12_GLOBAL__N_19CustomSumEEEEE10hipError_tPvRmT0_T1_jT2_SQ_T4_T3_P12ihipStream_tbEUlT_E_NS1_11comp_targetILNS1_3genE3ELNS1_11target_archE908ELNS1_3gpuE7ELNS1_3repE0EEENS1_30default_config_static_selectorELNS0_4arch9wavefront6targetE0EEEvSP_,comdat
	.globl	_ZN7rocprim17ROCPRIM_400000_NS6detail17trampoline_kernelINS0_14default_configENS1_32segmented_reduce_config_selectorIfEEZNS1_21segmented_reduce_implIS3_PKfPfPKlfN6hipcub16HIPCUB_304000_NS6detail27convert_result_type_wrapperIS8_S9_N2at6native12_GLOBAL__N_19CustomSumEEEEE10hipError_tPvRmT0_T1_jT2_SQ_T4_T3_P12ihipStream_tbEUlT_E_NS1_11comp_targetILNS1_3genE3ELNS1_11target_archE908ELNS1_3gpuE7ELNS1_3repE0EEENS1_30default_config_static_selectorELNS0_4arch9wavefront6targetE0EEEvSP_ ; -- Begin function _ZN7rocprim17ROCPRIM_400000_NS6detail17trampoline_kernelINS0_14default_configENS1_32segmented_reduce_config_selectorIfEEZNS1_21segmented_reduce_implIS3_PKfPfPKlfN6hipcub16HIPCUB_304000_NS6detail27convert_result_type_wrapperIS8_S9_N2at6native12_GLOBAL__N_19CustomSumEEEEE10hipError_tPvRmT0_T1_jT2_SQ_T4_T3_P12ihipStream_tbEUlT_E_NS1_11comp_targetILNS1_3genE3ELNS1_11target_archE908ELNS1_3gpuE7ELNS1_3repE0EEENS1_30default_config_static_selectorELNS0_4arch9wavefront6targetE0EEEvSP_
	.p2align	8
	.type	_ZN7rocprim17ROCPRIM_400000_NS6detail17trampoline_kernelINS0_14default_configENS1_32segmented_reduce_config_selectorIfEEZNS1_21segmented_reduce_implIS3_PKfPfPKlfN6hipcub16HIPCUB_304000_NS6detail27convert_result_type_wrapperIS8_S9_N2at6native12_GLOBAL__N_19CustomSumEEEEE10hipError_tPvRmT0_T1_jT2_SQ_T4_T3_P12ihipStream_tbEUlT_E_NS1_11comp_targetILNS1_3genE3ELNS1_11target_archE908ELNS1_3gpuE7ELNS1_3repE0EEENS1_30default_config_static_selectorELNS0_4arch9wavefront6targetE0EEEvSP_,@function
_ZN7rocprim17ROCPRIM_400000_NS6detail17trampoline_kernelINS0_14default_configENS1_32segmented_reduce_config_selectorIfEEZNS1_21segmented_reduce_implIS3_PKfPfPKlfN6hipcub16HIPCUB_304000_NS6detail27convert_result_type_wrapperIS8_S9_N2at6native12_GLOBAL__N_19CustomSumEEEEE10hipError_tPvRmT0_T1_jT2_SQ_T4_T3_P12ihipStream_tbEUlT_E_NS1_11comp_targetILNS1_3genE3ELNS1_11target_archE908ELNS1_3gpuE7ELNS1_3repE0EEENS1_30default_config_static_selectorELNS0_4arch9wavefront6targetE0EEEvSP_: ; @_ZN7rocprim17ROCPRIM_400000_NS6detail17trampoline_kernelINS0_14default_configENS1_32segmented_reduce_config_selectorIfEEZNS1_21segmented_reduce_implIS3_PKfPfPKlfN6hipcub16HIPCUB_304000_NS6detail27convert_result_type_wrapperIS8_S9_N2at6native12_GLOBAL__N_19CustomSumEEEEE10hipError_tPvRmT0_T1_jT2_SQ_T4_T3_P12ihipStream_tbEUlT_E_NS1_11comp_targetILNS1_3genE3ELNS1_11target_archE908ELNS1_3gpuE7ELNS1_3repE0EEENS1_30default_config_static_selectorELNS0_4arch9wavefront6targetE0EEEvSP_
; %bb.0:
	.section	.rodata,"a",@progbits
	.p2align	6, 0x0
	.amdhsa_kernel _ZN7rocprim17ROCPRIM_400000_NS6detail17trampoline_kernelINS0_14default_configENS1_32segmented_reduce_config_selectorIfEEZNS1_21segmented_reduce_implIS3_PKfPfPKlfN6hipcub16HIPCUB_304000_NS6detail27convert_result_type_wrapperIS8_S9_N2at6native12_GLOBAL__N_19CustomSumEEEEE10hipError_tPvRmT0_T1_jT2_SQ_T4_T3_P12ihipStream_tbEUlT_E_NS1_11comp_targetILNS1_3genE3ELNS1_11target_archE908ELNS1_3gpuE7ELNS1_3repE0EEENS1_30default_config_static_selectorELNS0_4arch9wavefront6targetE0EEEvSP_
		.amdhsa_group_segment_fixed_size 0
		.amdhsa_private_segment_fixed_size 0
		.amdhsa_kernarg_size 48
		.amdhsa_user_sgpr_count 15
		.amdhsa_user_sgpr_dispatch_ptr 0
		.amdhsa_user_sgpr_queue_ptr 0
		.amdhsa_user_sgpr_kernarg_segment_ptr 1
		.amdhsa_user_sgpr_dispatch_id 0
		.amdhsa_user_sgpr_private_segment_size 0
		.amdhsa_wavefront_size32 1
		.amdhsa_uses_dynamic_stack 0
		.amdhsa_enable_private_segment 0
		.amdhsa_system_sgpr_workgroup_id_x 1
		.amdhsa_system_sgpr_workgroup_id_y 0
		.amdhsa_system_sgpr_workgroup_id_z 0
		.amdhsa_system_sgpr_workgroup_info 0
		.amdhsa_system_vgpr_workitem_id 0
		.amdhsa_next_free_vgpr 1
		.amdhsa_next_free_sgpr 1
		.amdhsa_reserve_vcc 0
		.amdhsa_float_round_mode_32 0
		.amdhsa_float_round_mode_16_64 0
		.amdhsa_float_denorm_mode_32 3
		.amdhsa_float_denorm_mode_16_64 3
		.amdhsa_dx10_clamp 1
		.amdhsa_ieee_mode 1
		.amdhsa_fp16_overflow 0
		.amdhsa_workgroup_processor_mode 1
		.amdhsa_memory_ordered 1
		.amdhsa_forward_progress 0
		.amdhsa_shared_vgpr_count 0
		.amdhsa_exception_fp_ieee_invalid_op 0
		.amdhsa_exception_fp_denorm_src 0
		.amdhsa_exception_fp_ieee_div_zero 0
		.amdhsa_exception_fp_ieee_overflow 0
		.amdhsa_exception_fp_ieee_underflow 0
		.amdhsa_exception_fp_ieee_inexact 0
		.amdhsa_exception_int_div_zero 0
	.end_amdhsa_kernel
	.section	.text._ZN7rocprim17ROCPRIM_400000_NS6detail17trampoline_kernelINS0_14default_configENS1_32segmented_reduce_config_selectorIfEEZNS1_21segmented_reduce_implIS3_PKfPfPKlfN6hipcub16HIPCUB_304000_NS6detail27convert_result_type_wrapperIS8_S9_N2at6native12_GLOBAL__N_19CustomSumEEEEE10hipError_tPvRmT0_T1_jT2_SQ_T4_T3_P12ihipStream_tbEUlT_E_NS1_11comp_targetILNS1_3genE3ELNS1_11target_archE908ELNS1_3gpuE7ELNS1_3repE0EEENS1_30default_config_static_selectorELNS0_4arch9wavefront6targetE0EEEvSP_,"axG",@progbits,_ZN7rocprim17ROCPRIM_400000_NS6detail17trampoline_kernelINS0_14default_configENS1_32segmented_reduce_config_selectorIfEEZNS1_21segmented_reduce_implIS3_PKfPfPKlfN6hipcub16HIPCUB_304000_NS6detail27convert_result_type_wrapperIS8_S9_N2at6native12_GLOBAL__N_19CustomSumEEEEE10hipError_tPvRmT0_T1_jT2_SQ_T4_T3_P12ihipStream_tbEUlT_E_NS1_11comp_targetILNS1_3genE3ELNS1_11target_archE908ELNS1_3gpuE7ELNS1_3repE0EEENS1_30default_config_static_selectorELNS0_4arch9wavefront6targetE0EEEvSP_,comdat
.Lfunc_end191:
	.size	_ZN7rocprim17ROCPRIM_400000_NS6detail17trampoline_kernelINS0_14default_configENS1_32segmented_reduce_config_selectorIfEEZNS1_21segmented_reduce_implIS3_PKfPfPKlfN6hipcub16HIPCUB_304000_NS6detail27convert_result_type_wrapperIS8_S9_N2at6native12_GLOBAL__N_19CustomSumEEEEE10hipError_tPvRmT0_T1_jT2_SQ_T4_T3_P12ihipStream_tbEUlT_E_NS1_11comp_targetILNS1_3genE3ELNS1_11target_archE908ELNS1_3gpuE7ELNS1_3repE0EEENS1_30default_config_static_selectorELNS0_4arch9wavefront6targetE0EEEvSP_, .Lfunc_end191-_ZN7rocprim17ROCPRIM_400000_NS6detail17trampoline_kernelINS0_14default_configENS1_32segmented_reduce_config_selectorIfEEZNS1_21segmented_reduce_implIS3_PKfPfPKlfN6hipcub16HIPCUB_304000_NS6detail27convert_result_type_wrapperIS8_S9_N2at6native12_GLOBAL__N_19CustomSumEEEEE10hipError_tPvRmT0_T1_jT2_SQ_T4_T3_P12ihipStream_tbEUlT_E_NS1_11comp_targetILNS1_3genE3ELNS1_11target_archE908ELNS1_3gpuE7ELNS1_3repE0EEENS1_30default_config_static_selectorELNS0_4arch9wavefront6targetE0EEEvSP_
                                        ; -- End function
	.section	.AMDGPU.csdata,"",@progbits
; Kernel info:
; codeLenInByte = 0
; NumSgprs: 0
; NumVgprs: 0
; ScratchSize: 0
; MemoryBound: 0
; FloatMode: 240
; IeeeMode: 1
; LDSByteSize: 0 bytes/workgroup (compile time only)
; SGPRBlocks: 0
; VGPRBlocks: 0
; NumSGPRsForWavesPerEU: 1
; NumVGPRsForWavesPerEU: 1
; Occupancy: 16
; WaveLimiterHint : 0
; COMPUTE_PGM_RSRC2:SCRATCH_EN: 0
; COMPUTE_PGM_RSRC2:USER_SGPR: 15
; COMPUTE_PGM_RSRC2:TRAP_HANDLER: 0
; COMPUTE_PGM_RSRC2:TGID_X_EN: 1
; COMPUTE_PGM_RSRC2:TGID_Y_EN: 0
; COMPUTE_PGM_RSRC2:TGID_Z_EN: 0
; COMPUTE_PGM_RSRC2:TIDIG_COMP_CNT: 0
	.section	.text._ZN7rocprim17ROCPRIM_400000_NS6detail17trampoline_kernelINS0_14default_configENS1_32segmented_reduce_config_selectorIfEEZNS1_21segmented_reduce_implIS3_PKfPfPKlfN6hipcub16HIPCUB_304000_NS6detail27convert_result_type_wrapperIS8_S9_N2at6native12_GLOBAL__N_19CustomSumEEEEE10hipError_tPvRmT0_T1_jT2_SQ_T4_T3_P12ihipStream_tbEUlT_E_NS1_11comp_targetILNS1_3genE2ELNS1_11target_archE906ELNS1_3gpuE6ELNS1_3repE0EEENS1_30default_config_static_selectorELNS0_4arch9wavefront6targetE0EEEvSP_,"axG",@progbits,_ZN7rocprim17ROCPRIM_400000_NS6detail17trampoline_kernelINS0_14default_configENS1_32segmented_reduce_config_selectorIfEEZNS1_21segmented_reduce_implIS3_PKfPfPKlfN6hipcub16HIPCUB_304000_NS6detail27convert_result_type_wrapperIS8_S9_N2at6native12_GLOBAL__N_19CustomSumEEEEE10hipError_tPvRmT0_T1_jT2_SQ_T4_T3_P12ihipStream_tbEUlT_E_NS1_11comp_targetILNS1_3genE2ELNS1_11target_archE906ELNS1_3gpuE6ELNS1_3repE0EEENS1_30default_config_static_selectorELNS0_4arch9wavefront6targetE0EEEvSP_,comdat
	.globl	_ZN7rocprim17ROCPRIM_400000_NS6detail17trampoline_kernelINS0_14default_configENS1_32segmented_reduce_config_selectorIfEEZNS1_21segmented_reduce_implIS3_PKfPfPKlfN6hipcub16HIPCUB_304000_NS6detail27convert_result_type_wrapperIS8_S9_N2at6native12_GLOBAL__N_19CustomSumEEEEE10hipError_tPvRmT0_T1_jT2_SQ_T4_T3_P12ihipStream_tbEUlT_E_NS1_11comp_targetILNS1_3genE2ELNS1_11target_archE906ELNS1_3gpuE6ELNS1_3repE0EEENS1_30default_config_static_selectorELNS0_4arch9wavefront6targetE0EEEvSP_ ; -- Begin function _ZN7rocprim17ROCPRIM_400000_NS6detail17trampoline_kernelINS0_14default_configENS1_32segmented_reduce_config_selectorIfEEZNS1_21segmented_reduce_implIS3_PKfPfPKlfN6hipcub16HIPCUB_304000_NS6detail27convert_result_type_wrapperIS8_S9_N2at6native12_GLOBAL__N_19CustomSumEEEEE10hipError_tPvRmT0_T1_jT2_SQ_T4_T3_P12ihipStream_tbEUlT_E_NS1_11comp_targetILNS1_3genE2ELNS1_11target_archE906ELNS1_3gpuE6ELNS1_3repE0EEENS1_30default_config_static_selectorELNS0_4arch9wavefront6targetE0EEEvSP_
	.p2align	8
	.type	_ZN7rocprim17ROCPRIM_400000_NS6detail17trampoline_kernelINS0_14default_configENS1_32segmented_reduce_config_selectorIfEEZNS1_21segmented_reduce_implIS3_PKfPfPKlfN6hipcub16HIPCUB_304000_NS6detail27convert_result_type_wrapperIS8_S9_N2at6native12_GLOBAL__N_19CustomSumEEEEE10hipError_tPvRmT0_T1_jT2_SQ_T4_T3_P12ihipStream_tbEUlT_E_NS1_11comp_targetILNS1_3genE2ELNS1_11target_archE906ELNS1_3gpuE6ELNS1_3repE0EEENS1_30default_config_static_selectorELNS0_4arch9wavefront6targetE0EEEvSP_,@function
_ZN7rocprim17ROCPRIM_400000_NS6detail17trampoline_kernelINS0_14default_configENS1_32segmented_reduce_config_selectorIfEEZNS1_21segmented_reduce_implIS3_PKfPfPKlfN6hipcub16HIPCUB_304000_NS6detail27convert_result_type_wrapperIS8_S9_N2at6native12_GLOBAL__N_19CustomSumEEEEE10hipError_tPvRmT0_T1_jT2_SQ_T4_T3_P12ihipStream_tbEUlT_E_NS1_11comp_targetILNS1_3genE2ELNS1_11target_archE906ELNS1_3gpuE6ELNS1_3repE0EEENS1_30default_config_static_selectorELNS0_4arch9wavefront6targetE0EEEvSP_: ; @_ZN7rocprim17ROCPRIM_400000_NS6detail17trampoline_kernelINS0_14default_configENS1_32segmented_reduce_config_selectorIfEEZNS1_21segmented_reduce_implIS3_PKfPfPKlfN6hipcub16HIPCUB_304000_NS6detail27convert_result_type_wrapperIS8_S9_N2at6native12_GLOBAL__N_19CustomSumEEEEE10hipError_tPvRmT0_T1_jT2_SQ_T4_T3_P12ihipStream_tbEUlT_E_NS1_11comp_targetILNS1_3genE2ELNS1_11target_archE906ELNS1_3gpuE6ELNS1_3repE0EEENS1_30default_config_static_selectorELNS0_4arch9wavefront6targetE0EEEvSP_
; %bb.0:
	.section	.rodata,"a",@progbits
	.p2align	6, 0x0
	.amdhsa_kernel _ZN7rocprim17ROCPRIM_400000_NS6detail17trampoline_kernelINS0_14default_configENS1_32segmented_reduce_config_selectorIfEEZNS1_21segmented_reduce_implIS3_PKfPfPKlfN6hipcub16HIPCUB_304000_NS6detail27convert_result_type_wrapperIS8_S9_N2at6native12_GLOBAL__N_19CustomSumEEEEE10hipError_tPvRmT0_T1_jT2_SQ_T4_T3_P12ihipStream_tbEUlT_E_NS1_11comp_targetILNS1_3genE2ELNS1_11target_archE906ELNS1_3gpuE6ELNS1_3repE0EEENS1_30default_config_static_selectorELNS0_4arch9wavefront6targetE0EEEvSP_
		.amdhsa_group_segment_fixed_size 0
		.amdhsa_private_segment_fixed_size 0
		.amdhsa_kernarg_size 48
		.amdhsa_user_sgpr_count 15
		.amdhsa_user_sgpr_dispatch_ptr 0
		.amdhsa_user_sgpr_queue_ptr 0
		.amdhsa_user_sgpr_kernarg_segment_ptr 1
		.amdhsa_user_sgpr_dispatch_id 0
		.amdhsa_user_sgpr_private_segment_size 0
		.amdhsa_wavefront_size32 1
		.amdhsa_uses_dynamic_stack 0
		.amdhsa_enable_private_segment 0
		.amdhsa_system_sgpr_workgroup_id_x 1
		.amdhsa_system_sgpr_workgroup_id_y 0
		.amdhsa_system_sgpr_workgroup_id_z 0
		.amdhsa_system_sgpr_workgroup_info 0
		.amdhsa_system_vgpr_workitem_id 0
		.amdhsa_next_free_vgpr 1
		.amdhsa_next_free_sgpr 1
		.amdhsa_reserve_vcc 0
		.amdhsa_float_round_mode_32 0
		.amdhsa_float_round_mode_16_64 0
		.amdhsa_float_denorm_mode_32 3
		.amdhsa_float_denorm_mode_16_64 3
		.amdhsa_dx10_clamp 1
		.amdhsa_ieee_mode 1
		.amdhsa_fp16_overflow 0
		.amdhsa_workgroup_processor_mode 1
		.amdhsa_memory_ordered 1
		.amdhsa_forward_progress 0
		.amdhsa_shared_vgpr_count 0
		.amdhsa_exception_fp_ieee_invalid_op 0
		.amdhsa_exception_fp_denorm_src 0
		.amdhsa_exception_fp_ieee_div_zero 0
		.amdhsa_exception_fp_ieee_overflow 0
		.amdhsa_exception_fp_ieee_underflow 0
		.amdhsa_exception_fp_ieee_inexact 0
		.amdhsa_exception_int_div_zero 0
	.end_amdhsa_kernel
	.section	.text._ZN7rocprim17ROCPRIM_400000_NS6detail17trampoline_kernelINS0_14default_configENS1_32segmented_reduce_config_selectorIfEEZNS1_21segmented_reduce_implIS3_PKfPfPKlfN6hipcub16HIPCUB_304000_NS6detail27convert_result_type_wrapperIS8_S9_N2at6native12_GLOBAL__N_19CustomSumEEEEE10hipError_tPvRmT0_T1_jT2_SQ_T4_T3_P12ihipStream_tbEUlT_E_NS1_11comp_targetILNS1_3genE2ELNS1_11target_archE906ELNS1_3gpuE6ELNS1_3repE0EEENS1_30default_config_static_selectorELNS0_4arch9wavefront6targetE0EEEvSP_,"axG",@progbits,_ZN7rocprim17ROCPRIM_400000_NS6detail17trampoline_kernelINS0_14default_configENS1_32segmented_reduce_config_selectorIfEEZNS1_21segmented_reduce_implIS3_PKfPfPKlfN6hipcub16HIPCUB_304000_NS6detail27convert_result_type_wrapperIS8_S9_N2at6native12_GLOBAL__N_19CustomSumEEEEE10hipError_tPvRmT0_T1_jT2_SQ_T4_T3_P12ihipStream_tbEUlT_E_NS1_11comp_targetILNS1_3genE2ELNS1_11target_archE906ELNS1_3gpuE6ELNS1_3repE0EEENS1_30default_config_static_selectorELNS0_4arch9wavefront6targetE0EEEvSP_,comdat
.Lfunc_end192:
	.size	_ZN7rocprim17ROCPRIM_400000_NS6detail17trampoline_kernelINS0_14default_configENS1_32segmented_reduce_config_selectorIfEEZNS1_21segmented_reduce_implIS3_PKfPfPKlfN6hipcub16HIPCUB_304000_NS6detail27convert_result_type_wrapperIS8_S9_N2at6native12_GLOBAL__N_19CustomSumEEEEE10hipError_tPvRmT0_T1_jT2_SQ_T4_T3_P12ihipStream_tbEUlT_E_NS1_11comp_targetILNS1_3genE2ELNS1_11target_archE906ELNS1_3gpuE6ELNS1_3repE0EEENS1_30default_config_static_selectorELNS0_4arch9wavefront6targetE0EEEvSP_, .Lfunc_end192-_ZN7rocprim17ROCPRIM_400000_NS6detail17trampoline_kernelINS0_14default_configENS1_32segmented_reduce_config_selectorIfEEZNS1_21segmented_reduce_implIS3_PKfPfPKlfN6hipcub16HIPCUB_304000_NS6detail27convert_result_type_wrapperIS8_S9_N2at6native12_GLOBAL__N_19CustomSumEEEEE10hipError_tPvRmT0_T1_jT2_SQ_T4_T3_P12ihipStream_tbEUlT_E_NS1_11comp_targetILNS1_3genE2ELNS1_11target_archE906ELNS1_3gpuE6ELNS1_3repE0EEENS1_30default_config_static_selectorELNS0_4arch9wavefront6targetE0EEEvSP_
                                        ; -- End function
	.section	.AMDGPU.csdata,"",@progbits
; Kernel info:
; codeLenInByte = 0
; NumSgprs: 0
; NumVgprs: 0
; ScratchSize: 0
; MemoryBound: 0
; FloatMode: 240
; IeeeMode: 1
; LDSByteSize: 0 bytes/workgroup (compile time only)
; SGPRBlocks: 0
; VGPRBlocks: 0
; NumSGPRsForWavesPerEU: 1
; NumVGPRsForWavesPerEU: 1
; Occupancy: 16
; WaveLimiterHint : 0
; COMPUTE_PGM_RSRC2:SCRATCH_EN: 0
; COMPUTE_PGM_RSRC2:USER_SGPR: 15
; COMPUTE_PGM_RSRC2:TRAP_HANDLER: 0
; COMPUTE_PGM_RSRC2:TGID_X_EN: 1
; COMPUTE_PGM_RSRC2:TGID_Y_EN: 0
; COMPUTE_PGM_RSRC2:TGID_Z_EN: 0
; COMPUTE_PGM_RSRC2:TIDIG_COMP_CNT: 0
	.section	.text._ZN7rocprim17ROCPRIM_400000_NS6detail17trampoline_kernelINS0_14default_configENS1_32segmented_reduce_config_selectorIfEEZNS1_21segmented_reduce_implIS3_PKfPfPKlfN6hipcub16HIPCUB_304000_NS6detail27convert_result_type_wrapperIS8_S9_N2at6native12_GLOBAL__N_19CustomSumEEEEE10hipError_tPvRmT0_T1_jT2_SQ_T4_T3_P12ihipStream_tbEUlT_E_NS1_11comp_targetILNS1_3genE9ELNS1_11target_archE1100ELNS1_3gpuE3ELNS1_3repE0EEENS1_30default_config_static_selectorELNS0_4arch9wavefront6targetE0EEEvSP_,"axG",@progbits,_ZN7rocprim17ROCPRIM_400000_NS6detail17trampoline_kernelINS0_14default_configENS1_32segmented_reduce_config_selectorIfEEZNS1_21segmented_reduce_implIS3_PKfPfPKlfN6hipcub16HIPCUB_304000_NS6detail27convert_result_type_wrapperIS8_S9_N2at6native12_GLOBAL__N_19CustomSumEEEEE10hipError_tPvRmT0_T1_jT2_SQ_T4_T3_P12ihipStream_tbEUlT_E_NS1_11comp_targetILNS1_3genE9ELNS1_11target_archE1100ELNS1_3gpuE3ELNS1_3repE0EEENS1_30default_config_static_selectorELNS0_4arch9wavefront6targetE0EEEvSP_,comdat
	.globl	_ZN7rocprim17ROCPRIM_400000_NS6detail17trampoline_kernelINS0_14default_configENS1_32segmented_reduce_config_selectorIfEEZNS1_21segmented_reduce_implIS3_PKfPfPKlfN6hipcub16HIPCUB_304000_NS6detail27convert_result_type_wrapperIS8_S9_N2at6native12_GLOBAL__N_19CustomSumEEEEE10hipError_tPvRmT0_T1_jT2_SQ_T4_T3_P12ihipStream_tbEUlT_E_NS1_11comp_targetILNS1_3genE9ELNS1_11target_archE1100ELNS1_3gpuE3ELNS1_3repE0EEENS1_30default_config_static_selectorELNS0_4arch9wavefront6targetE0EEEvSP_ ; -- Begin function _ZN7rocprim17ROCPRIM_400000_NS6detail17trampoline_kernelINS0_14default_configENS1_32segmented_reduce_config_selectorIfEEZNS1_21segmented_reduce_implIS3_PKfPfPKlfN6hipcub16HIPCUB_304000_NS6detail27convert_result_type_wrapperIS8_S9_N2at6native12_GLOBAL__N_19CustomSumEEEEE10hipError_tPvRmT0_T1_jT2_SQ_T4_T3_P12ihipStream_tbEUlT_E_NS1_11comp_targetILNS1_3genE9ELNS1_11target_archE1100ELNS1_3gpuE3ELNS1_3repE0EEENS1_30default_config_static_selectorELNS0_4arch9wavefront6targetE0EEEvSP_
	.p2align	8
	.type	_ZN7rocprim17ROCPRIM_400000_NS6detail17trampoline_kernelINS0_14default_configENS1_32segmented_reduce_config_selectorIfEEZNS1_21segmented_reduce_implIS3_PKfPfPKlfN6hipcub16HIPCUB_304000_NS6detail27convert_result_type_wrapperIS8_S9_N2at6native12_GLOBAL__N_19CustomSumEEEEE10hipError_tPvRmT0_T1_jT2_SQ_T4_T3_P12ihipStream_tbEUlT_E_NS1_11comp_targetILNS1_3genE9ELNS1_11target_archE1100ELNS1_3gpuE3ELNS1_3repE0EEENS1_30default_config_static_selectorELNS0_4arch9wavefront6targetE0EEEvSP_,@function
_ZN7rocprim17ROCPRIM_400000_NS6detail17trampoline_kernelINS0_14default_configENS1_32segmented_reduce_config_selectorIfEEZNS1_21segmented_reduce_implIS3_PKfPfPKlfN6hipcub16HIPCUB_304000_NS6detail27convert_result_type_wrapperIS8_S9_N2at6native12_GLOBAL__N_19CustomSumEEEEE10hipError_tPvRmT0_T1_jT2_SQ_T4_T3_P12ihipStream_tbEUlT_E_NS1_11comp_targetILNS1_3genE9ELNS1_11target_archE1100ELNS1_3gpuE3ELNS1_3repE0EEENS1_30default_config_static_selectorELNS0_4arch9wavefront6targetE0EEEvSP_: ; @_ZN7rocprim17ROCPRIM_400000_NS6detail17trampoline_kernelINS0_14default_configENS1_32segmented_reduce_config_selectorIfEEZNS1_21segmented_reduce_implIS3_PKfPfPKlfN6hipcub16HIPCUB_304000_NS6detail27convert_result_type_wrapperIS8_S9_N2at6native12_GLOBAL__N_19CustomSumEEEEE10hipError_tPvRmT0_T1_jT2_SQ_T4_T3_P12ihipStream_tbEUlT_E_NS1_11comp_targetILNS1_3genE9ELNS1_11target_archE1100ELNS1_3gpuE3ELNS1_3repE0EEENS1_30default_config_static_selectorELNS0_4arch9wavefront6targetE0EEEvSP_
; %bb.0:
	s_clause 0x1
	s_load_b256 s[16:23], s[0:1], 0x0
	s_load_b64 s[2:3], s[0:1], 0x20
	s_mov_b32 s24, s15
	s_mov_b32 s25, 0
	s_load_b32 s15, s[0:1], 0x2c
	s_waitcnt lgkmcnt(0)
	s_lshl_b64 s[4:5], s[20:21], 3
	s_delay_alu instid0(SALU_CYCLE_1) | instskip(SKIP_4) | instid1(SALU_CYCLE_1)
	s_add_u32 s6, s22, s4
	s_addc_u32 s7, s23, s5
	s_add_u32 s4, s2, s4
	s_addc_u32 s5, s3, s5
	s_lshl_b64 s[0:1], s[24:25], 3
	s_add_u32 s2, s6, s0
	s_addc_u32 s3, s7, s1
	s_add_u32 s0, s4, s0
	s_addc_u32 s1, s5, s1
	s_load_b64 s[26:27], s[2:3], 0x0
	s_load_b64 s[22:23], s[0:1], 0x0
	s_waitcnt lgkmcnt(0)
	v_cmp_gt_i64_e64 s0, s[22:23], s[26:27]
	s_delay_alu instid0(VALU_DEP_1)
	s_and_b32 vcc_lo, exec_lo, s0
	v_cmp_eq_u32_e64 s0, 0, v0
	s_cbranch_vccnz .LBB193_3
; %bb.1:
	s_delay_alu instid0(VALU_DEP_1)
	s_and_b32 s30, s0, exec_lo
	s_cbranch_execz .LBB193_4
; %bb.2:
	v_mov_b32_e32 v1, s15
	s_and_saveexec_b32 s0, s30
	s_cbranch_execnz .LBB193_67
	s_branch .LBB193_68
.LBB193_3:
	s_mov_b32 s30, s25
.LBB193_4:
	s_add_u32 s0, s26, 0x1000
	s_addc_u32 s1, s27, 0
	s_delay_alu instid0(SALU_CYCLE_1) | instskip(NEXT) | instid1(VALU_DEP_1)
	v_cmp_le_i64_e64 s2, s[0:1], s[22:23]
	s_and_b32 vcc_lo, exec_lo, s2
	s_cbranch_vccz .LBB193_45
; %bb.5:
	s_lshl_b64 s[2:3], s[26:27], 2
	v_lshlrev_b32_e32 v20, 2, v0
	s_add_u32 s4, s16, s2
	s_addc_u32 s5, s17, s3
	s_clause 0x1
	global_load_b32 v4, v20, s[4:5]
	global_load_b32 v3, v20, s[4:5] offset:1024
	v_add_co_u32 v16, s6, s4, v20
	s_delay_alu instid0(VALU_DEP_1)
	v_add_co_ci_u32_e64 v17, null, s5, 0, s6
	s_clause 0x1
	global_load_b32 v6, v20, s[4:5] offset:2048
	global_load_b32 v5, v20, s[4:5] offset:3072
	v_add_co_u32 v1, vcc_lo, v16, 0x2000
	v_add_co_ci_u32_e32 v2, vcc_lo, 0, v17, vcc_lo
	v_add_co_u32 v11, vcc_lo, 0x1000, v16
	v_add_co_ci_u32_e32 v12, vcc_lo, 0, v17, vcc_lo
	s_clause 0x3
	global_load_b32 v10, v[1:2], off offset:-4096
	global_load_b32 v9, v[11:12], off offset:1024
	global_load_b32 v8, v[11:12], off offset:2048
	;; [unrolled: 1-line block ×3, first 2 shown]
	v_add_co_u32 v14, vcc_lo, 0x2000, v16
	v_add_co_ci_u32_e32 v15, vcc_lo, 0, v17, vcc_lo
	s_clause 0x2
	global_load_b32 v13, v[1:2], off
	global_load_b32 v12, v[14:15], off offset:1024
	global_load_b32 v11, v[14:15], off offset:2048
	v_add_co_u32 v1, vcc_lo, 0x3000, v16
	v_add_co_ci_u32_e32 v2, vcc_lo, 0, v17, vcc_lo
	s_clause 0x4
	global_load_b32 v14, v[14:15], off offset:3072
	global_load_b32 v17, v[1:2], off
	global_load_b32 v16, v[1:2], off offset:1024
	global_load_b32 v15, v[1:2], off offset:2048
	;; [unrolled: 1-line block ×3, first 2 shown]
	s_add_u32 s4, s26, 0x2000
	s_addc_u32 s5, s27, 0
	s_delay_alu instid0(SALU_CYCLE_1) | instskip(NEXT) | instid1(VALU_DEP_1)
	v_cmp_ge_i64_e64 s4, s[4:5], s[22:23]
	s_and_b32 vcc_lo, exec_lo, s4
	s_waitcnt vmcnt(14)
	v_add_f32_e32 v1, v4, v3
	s_waitcnt vmcnt(13)
	s_delay_alu instid0(VALU_DEP_1) | instskip(SKIP_1) | instid1(VALU_DEP_1)
	v_add_f32_e32 v1, v1, v6
	s_waitcnt vmcnt(12)
	v_add_f32_e32 v1, v1, v5
	s_waitcnt vmcnt(11)
	s_delay_alu instid0(VALU_DEP_1) | instskip(SKIP_1) | instid1(VALU_DEP_1)
	v_add_f32_e32 v1, v1, v10
	;; [unrolled: 5-line block ×7, first 2 shown]
	s_waitcnt vmcnt(0)
	v_add_f32_e32 v19, v1, v18
	s_cbranch_vccnz .LBB193_8
; %bb.6:
	s_add_u32 s2, s16, s2
	s_addc_u32 s3, s17, s3
	v_add_co_u32 v1, s2, s2, v20
	s_delay_alu instid0(VALU_DEP_1) | instskip(NEXT) | instid1(VALU_DEP_2)
	v_add_co_ci_u32_e64 v2, null, s3, 0, s2
	v_add_co_u32 v1, vcc_lo, 0x4000, v1
	s_delay_alu instid0(VALU_DEP_2)
	v_add_co_ci_u32_e32 v2, vcc_lo, 0, v2, vcc_lo
.LBB193_7:                              ; =>This Inner Loop Header: Depth=1
	s_clause 0x3
	global_load_b32 v4, v[1:2], off
	global_load_b32 v3, v[1:2], off offset:1024
	global_load_b32 v6, v[1:2], off offset:2048
	;; [unrolled: 1-line block ×3, first 2 shown]
	v_add_co_u32 v11, vcc_lo, v1, 0x2000
	v_add_co_ci_u32_e32 v12, vcc_lo, 0, v2, vcc_lo
	v_add_co_u32 v13, vcc_lo, 0x1000, v1
	v_add_co_ci_u32_e32 v14, vcc_lo, 0, v2, vcc_lo
	s_clause 0x3
	global_load_b32 v10, v[11:12], off offset:-4096
	global_load_b32 v9, v[13:14], off offset:1024
	global_load_b32 v8, v[13:14], off offset:2048
	;; [unrolled: 1-line block ×3, first 2 shown]
	v_add_co_u32 v14, vcc_lo, 0x2000, v1
	v_add_co_ci_u32_e32 v15, vcc_lo, 0, v2, vcc_lo
	s_clause 0x2
	global_load_b32 v13, v[11:12], off
	global_load_b32 v12, v[14:15], off offset:1024
	global_load_b32 v11, v[14:15], off offset:2048
	v_add_co_u32 v21, vcc_lo, 0x3000, v1
	v_add_co_ci_u32_e32 v22, vcc_lo, 0, v2, vcc_lo
	s_clause 0x4
	global_load_b32 v14, v[14:15], off offset:3072
	global_load_b32 v17, v[21:22], off
	global_load_b32 v16, v[21:22], off offset:1024
	global_load_b32 v15, v[21:22], off offset:2048
	;; [unrolled: 1-line block ×3, first 2 shown]
	s_mov_b64 s[2:3], s[0:1]
	v_add_co_u32 v1, vcc_lo, 0x4000, v1
	s_add_u32 s0, s2, 0x1000
	s_addc_u32 s1, s3, 0
	s_add_u32 s2, s2, 0x2000
	s_addc_u32 s3, s3, 0
	v_add_co_ci_u32_e32 v2, vcc_lo, 0, v2, vcc_lo
	v_cmp_lt_i64_e64 s2, s[2:3], s[22:23]
	s_delay_alu instid0(VALU_DEP_1) | instskip(SKIP_3) | instid1(VALU_DEP_1)
	s_and_b32 vcc_lo, exec_lo, s2
	s_waitcnt vmcnt(15)
	v_add_f32_e32 v19, v19, v4
	s_waitcnt vmcnt(14)
	v_add_f32_e32 v19, v19, v3
	s_waitcnt vmcnt(13)
	s_delay_alu instid0(VALU_DEP_1) | instskip(SKIP_1) | instid1(VALU_DEP_1)
	v_add_f32_e32 v19, v19, v6
	s_waitcnt vmcnt(12)
	v_add_f32_e32 v19, v19, v5
	s_waitcnt vmcnt(11)
	s_delay_alu instid0(VALU_DEP_1) | instskip(SKIP_1) | instid1(VALU_DEP_1)
	;; [unrolled: 5-line block ×7, first 2 shown]
	v_add_f32_e32 v19, v19, v15
	s_waitcnt vmcnt(0)
	v_add_f32_e32 v19, v19, v18
	s_cbranch_vccnz .LBB193_7
.LBB193_8:
	s_sub_i32 s14, s22, s0
	s_lshl_b64 s[0:1], s[0:1], 2
	v_cmp_gt_u32_e32 vcc_lo, s14, v0
	s_add_u32 s28, s16, s0
	s_addc_u32 s29, s17, s1
	s_and_saveexec_b32 s0, vcc_lo
	s_cbranch_execz .LBB193_10
; %bb.9:
	global_load_b32 v4, v20, s[28:29]
.LBB193_10:
	s_or_b32 exec_lo, exec_lo, s0
	v_or_b32_e32 v1, 0x100, v0
	s_delay_alu instid0(VALU_DEP_1) | instskip(NEXT) | instid1(VALU_DEP_1)
	v_cmp_gt_u32_e64 s0, s14, v1
	s_and_saveexec_b32 s1, s0
	s_cbranch_execz .LBB193_12
; %bb.11:
	global_load_b32 v3, v20, s[28:29] offset:1024
.LBB193_12:
	s_or_b32 exec_lo, exec_lo, s1
	v_or_b32_e32 v1, 0x200, v0
	s_delay_alu instid0(VALU_DEP_1) | instskip(NEXT) | instid1(VALU_DEP_1)
	v_cmp_gt_u32_e64 s1, s14, v1
	s_and_saveexec_b32 s2, s1
	s_cbranch_execz .LBB193_14
; %bb.13:
	global_load_b32 v6, v20, s[28:29] offset:2048
.LBB193_14:
	;; [unrolled: 9-line block ×3, first 2 shown]
	s_or_b32 exec_lo, exec_lo, s3
	v_or_b32_e32 v1, 0x400, v0
	s_delay_alu instid0(VALU_DEP_1) | instskip(NEXT) | instid1(VALU_DEP_1)
	v_cmp_gt_u32_e64 s3, s14, v1
	s_and_saveexec_b32 s4, s3
	s_cbranch_execz .LBB193_18
; %bb.17:
	v_lshlrev_b32_e32 v1, 2, v1
	global_load_b32 v10, v1, s[28:29]
.LBB193_18:
	s_or_b32 exec_lo, exec_lo, s4
	v_or_b32_e32 v1, 0x500, v0
	s_delay_alu instid0(VALU_DEP_1) | instskip(NEXT) | instid1(VALU_DEP_1)
	v_cmp_gt_u32_e64 s4, s14, v1
	s_and_saveexec_b32 s5, s4
	s_cbranch_execz .LBB193_20
; %bb.19:
	v_lshlrev_b32_e32 v1, 2, v1
	global_load_b32 v9, v1, s[28:29]
.LBB193_20:
	;; [unrolled: 10-line block ×12, first 2 shown]
	s_or_b32 exec_lo, exec_lo, s31
	s_waitcnt vmcnt(0)
	v_add_f32_e32 v1, v19, v4
	s_delay_alu instid0(VALU_DEP_1) | instskip(NEXT) | instid1(VALU_DEP_1)
	v_cndmask_b32_e32 v1, v19, v1, vcc_lo
	v_add_f32_e32 v2, v3, v1
	s_delay_alu instid0(VALU_DEP_1) | instskip(SKIP_1) | instid1(VALU_DEP_1)
	v_cndmask_b32_e64 v1, v1, v2, s0
	s_mov_b32 s0, exec_lo
	v_add_f32_e32 v2, v6, v1
	s_delay_alu instid0(VALU_DEP_1) | instskip(NEXT) | instid1(VALU_DEP_1)
	v_cndmask_b32_e64 v1, v1, v2, s1
	v_add_f32_e32 v2, v5, v1
	s_delay_alu instid0(VALU_DEP_1) | instskip(NEXT) | instid1(VALU_DEP_1)
	v_cndmask_b32_e64 v1, v1, v2, s2
	;; [unrolled: 3-line block ×14, first 2 shown]
	v_mov_b32_dpp v2, v1 quad_perm:[1,0,3,2] row_mask:0xf bank_mask:0xf
	s_delay_alu instid0(VALU_DEP_1) | instskip(NEXT) | instid1(VALU_DEP_1)
	v_add_f32_e32 v1, v1, v2
	v_mov_b32_dpp v2, v1 quad_perm:[2,3,0,1] row_mask:0xf bank_mask:0xf
	s_delay_alu instid0(VALU_DEP_1) | instskip(NEXT) | instid1(VALU_DEP_1)
	v_add_f32_e32 v1, v1, v2
	v_mov_b32_dpp v2, v1 row_ror:4 row_mask:0xf bank_mask:0xf
	s_delay_alu instid0(VALU_DEP_1) | instskip(NEXT) | instid1(VALU_DEP_1)
	v_add_f32_e32 v1, v1, v2
	v_mov_b32_dpp v2, v1 row_ror:8 row_mask:0xf bank_mask:0xf
	s_delay_alu instid0(VALU_DEP_1)
	v_add_f32_e32 v1, v1, v2
	ds_swizzle_b32 v2, v1 offset:swizzle(BROADCAST,32,15)
	s_waitcnt lgkmcnt(0)
	v_dual_add_f32 v1, v1, v2 :: v_dual_mov_b32 v2, 0
	ds_bpermute_b32 v2, v2, v1 offset:124
	v_mbcnt_lo_u32_b32 v1, -1, 0
	s_delay_alu instid0(VALU_DEP_1)
	v_cmpx_eq_u32_e32 0, v1
	s_cbranch_execz .LBB193_42
; %bb.41:
	v_lshrrev_b32_e32 v3, 3, v0
	s_delay_alu instid0(VALU_DEP_1)
	v_and_b32_e32 v3, 28, v3
	s_waitcnt lgkmcnt(0)
	ds_store_b32 v3, v2
.LBB193_42:
	s_or_b32 exec_lo, exec_lo, s0
	s_delay_alu instid0(SALU_CYCLE_1)
	s_mov_b32 s0, exec_lo
	s_waitcnt lgkmcnt(0)
	s_barrier
	buffer_gl0_inv
	v_cmpx_gt_u32_e32 32, v0
	s_cbranch_execz .LBB193_44
; %bb.43:
	v_and_b32_e32 v2, 7, v1
	s_delay_alu instid0(VALU_DEP_1) | instskip(SKIP_3) | instid1(VALU_DEP_1)
	v_lshlrev_b32_e32 v3, 2, v2
	v_cmp_ne_u32_e32 vcc_lo, 7, v2
	ds_load_b32 v3, v3
	v_add_co_ci_u32_e32 v4, vcc_lo, 0, v1, vcc_lo
	v_lshlrev_b32_e32 v4, 2, v4
	s_waitcnt lgkmcnt(0)
	ds_bpermute_b32 v4, v4, v3
	s_waitcnt lgkmcnt(0)
	v_add_f32_e32 v3, v3, v4
	v_cmp_gt_u32_e32 vcc_lo, 6, v2
	v_cndmask_b32_e64 v5, 0, 1, vcc_lo
	v_cmp_gt_u32_e32 vcc_lo, 4, v2
	s_delay_alu instid0(VALU_DEP_2) | instskip(SKIP_1) | instid1(VALU_DEP_2)
	v_lshlrev_b32_e32 v5, 1, v5
	v_cndmask_b32_e64 v2, 0, 1, vcc_lo
	v_add_lshl_u32 v5, v5, v1, 2
	ds_bpermute_b32 v4, v5, v3
	s_waitcnt lgkmcnt(0)
	v_dual_add_f32 v3, v3, v4 :: v_dual_lshlrev_b32 v2, 2, v2
	s_delay_alu instid0(VALU_DEP_1)
	v_add_lshl_u32 v1, v2, v1, 2
	ds_bpermute_b32 v1, v1, v3
	s_waitcnt lgkmcnt(0)
	v_add_f32_e32 v2, v3, v1
.LBB193_44:
	s_or_b32 exec_lo, exec_lo, s0
	s_branch .LBB193_64
.LBB193_45:
                                        ; implicit-def: $vgpr2
	s_cbranch_execz .LBB193_64
; %bb.46:
	s_sub_i32 s2, s22, s26
	s_mov_b32 s1, exec_lo
                                        ; implicit-def: $vgpr5
	v_cmpx_gt_u32_e64 s2, v0
	s_cbranch_execz .LBB193_52
; %bb.47:
	v_add_co_u32 v1, s0, s26, v0
	s_delay_alu instid0(VALU_DEP_1) | instskip(SKIP_1) | instid1(VALU_DEP_1)
	v_add_co_ci_u32_e64 v2, null, s27, 0, s0
	s_mov_b32 s3, exec_lo
	v_lshlrev_b64 v[3:4], 2, v[1:2]
	s_delay_alu instid0(VALU_DEP_1) | instskip(NEXT) | instid1(VALU_DEP_2)
	v_add_co_u32 v3, vcc_lo, s16, v3
	v_add_co_ci_u32_e32 v4, vcc_lo, s17, v4, vcc_lo
	v_add_co_u32 v1, vcc_lo, 0x100, v1
	v_add_co_ci_u32_e32 v2, vcc_lo, 0, v2, vcc_lo
	global_load_b32 v5, v[3:4], off
	v_cmpx_gt_i64_e64 s[22:23], v[1:2]
	s_cbranch_execz .LBB193_51
; %bb.48:
	v_add_co_u32 v3, vcc_lo, 0x400, v3
	v_add_co_ci_u32_e32 v4, vcc_lo, 0, v4, vcc_lo
	s_mov_b32 s4, 0
.LBB193_49:                             ; =>This Inner Loop Header: Depth=1
	global_load_b32 v6, v[3:4], off
	v_add_co_u32 v1, vcc_lo, 0x100, v1
	v_add_co_ci_u32_e32 v2, vcc_lo, 0, v2, vcc_lo
	v_add_co_u32 v3, s0, 0x400, v3
	s_delay_alu instid0(VALU_DEP_1) | instskip(NEXT) | instid1(VALU_DEP_3)
	v_add_co_ci_u32_e64 v4, s0, 0, v4, s0
	v_cmp_le_i64_e32 vcc_lo, s[22:23], v[1:2]
	s_or_b32 s4, vcc_lo, s4
	s_waitcnt vmcnt(0)
	v_add_f32_e32 v5, v5, v6
	s_and_not1_b32 exec_lo, exec_lo, s4
	s_cbranch_execnz .LBB193_49
; %bb.50:
	s_or_b32 exec_lo, exec_lo, s4
.LBB193_51:
	s_delay_alu instid0(SALU_CYCLE_1)
	s_or_b32 exec_lo, exec_lo, s3
.LBB193_52:
	s_delay_alu instid0(SALU_CYCLE_1) | instskip(SKIP_3) | instid1(VALU_DEP_1)
	s_or_b32 exec_lo, exec_lo, s1
	v_mbcnt_lo_u32_b32 v1, -1, 0
	s_cmpk_lt_u32 s2, 0x100
	s_mov_b32 s0, -1
	v_cmp_eq_u32_e32 vcc_lo, 0, v1
	s_cbranch_scc0 .LBB193_58
; %bb.53:
	v_cmp_ne_u32_e64 s0, 31, v1
	v_and_b32_e32 v4, 0xe0, v0
	v_add_nc_u32_e32 v6, 1, v1
	v_cmp_gt_u32_e64 s1, 28, v1
	v_add_nc_u32_e32 v7, 2, v1
	v_add_co_ci_u32_e64 v2, s0, 0, v1, s0
	v_cmp_gt_u32_e64 s0, 30, v1
	v_sub_nc_u32_e64 v4, s2, v4 clamp
	s_delay_alu instid0(VALU_DEP_3) | instskip(NEXT) | instid1(VALU_DEP_3)
	v_lshlrev_b32_e32 v2, 2, v2
	v_cndmask_b32_e64 v3, 0, 1, s0
	s_delay_alu instid0(VALU_DEP_3)
	v_cmp_lt_u32_e64 s0, v6, v4
	v_cndmask_b32_e64 v6, 0, 1, s1
	s_waitcnt vmcnt(0)
	ds_bpermute_b32 v2, v2, v5
	v_cmp_lt_u32_e64 s1, v7, v4
	v_lshlrev_b32_e32 v3, 1, v3
	v_add_nc_u32_e32 v7, 4, v1
	v_lshlrev_b32_e32 v6, 2, v6
	s_delay_alu instid0(VALU_DEP_1) | instskip(SKIP_3) | instid1(VALU_DEP_2)
	v_add_lshl_u32 v6, v6, v1, 2
	s_waitcnt lgkmcnt(0)
	v_add_f32_e32 v2, v5, v2
	v_add_lshl_u32 v3, v3, v1, 2
	v_cndmask_b32_e64 v2, v5, v2, s0
	ds_bpermute_b32 v3, v3, v2
	s_waitcnt lgkmcnt(0)
	v_add_f32_e32 v3, v2, v3
	s_delay_alu instid0(VALU_DEP_1)
	v_cndmask_b32_e64 v2, v2, v3, s1
	v_cmp_gt_u32_e64 s1, 24, v1
	ds_bpermute_b32 v3, v6, v2
	v_cndmask_b32_e64 v6, 0, 1, s1
	v_cmp_lt_u32_e64 s1, v7, v4
	v_add_nc_u32_e32 v7, 8, v1
	s_delay_alu instid0(VALU_DEP_3) | instskip(NEXT) | instid1(VALU_DEP_1)
	v_lshlrev_b32_e32 v6, 3, v6
	v_add_lshl_u32 v6, v6, v1, 2
	s_waitcnt lgkmcnt(0)
	v_add_f32_e32 v3, v2, v3
	s_delay_alu instid0(VALU_DEP_1)
	v_cndmask_b32_e64 v2, v2, v3, s1
	v_cmp_gt_u32_e64 s1, 16, v1
	ds_bpermute_b32 v3, v6, v2
	v_cndmask_b32_e64 v6, 0, 1, s1
	v_cmp_lt_u32_e64 s1, v7, v4
	s_waitcnt lgkmcnt(0)
	s_delay_alu instid0(VALU_DEP_2) | instskip(NEXT) | instid1(VALU_DEP_1)
	v_dual_add_f32 v3, v2, v3 :: v_dual_lshlrev_b32 v6, 4, v6
	v_cndmask_b32_e64 v2, v2, v3, s1
	s_delay_alu instid0(VALU_DEP_2)
	v_add_lshl_u32 v3, v6, v1, 2
	v_add_nc_u32_e32 v6, 16, v1
	ds_bpermute_b32 v3, v3, v2
	v_cmp_lt_u32_e64 s1, v6, v4
	s_waitcnt lgkmcnt(0)
	v_add_f32_e32 v3, v2, v3
	s_delay_alu instid0(VALU_DEP_1) | instskip(NEXT) | instid1(VALU_DEP_1)
	v_cndmask_b32_e64 v2, v2, v3, s1
	v_cndmask_b32_e64 v2, v5, v2, s0
	s_and_saveexec_b32 s0, vcc_lo
	s_cbranch_execz .LBB193_55
; %bb.54:
	v_lshrrev_b32_e32 v3, 3, v0
	s_delay_alu instid0(VALU_DEP_1)
	v_and_b32_e32 v3, 28, v3
	ds_store_b32 v3, v2
.LBB193_55:
	s_or_b32 exec_lo, exec_lo, s0
	s_delay_alu instid0(SALU_CYCLE_1)
	s_mov_b32 s1, exec_lo
	s_waitcnt lgkmcnt(0)
	s_barrier
	buffer_gl0_inv
	v_cmpx_gt_u32_e32 8, v0
	s_cbranch_execz .LBB193_57
; %bb.56:
	v_lshlrev_b32_e32 v2, 2, v1
	s_add_i32 s2, s2, 31
	s_delay_alu instid0(SALU_CYCLE_1) | instskip(SKIP_2) | instid1(VALU_DEP_1)
	s_lshr_b32 s2, s2, 5
	ds_load_b32 v2, v2
	v_and_b32_e32 v3, 7, v1
	v_cmp_ne_u32_e32 vcc_lo, 7, v3
	v_add_co_ci_u32_e32 v4, vcc_lo, 0, v1, vcc_lo
	s_delay_alu instid0(VALU_DEP_1)
	v_lshlrev_b32_e32 v4, 2, v4
	s_waitcnt lgkmcnt(0)
	ds_bpermute_b32 v4, v4, v2
	s_waitcnt lgkmcnt(0)
	v_add_f32_e32 v4, v2, v4
	v_cmp_gt_u32_e32 vcc_lo, 6, v3
	v_add_nc_u32_e32 v7, 1, v3
	v_cmp_gt_u32_e64 s0, 4, v3
	v_add_nc_u32_e32 v8, 2, v3
	v_cndmask_b32_e64 v6, 0, 1, vcc_lo
	s_delay_alu instid0(VALU_DEP_4) | instskip(NEXT) | instid1(VALU_DEP_4)
	v_cmp_gt_u32_e32 vcc_lo, s2, v7
	v_cndmask_b32_e64 v7, 0, 1, s0
	s_delay_alu instid0(VALU_DEP_4) | instskip(NEXT) | instid1(VALU_DEP_4)
	v_cmp_gt_u32_e64 s0, s2, v8
	v_lshlrev_b32_e32 v6, 1, v6
	s_delay_alu instid0(VALU_DEP_3) | instskip(NEXT) | instid1(VALU_DEP_2)
	v_dual_cndmask_b32 v4, v2, v4 :: v_dual_lshlrev_b32 v7, 2, v7
	v_add_lshl_u32 v6, v6, v1, 2
	ds_bpermute_b32 v6, v6, v4
	s_waitcnt lgkmcnt(0)
	v_add_f32_e32 v6, v4, v6
	s_delay_alu instid0(VALU_DEP_1) | instskip(SKIP_4) | instid1(VALU_DEP_1)
	v_cndmask_b32_e64 v4, v4, v6, s0
	v_add_lshl_u32 v6, v7, v1, 2
	ds_bpermute_b32 v6, v6, v4
	s_waitcnt lgkmcnt(0)
	v_dual_add_f32 v6, v4, v6 :: v_dual_add_nc_u32 v3, 4, v3
	v_cmp_gt_u32_e64 s0, s2, v3
	s_delay_alu instid0(VALU_DEP_1) | instskip(NEXT) | instid1(VALU_DEP_1)
	v_cndmask_b32_e64 v3, v4, v6, s0
	v_cndmask_b32_e32 v2, v2, v3, vcc_lo
.LBB193_57:
	s_or_b32 exec_lo, exec_lo, s1
	s_branch .LBB193_64
.LBB193_58:
                                        ; implicit-def: $vgpr2
	s_and_b32 vcc_lo, exec_lo, s0
	s_cbranch_vccz .LBB193_64
; %bb.59:
	s_waitcnt vmcnt(0)
	v_mov_b32_dpp v2, v5 quad_perm:[1,0,3,2] row_mask:0xf bank_mask:0xf
	s_mov_b32 s0, exec_lo
	s_delay_alu instid0(VALU_DEP_1) | instskip(NEXT) | instid1(VALU_DEP_1)
	v_add_f32_e32 v2, v5, v2
	v_mov_b32_dpp v3, v2 quad_perm:[2,3,0,1] row_mask:0xf bank_mask:0xf
	s_delay_alu instid0(VALU_DEP_1) | instskip(NEXT) | instid1(VALU_DEP_1)
	v_add_f32_e32 v2, v2, v3
	v_mov_b32_dpp v3, v2 row_ror:4 row_mask:0xf bank_mask:0xf
	s_delay_alu instid0(VALU_DEP_1) | instskip(NEXT) | instid1(VALU_DEP_1)
	v_add_f32_e32 v2, v2, v3
	v_mov_b32_dpp v3, v2 row_ror:8 row_mask:0xf bank_mask:0xf
	s_delay_alu instid0(VALU_DEP_1)
	v_add_f32_e32 v2, v2, v3
	ds_swizzle_b32 v3, v2 offset:swizzle(BROADCAST,32,15)
	s_waitcnt lgkmcnt(0)
	v_dual_add_f32 v2, v2, v3 :: v_dual_mov_b32 v3, 0
	ds_bpermute_b32 v2, v3, v2 offset:124
	v_cmpx_eq_u32_e32 0, v1
	s_cbranch_execz .LBB193_61
; %bb.60:
	v_lshrrev_b32_e32 v3, 3, v0
	s_delay_alu instid0(VALU_DEP_1)
	v_and_b32_e32 v3, 28, v3
	s_waitcnt lgkmcnt(0)
	ds_store_b32 v3, v2
.LBB193_61:
	s_or_b32 exec_lo, exec_lo, s0
	s_delay_alu instid0(SALU_CYCLE_1)
	s_mov_b32 s0, exec_lo
	s_waitcnt lgkmcnt(0)
	s_barrier
	buffer_gl0_inv
	v_cmpx_gt_u32_e32 32, v0
	s_cbranch_execz .LBB193_63
; %bb.62:
	v_and_b32_e32 v2, 7, v1
	s_delay_alu instid0(VALU_DEP_1) | instskip(SKIP_3) | instid1(VALU_DEP_1)
	v_lshlrev_b32_e32 v3, 2, v2
	v_cmp_ne_u32_e32 vcc_lo, 7, v2
	ds_load_b32 v3, v3
	v_add_co_ci_u32_e32 v4, vcc_lo, 0, v1, vcc_lo
	v_lshlrev_b32_e32 v4, 2, v4
	s_waitcnt lgkmcnt(0)
	ds_bpermute_b32 v4, v4, v3
	s_waitcnt lgkmcnt(0)
	v_add_f32_e32 v3, v3, v4
	v_cmp_gt_u32_e32 vcc_lo, 6, v2
	v_cndmask_b32_e64 v5, 0, 1, vcc_lo
	v_cmp_gt_u32_e32 vcc_lo, 4, v2
	s_delay_alu instid0(VALU_DEP_2) | instskip(SKIP_1) | instid1(VALU_DEP_2)
	v_lshlrev_b32_e32 v5, 1, v5
	v_cndmask_b32_e64 v2, 0, 1, vcc_lo
	v_add_lshl_u32 v5, v5, v1, 2
	ds_bpermute_b32 v4, v5, v3
	s_waitcnt lgkmcnt(0)
	v_dual_add_f32 v3, v3, v4 :: v_dual_lshlrev_b32 v2, 2, v2
	s_delay_alu instid0(VALU_DEP_1)
	v_add_lshl_u32 v1, v2, v1, 2
	ds_bpermute_b32 v1, v1, v3
	s_waitcnt lgkmcnt(0)
	v_add_f32_e32 v2, v3, v1
.LBB193_63:
	s_or_b32 exec_lo, exec_lo, s0
.LBB193_64:
	s_delay_alu instid0(SALU_CYCLE_1)
	s_mov_b32 s0, exec_lo
                                        ; implicit-def: $vgpr1
	v_cmpx_eq_u32_e32 0, v0
; %bb.65:
	s_delay_alu instid0(VALU_DEP_2)
	v_add_f32_e32 v1, s15, v2
	s_or_b32 s30, s30, exec_lo
; %bb.66:
	s_or_b32 exec_lo, exec_lo, s0
	s_and_saveexec_b32 s0, s30
	s_cbranch_execz .LBB193_68
.LBB193_67:
	s_lshl_b64 s[0:1], s[20:21], 2
	v_mov_b32_e32 v0, 0
	s_add_u32 s2, s18, s0
	s_addc_u32 s3, s19, s1
	s_lshl_b64 s[0:1], s[24:25], 2
	s_delay_alu instid0(SALU_CYCLE_1)
	s_add_u32 s0, s2, s0
	s_addc_u32 s1, s3, s1
	global_store_b32 v0, v1, s[0:1]
.LBB193_68:
	s_nop 0
	s_sendmsg sendmsg(MSG_DEALLOC_VGPRS)
	s_endpgm
	.section	.rodata,"a",@progbits
	.p2align	6, 0x0
	.amdhsa_kernel _ZN7rocprim17ROCPRIM_400000_NS6detail17trampoline_kernelINS0_14default_configENS1_32segmented_reduce_config_selectorIfEEZNS1_21segmented_reduce_implIS3_PKfPfPKlfN6hipcub16HIPCUB_304000_NS6detail27convert_result_type_wrapperIS8_S9_N2at6native12_GLOBAL__N_19CustomSumEEEEE10hipError_tPvRmT0_T1_jT2_SQ_T4_T3_P12ihipStream_tbEUlT_E_NS1_11comp_targetILNS1_3genE9ELNS1_11target_archE1100ELNS1_3gpuE3ELNS1_3repE0EEENS1_30default_config_static_selectorELNS0_4arch9wavefront6targetE0EEEvSP_
		.amdhsa_group_segment_fixed_size 32
		.amdhsa_private_segment_fixed_size 0
		.amdhsa_kernarg_size 48
		.amdhsa_user_sgpr_count 15
		.amdhsa_user_sgpr_dispatch_ptr 0
		.amdhsa_user_sgpr_queue_ptr 0
		.amdhsa_user_sgpr_kernarg_segment_ptr 1
		.amdhsa_user_sgpr_dispatch_id 0
		.amdhsa_user_sgpr_private_segment_size 0
		.amdhsa_wavefront_size32 1
		.amdhsa_uses_dynamic_stack 0
		.amdhsa_enable_private_segment 0
		.amdhsa_system_sgpr_workgroup_id_x 1
		.amdhsa_system_sgpr_workgroup_id_y 0
		.amdhsa_system_sgpr_workgroup_id_z 0
		.amdhsa_system_sgpr_workgroup_info 0
		.amdhsa_system_vgpr_workitem_id 0
		.amdhsa_next_free_vgpr 23
		.amdhsa_next_free_sgpr 32
		.amdhsa_reserve_vcc 1
		.amdhsa_float_round_mode_32 0
		.amdhsa_float_round_mode_16_64 0
		.amdhsa_float_denorm_mode_32 3
		.amdhsa_float_denorm_mode_16_64 3
		.amdhsa_dx10_clamp 1
		.amdhsa_ieee_mode 1
		.amdhsa_fp16_overflow 0
		.amdhsa_workgroup_processor_mode 1
		.amdhsa_memory_ordered 1
		.amdhsa_forward_progress 0
		.amdhsa_shared_vgpr_count 0
		.amdhsa_exception_fp_ieee_invalid_op 0
		.amdhsa_exception_fp_denorm_src 0
		.amdhsa_exception_fp_ieee_div_zero 0
		.amdhsa_exception_fp_ieee_overflow 0
		.amdhsa_exception_fp_ieee_underflow 0
		.amdhsa_exception_fp_ieee_inexact 0
		.amdhsa_exception_int_div_zero 0
	.end_amdhsa_kernel
	.section	.text._ZN7rocprim17ROCPRIM_400000_NS6detail17trampoline_kernelINS0_14default_configENS1_32segmented_reduce_config_selectorIfEEZNS1_21segmented_reduce_implIS3_PKfPfPKlfN6hipcub16HIPCUB_304000_NS6detail27convert_result_type_wrapperIS8_S9_N2at6native12_GLOBAL__N_19CustomSumEEEEE10hipError_tPvRmT0_T1_jT2_SQ_T4_T3_P12ihipStream_tbEUlT_E_NS1_11comp_targetILNS1_3genE9ELNS1_11target_archE1100ELNS1_3gpuE3ELNS1_3repE0EEENS1_30default_config_static_selectorELNS0_4arch9wavefront6targetE0EEEvSP_,"axG",@progbits,_ZN7rocprim17ROCPRIM_400000_NS6detail17trampoline_kernelINS0_14default_configENS1_32segmented_reduce_config_selectorIfEEZNS1_21segmented_reduce_implIS3_PKfPfPKlfN6hipcub16HIPCUB_304000_NS6detail27convert_result_type_wrapperIS8_S9_N2at6native12_GLOBAL__N_19CustomSumEEEEE10hipError_tPvRmT0_T1_jT2_SQ_T4_T3_P12ihipStream_tbEUlT_E_NS1_11comp_targetILNS1_3genE9ELNS1_11target_archE1100ELNS1_3gpuE3ELNS1_3repE0EEENS1_30default_config_static_selectorELNS0_4arch9wavefront6targetE0EEEvSP_,comdat
.Lfunc_end193:
	.size	_ZN7rocprim17ROCPRIM_400000_NS6detail17trampoline_kernelINS0_14default_configENS1_32segmented_reduce_config_selectorIfEEZNS1_21segmented_reduce_implIS3_PKfPfPKlfN6hipcub16HIPCUB_304000_NS6detail27convert_result_type_wrapperIS8_S9_N2at6native12_GLOBAL__N_19CustomSumEEEEE10hipError_tPvRmT0_T1_jT2_SQ_T4_T3_P12ihipStream_tbEUlT_E_NS1_11comp_targetILNS1_3genE9ELNS1_11target_archE1100ELNS1_3gpuE3ELNS1_3repE0EEENS1_30default_config_static_selectorELNS0_4arch9wavefront6targetE0EEEvSP_, .Lfunc_end193-_ZN7rocprim17ROCPRIM_400000_NS6detail17trampoline_kernelINS0_14default_configENS1_32segmented_reduce_config_selectorIfEEZNS1_21segmented_reduce_implIS3_PKfPfPKlfN6hipcub16HIPCUB_304000_NS6detail27convert_result_type_wrapperIS8_S9_N2at6native12_GLOBAL__N_19CustomSumEEEEE10hipError_tPvRmT0_T1_jT2_SQ_T4_T3_P12ihipStream_tbEUlT_E_NS1_11comp_targetILNS1_3genE9ELNS1_11target_archE1100ELNS1_3gpuE3ELNS1_3repE0EEENS1_30default_config_static_selectorELNS0_4arch9wavefront6targetE0EEEvSP_
                                        ; -- End function
	.section	.AMDGPU.csdata,"",@progbits
; Kernel info:
; codeLenInByte = 3692
; NumSgprs: 34
; NumVgprs: 23
; ScratchSize: 0
; MemoryBound: 0
; FloatMode: 240
; IeeeMode: 1
; LDSByteSize: 32 bytes/workgroup (compile time only)
; SGPRBlocks: 4
; VGPRBlocks: 2
; NumSGPRsForWavesPerEU: 34
; NumVGPRsForWavesPerEU: 23
; Occupancy: 16
; WaveLimiterHint : 1
; COMPUTE_PGM_RSRC2:SCRATCH_EN: 0
; COMPUTE_PGM_RSRC2:USER_SGPR: 15
; COMPUTE_PGM_RSRC2:TRAP_HANDLER: 0
; COMPUTE_PGM_RSRC2:TGID_X_EN: 1
; COMPUTE_PGM_RSRC2:TGID_Y_EN: 0
; COMPUTE_PGM_RSRC2:TGID_Z_EN: 0
; COMPUTE_PGM_RSRC2:TIDIG_COMP_CNT: 0
	.section	.text._ZN7rocprim17ROCPRIM_400000_NS6detail17trampoline_kernelINS0_14default_configENS1_32segmented_reduce_config_selectorIfEEZNS1_21segmented_reduce_implIS3_PKfPfPKlfN6hipcub16HIPCUB_304000_NS6detail27convert_result_type_wrapperIS8_S9_N2at6native12_GLOBAL__N_19CustomSumEEEEE10hipError_tPvRmT0_T1_jT2_SQ_T4_T3_P12ihipStream_tbEUlT_E_NS1_11comp_targetILNS1_3genE8ELNS1_11target_archE1030ELNS1_3gpuE2ELNS1_3repE0EEENS1_30default_config_static_selectorELNS0_4arch9wavefront6targetE0EEEvSP_,"axG",@progbits,_ZN7rocprim17ROCPRIM_400000_NS6detail17trampoline_kernelINS0_14default_configENS1_32segmented_reduce_config_selectorIfEEZNS1_21segmented_reduce_implIS3_PKfPfPKlfN6hipcub16HIPCUB_304000_NS6detail27convert_result_type_wrapperIS8_S9_N2at6native12_GLOBAL__N_19CustomSumEEEEE10hipError_tPvRmT0_T1_jT2_SQ_T4_T3_P12ihipStream_tbEUlT_E_NS1_11comp_targetILNS1_3genE8ELNS1_11target_archE1030ELNS1_3gpuE2ELNS1_3repE0EEENS1_30default_config_static_selectorELNS0_4arch9wavefront6targetE0EEEvSP_,comdat
	.globl	_ZN7rocprim17ROCPRIM_400000_NS6detail17trampoline_kernelINS0_14default_configENS1_32segmented_reduce_config_selectorIfEEZNS1_21segmented_reduce_implIS3_PKfPfPKlfN6hipcub16HIPCUB_304000_NS6detail27convert_result_type_wrapperIS8_S9_N2at6native12_GLOBAL__N_19CustomSumEEEEE10hipError_tPvRmT0_T1_jT2_SQ_T4_T3_P12ihipStream_tbEUlT_E_NS1_11comp_targetILNS1_3genE8ELNS1_11target_archE1030ELNS1_3gpuE2ELNS1_3repE0EEENS1_30default_config_static_selectorELNS0_4arch9wavefront6targetE0EEEvSP_ ; -- Begin function _ZN7rocprim17ROCPRIM_400000_NS6detail17trampoline_kernelINS0_14default_configENS1_32segmented_reduce_config_selectorIfEEZNS1_21segmented_reduce_implIS3_PKfPfPKlfN6hipcub16HIPCUB_304000_NS6detail27convert_result_type_wrapperIS8_S9_N2at6native12_GLOBAL__N_19CustomSumEEEEE10hipError_tPvRmT0_T1_jT2_SQ_T4_T3_P12ihipStream_tbEUlT_E_NS1_11comp_targetILNS1_3genE8ELNS1_11target_archE1030ELNS1_3gpuE2ELNS1_3repE0EEENS1_30default_config_static_selectorELNS0_4arch9wavefront6targetE0EEEvSP_
	.p2align	8
	.type	_ZN7rocprim17ROCPRIM_400000_NS6detail17trampoline_kernelINS0_14default_configENS1_32segmented_reduce_config_selectorIfEEZNS1_21segmented_reduce_implIS3_PKfPfPKlfN6hipcub16HIPCUB_304000_NS6detail27convert_result_type_wrapperIS8_S9_N2at6native12_GLOBAL__N_19CustomSumEEEEE10hipError_tPvRmT0_T1_jT2_SQ_T4_T3_P12ihipStream_tbEUlT_E_NS1_11comp_targetILNS1_3genE8ELNS1_11target_archE1030ELNS1_3gpuE2ELNS1_3repE0EEENS1_30default_config_static_selectorELNS0_4arch9wavefront6targetE0EEEvSP_,@function
_ZN7rocprim17ROCPRIM_400000_NS6detail17trampoline_kernelINS0_14default_configENS1_32segmented_reduce_config_selectorIfEEZNS1_21segmented_reduce_implIS3_PKfPfPKlfN6hipcub16HIPCUB_304000_NS6detail27convert_result_type_wrapperIS8_S9_N2at6native12_GLOBAL__N_19CustomSumEEEEE10hipError_tPvRmT0_T1_jT2_SQ_T4_T3_P12ihipStream_tbEUlT_E_NS1_11comp_targetILNS1_3genE8ELNS1_11target_archE1030ELNS1_3gpuE2ELNS1_3repE0EEENS1_30default_config_static_selectorELNS0_4arch9wavefront6targetE0EEEvSP_: ; @_ZN7rocprim17ROCPRIM_400000_NS6detail17trampoline_kernelINS0_14default_configENS1_32segmented_reduce_config_selectorIfEEZNS1_21segmented_reduce_implIS3_PKfPfPKlfN6hipcub16HIPCUB_304000_NS6detail27convert_result_type_wrapperIS8_S9_N2at6native12_GLOBAL__N_19CustomSumEEEEE10hipError_tPvRmT0_T1_jT2_SQ_T4_T3_P12ihipStream_tbEUlT_E_NS1_11comp_targetILNS1_3genE8ELNS1_11target_archE1030ELNS1_3gpuE2ELNS1_3repE0EEENS1_30default_config_static_selectorELNS0_4arch9wavefront6targetE0EEEvSP_
; %bb.0:
	.section	.rodata,"a",@progbits
	.p2align	6, 0x0
	.amdhsa_kernel _ZN7rocprim17ROCPRIM_400000_NS6detail17trampoline_kernelINS0_14default_configENS1_32segmented_reduce_config_selectorIfEEZNS1_21segmented_reduce_implIS3_PKfPfPKlfN6hipcub16HIPCUB_304000_NS6detail27convert_result_type_wrapperIS8_S9_N2at6native12_GLOBAL__N_19CustomSumEEEEE10hipError_tPvRmT0_T1_jT2_SQ_T4_T3_P12ihipStream_tbEUlT_E_NS1_11comp_targetILNS1_3genE8ELNS1_11target_archE1030ELNS1_3gpuE2ELNS1_3repE0EEENS1_30default_config_static_selectorELNS0_4arch9wavefront6targetE0EEEvSP_
		.amdhsa_group_segment_fixed_size 0
		.amdhsa_private_segment_fixed_size 0
		.amdhsa_kernarg_size 48
		.amdhsa_user_sgpr_count 15
		.amdhsa_user_sgpr_dispatch_ptr 0
		.amdhsa_user_sgpr_queue_ptr 0
		.amdhsa_user_sgpr_kernarg_segment_ptr 1
		.amdhsa_user_sgpr_dispatch_id 0
		.amdhsa_user_sgpr_private_segment_size 0
		.amdhsa_wavefront_size32 1
		.amdhsa_uses_dynamic_stack 0
		.amdhsa_enable_private_segment 0
		.amdhsa_system_sgpr_workgroup_id_x 1
		.amdhsa_system_sgpr_workgroup_id_y 0
		.amdhsa_system_sgpr_workgroup_id_z 0
		.amdhsa_system_sgpr_workgroup_info 0
		.amdhsa_system_vgpr_workitem_id 0
		.amdhsa_next_free_vgpr 1
		.amdhsa_next_free_sgpr 1
		.amdhsa_reserve_vcc 0
		.amdhsa_float_round_mode_32 0
		.amdhsa_float_round_mode_16_64 0
		.amdhsa_float_denorm_mode_32 3
		.amdhsa_float_denorm_mode_16_64 3
		.amdhsa_dx10_clamp 1
		.amdhsa_ieee_mode 1
		.amdhsa_fp16_overflow 0
		.amdhsa_workgroup_processor_mode 1
		.amdhsa_memory_ordered 1
		.amdhsa_forward_progress 0
		.amdhsa_shared_vgpr_count 0
		.amdhsa_exception_fp_ieee_invalid_op 0
		.amdhsa_exception_fp_denorm_src 0
		.amdhsa_exception_fp_ieee_div_zero 0
		.amdhsa_exception_fp_ieee_overflow 0
		.amdhsa_exception_fp_ieee_underflow 0
		.amdhsa_exception_fp_ieee_inexact 0
		.amdhsa_exception_int_div_zero 0
	.end_amdhsa_kernel
	.section	.text._ZN7rocprim17ROCPRIM_400000_NS6detail17trampoline_kernelINS0_14default_configENS1_32segmented_reduce_config_selectorIfEEZNS1_21segmented_reduce_implIS3_PKfPfPKlfN6hipcub16HIPCUB_304000_NS6detail27convert_result_type_wrapperIS8_S9_N2at6native12_GLOBAL__N_19CustomSumEEEEE10hipError_tPvRmT0_T1_jT2_SQ_T4_T3_P12ihipStream_tbEUlT_E_NS1_11comp_targetILNS1_3genE8ELNS1_11target_archE1030ELNS1_3gpuE2ELNS1_3repE0EEENS1_30default_config_static_selectorELNS0_4arch9wavefront6targetE0EEEvSP_,"axG",@progbits,_ZN7rocprim17ROCPRIM_400000_NS6detail17trampoline_kernelINS0_14default_configENS1_32segmented_reduce_config_selectorIfEEZNS1_21segmented_reduce_implIS3_PKfPfPKlfN6hipcub16HIPCUB_304000_NS6detail27convert_result_type_wrapperIS8_S9_N2at6native12_GLOBAL__N_19CustomSumEEEEE10hipError_tPvRmT0_T1_jT2_SQ_T4_T3_P12ihipStream_tbEUlT_E_NS1_11comp_targetILNS1_3genE8ELNS1_11target_archE1030ELNS1_3gpuE2ELNS1_3repE0EEENS1_30default_config_static_selectorELNS0_4arch9wavefront6targetE0EEEvSP_,comdat
.Lfunc_end194:
	.size	_ZN7rocprim17ROCPRIM_400000_NS6detail17trampoline_kernelINS0_14default_configENS1_32segmented_reduce_config_selectorIfEEZNS1_21segmented_reduce_implIS3_PKfPfPKlfN6hipcub16HIPCUB_304000_NS6detail27convert_result_type_wrapperIS8_S9_N2at6native12_GLOBAL__N_19CustomSumEEEEE10hipError_tPvRmT0_T1_jT2_SQ_T4_T3_P12ihipStream_tbEUlT_E_NS1_11comp_targetILNS1_3genE8ELNS1_11target_archE1030ELNS1_3gpuE2ELNS1_3repE0EEENS1_30default_config_static_selectorELNS0_4arch9wavefront6targetE0EEEvSP_, .Lfunc_end194-_ZN7rocprim17ROCPRIM_400000_NS6detail17trampoline_kernelINS0_14default_configENS1_32segmented_reduce_config_selectorIfEEZNS1_21segmented_reduce_implIS3_PKfPfPKlfN6hipcub16HIPCUB_304000_NS6detail27convert_result_type_wrapperIS8_S9_N2at6native12_GLOBAL__N_19CustomSumEEEEE10hipError_tPvRmT0_T1_jT2_SQ_T4_T3_P12ihipStream_tbEUlT_E_NS1_11comp_targetILNS1_3genE8ELNS1_11target_archE1030ELNS1_3gpuE2ELNS1_3repE0EEENS1_30default_config_static_selectorELNS0_4arch9wavefront6targetE0EEEvSP_
                                        ; -- End function
	.section	.AMDGPU.csdata,"",@progbits
; Kernel info:
; codeLenInByte = 0
; NumSgprs: 0
; NumVgprs: 0
; ScratchSize: 0
; MemoryBound: 0
; FloatMode: 240
; IeeeMode: 1
; LDSByteSize: 0 bytes/workgroup (compile time only)
; SGPRBlocks: 0
; VGPRBlocks: 0
; NumSGPRsForWavesPerEU: 1
; NumVGPRsForWavesPerEU: 1
; Occupancy: 16
; WaveLimiterHint : 0
; COMPUTE_PGM_RSRC2:SCRATCH_EN: 0
; COMPUTE_PGM_RSRC2:USER_SGPR: 15
; COMPUTE_PGM_RSRC2:TRAP_HANDLER: 0
; COMPUTE_PGM_RSRC2:TGID_X_EN: 1
; COMPUTE_PGM_RSRC2:TGID_Y_EN: 0
; COMPUTE_PGM_RSRC2:TGID_Z_EN: 0
; COMPUTE_PGM_RSRC2:TIDIG_COMP_CNT: 0
	.section	.text._ZN2at6native12_GLOBAL__N_119post_sum_div_kernelIflEEvPT_PKT0_lbS3_,"axG",@progbits,_ZN2at6native12_GLOBAL__N_119post_sum_div_kernelIflEEvPT_PKT0_lbS3_,comdat
	.globl	_ZN2at6native12_GLOBAL__N_119post_sum_div_kernelIflEEvPT_PKT0_lbS3_ ; -- Begin function _ZN2at6native12_GLOBAL__N_119post_sum_div_kernelIflEEvPT_PKT0_lbS3_
	.p2align	8
	.type	_ZN2at6native12_GLOBAL__N_119post_sum_div_kernelIflEEvPT_PKT0_lbS3_,@function
_ZN2at6native12_GLOBAL__N_119post_sum_div_kernelIflEEvPT_PKT0_lbS3_: ; @_ZN2at6native12_GLOBAL__N_119post_sum_div_kernelIflEEvPT_PKT0_lbS3_
; %bb.0:
	s_clause 0x1
	s_load_b32 s6, s[0:1], 0x2c
	s_load_b64 s[2:3], s[0:1], 0x10
	v_mov_b32_e32 v1, 0
	s_add_u32 s4, s0, 32
	s_addc_u32 s5, s1, 0
	s_waitcnt lgkmcnt(0)
	s_and_b32 s8, s6, 0xffff
	s_mov_b32 s6, exec_lo
	v_mad_u64_u32 v[2:3], null, s8, s15, v[0:1]
	s_delay_alu instid0(VALU_DEP_1)
	v_cmpx_gt_i64_e64 s[2:3], v[2:3]
	s_cbranch_execz .LBB195_12
; %bb.1:
	s_load_b64 s[10:11], s[0:1], 0x18
	s_load_b32 s9, s[4:5], 0x0
	s_load_b128 s[4:7], s[0:1], 0x0
	v_mov_b32_e32 v0, v1
	s_mov_b32 s1, 0
                                        ; implicit-def: $sgpr12
	s_waitcnt lgkmcnt(0)
	v_dual_mov_b32 v1, v2 :: v_dual_mov_b32 v4, s11
	s_bitcmp1_b32 s10, 0
	s_mul_i32 s8, s9, s8
	s_cselect_b32 vcc_lo, -1, 0
	s_mov_b32 s10, s8
	v_cndmask_b32_e32 v8, 0x7fc00000, v4, vcc_lo
                                        ; implicit-def: $sgpr9
                                        ; implicit-def: $sgpr11
	s_branch .LBB195_4
.LBB195_2:                              ;   in Loop: Header=BB195_4 Depth=1
	s_or_b32 exec_lo, exec_lo, s0
	v_add_co_u32 v2, vcc_lo, v2, s8
	v_add_co_ci_u32_e32 v3, vcc_lo, 0, v3, vcc_lo
	v_add_co_u32 v0, s0, v0, 0
	s_delay_alu instid0(VALU_DEP_1) | instskip(NEXT) | instid1(VALU_DEP_3)
	v_add_co_ci_u32_e64 v1, s0, s10, v1, s0
	v_cmp_le_i64_e32 vcc_lo, s[2:3], v[2:3]
	s_and_not1_b32 s0, s12, exec_lo
	s_and_not1_b32 s11, s11, exec_lo
	s_and_b32 s12, vcc_lo, exec_lo
	s_delay_alu instid0(SALU_CYCLE_1)
	s_or_b32 s12, s0, s12
.LBB195_3:                              ;   in Loop: Header=BB195_4 Depth=1
	s_or_b32 exec_lo, exec_lo, s13
	s_delay_alu instid0(SALU_CYCLE_1) | instskip(NEXT) | instid1(SALU_CYCLE_1)
	s_and_b32 s0, exec_lo, s12
	s_or_b32 s1, s0, s1
	s_and_not1_b32 s0, s9, exec_lo
	s_and_b32 s9, s11, exec_lo
	s_delay_alu instid0(SALU_CYCLE_1)
	s_or_b32 s9, s0, s9
	s_and_not1_b32 exec_lo, exec_lo, s1
	s_cbranch_execz .LBB195_11
.LBB195_4:                              ; =>This Inner Loop Header: Depth=1
	v_ashrrev_i64 v[4:5], 29, v[0:1]
	s_or_b32 s11, s11, exec_lo
	s_or_b32 s12, s12, exec_lo
	s_mov_b32 s13, exec_lo
	s_delay_alu instid0(VALU_DEP_1) | instskip(NEXT) | instid1(VALU_DEP_2)
	v_add_co_u32 v4, vcc_lo, s6, v4
	v_add_co_ci_u32_e32 v5, vcc_lo, s7, v5, vcc_lo
	global_load_b64 v[6:7], v[4:5], off
	s_waitcnt vmcnt(0)
	v_cmpx_lt_i64_e32 -1, v[6:7]
	s_cbranch_execz .LBB195_3
; %bb.5:                                ;   in Loop: Header=BB195_4 Depth=1
	v_ashrrev_i32_e32 v5, 31, v1
	v_dual_mov_b32 v4, v1 :: v_dual_mov_b32 v9, v8
	s_mov_b32 s14, -1
	s_delay_alu instid0(VALU_DEP_1) | instskip(NEXT) | instid1(VALU_DEP_1)
	v_lshlrev_b64 v[4:5], 2, v[4:5]
	v_add_co_u32 v4, s0, s4, v4
	s_delay_alu instid0(VALU_DEP_1)
	v_add_co_ci_u32_e64 v5, s0, s5, v5, s0
	s_mov_b32 s0, exec_lo
	v_cmpx_ne_u64_e32 0, v[6:7]
	s_cbranch_execz .LBB195_9
; %bb.6:                                ;   in Loop: Header=BB195_4 Depth=1
	global_load_b32 v10, v[4:5], off
	s_mov_b32 s14, 0
	s_mov_b32 s15, exec_lo
                                        ; implicit-def: $vgpr9
	s_waitcnt vmcnt(0)
	v_cmpx_o_f32_e32 v10, v10
	s_cbranch_execz .LBB195_8
; %bb.7:                                ;   in Loop: Header=BB195_4 Depth=1
	v_clz_i32_u32_e32 v9, v7
	s_mov_b32 s14, exec_lo
	s_delay_alu instid0(VALU_DEP_1) | instskip(NEXT) | instid1(VALU_DEP_1)
	v_min_u32_e32 v9, 32, v9
	v_lshlrev_b64 v[6:7], v9, v[6:7]
	s_delay_alu instid0(VALU_DEP_1) | instskip(NEXT) | instid1(VALU_DEP_1)
	v_min_u32_e32 v6, 1, v6
	v_or_b32_e32 v6, v7, v6
	v_sub_nc_u32_e32 v7, 32, v9
	s_delay_alu instid0(VALU_DEP_2) | instskip(NEXT) | instid1(VALU_DEP_1)
	v_cvt_f32_u32_e32 v6, v6
	v_ldexp_f32 v6, v6, v7
	s_delay_alu instid0(VALU_DEP_1) | instskip(NEXT) | instid1(VALU_DEP_1)
	v_div_scale_f32 v7, null, v6, v6, v10
	v_rcp_f32_e32 v9, v7
	s_waitcnt_depctr 0xfff
	v_fma_f32 v11, -v7, v9, 1.0
	s_delay_alu instid0(VALU_DEP_1) | instskip(SKIP_1) | instid1(VALU_DEP_1)
	v_fmac_f32_e32 v9, v11, v9
	v_div_scale_f32 v11, vcc_lo, v10, v6, v10
	v_mul_f32_e32 v12, v11, v9
	s_delay_alu instid0(VALU_DEP_1) | instskip(NEXT) | instid1(VALU_DEP_1)
	v_fma_f32 v13, -v7, v12, v11
	v_fmac_f32_e32 v12, v13, v9
	s_delay_alu instid0(VALU_DEP_1) | instskip(NEXT) | instid1(VALU_DEP_1)
	v_fma_f32 v7, -v7, v12, v11
	v_div_fmas_f32 v7, v7, v9, v12
	s_delay_alu instid0(VALU_DEP_1)
	v_div_fixup_f32 v9, v7, v6, v10
.LBB195_8:                              ;   in Loop: Header=BB195_4 Depth=1
	s_or_b32 exec_lo, exec_lo, s15
	s_delay_alu instid0(SALU_CYCLE_1)
	s_or_not1_b32 s14, s14, exec_lo
.LBB195_9:                              ;   in Loop: Header=BB195_4 Depth=1
	s_or_b32 exec_lo, exec_lo, s0
	s_and_saveexec_b32 s0, s14
	s_cbranch_execz .LBB195_2
; %bb.10:                               ;   in Loop: Header=BB195_4 Depth=1
	global_store_b32 v[4:5], v9, off
	s_branch .LBB195_2
.LBB195_11:
	s_or_b32 exec_lo, exec_lo, s1
	s_and_saveexec_b32 s0, s9
	s_delay_alu instid0(SALU_CYCLE_1)
	s_xor_b32 s0, exec_lo, s0
	s_cbranch_execnz .LBB195_13
.LBB195_12:
	s_nop 0
	s_sendmsg sendmsg(MSG_DEALLOC_VGPRS)
	s_endpgm
.LBB195_13:
	s_cbranch_execnz .LBB195_15
; %bb.14:
	; divergent unreachable
	s_nop 0
	s_sendmsg sendmsg(MSG_DEALLOC_VGPRS)
	s_endpgm
.LBB195_15:
	s_trap 2
	s_sendmsg_rtn_b32 s0, sendmsg(MSG_RTN_GET_DOORBELL)
	s_mov_b32 ttmp2, m0
	s_waitcnt lgkmcnt(0)
	s_and_b32 s0, s0, 0x3ff
	s_delay_alu instid0(SALU_CYCLE_1) | instskip(NEXT) | instid1(SALU_CYCLE_1)
	s_bitset1_b32 s0, 10
	s_mov_b32 m0, s0
	s_sendmsg sendmsg(MSG_INTERRUPT)
	s_mov_b32 m0, ttmp2
.LBB195_16:                             ; =>This Inner Loop Header: Depth=1
	s_sethalt 5
	s_branch .LBB195_16
	.section	.rodata,"a",@progbits
	.p2align	6, 0x0
	.amdhsa_kernel _ZN2at6native12_GLOBAL__N_119post_sum_div_kernelIflEEvPT_PKT0_lbS3_
		.amdhsa_group_segment_fixed_size 0
		.amdhsa_private_segment_fixed_size 0
		.amdhsa_kernarg_size 288
		.amdhsa_user_sgpr_count 15
		.amdhsa_user_sgpr_dispatch_ptr 0
		.amdhsa_user_sgpr_queue_ptr 0
		.amdhsa_user_sgpr_kernarg_segment_ptr 1
		.amdhsa_user_sgpr_dispatch_id 0
		.amdhsa_user_sgpr_private_segment_size 0
		.amdhsa_wavefront_size32 1
		.amdhsa_uses_dynamic_stack 0
		.amdhsa_enable_private_segment 0
		.amdhsa_system_sgpr_workgroup_id_x 1
		.amdhsa_system_sgpr_workgroup_id_y 0
		.amdhsa_system_sgpr_workgroup_id_z 0
		.amdhsa_system_sgpr_workgroup_info 0
		.amdhsa_system_vgpr_workitem_id 0
		.amdhsa_next_free_vgpr 14
		.amdhsa_next_free_sgpr 16
		.amdhsa_reserve_vcc 1
		.amdhsa_float_round_mode_32 0
		.amdhsa_float_round_mode_16_64 0
		.amdhsa_float_denorm_mode_32 3
		.amdhsa_float_denorm_mode_16_64 3
		.amdhsa_dx10_clamp 1
		.amdhsa_ieee_mode 1
		.amdhsa_fp16_overflow 0
		.amdhsa_workgroup_processor_mode 1
		.amdhsa_memory_ordered 1
		.amdhsa_forward_progress 0
		.amdhsa_shared_vgpr_count 0
		.amdhsa_exception_fp_ieee_invalid_op 0
		.amdhsa_exception_fp_denorm_src 0
		.amdhsa_exception_fp_ieee_div_zero 0
		.amdhsa_exception_fp_ieee_overflow 0
		.amdhsa_exception_fp_ieee_underflow 0
		.amdhsa_exception_fp_ieee_inexact 0
		.amdhsa_exception_int_div_zero 0
	.end_amdhsa_kernel
	.section	.text._ZN2at6native12_GLOBAL__N_119post_sum_div_kernelIflEEvPT_PKT0_lbS3_,"axG",@progbits,_ZN2at6native12_GLOBAL__N_119post_sum_div_kernelIflEEvPT_PKT0_lbS3_,comdat
.Lfunc_end195:
	.size	_ZN2at6native12_GLOBAL__N_119post_sum_div_kernelIflEEvPT_PKT0_lbS3_, .Lfunc_end195-_ZN2at6native12_GLOBAL__N_119post_sum_div_kernelIflEEvPT_PKT0_lbS3_
                                        ; -- End function
	.section	.AMDGPU.csdata,"",@progbits
; Kernel info:
; codeLenInByte = 676
; NumSgprs: 18
; NumVgprs: 14
; ScratchSize: 0
; MemoryBound: 0
; FloatMode: 240
; IeeeMode: 1
; LDSByteSize: 0 bytes/workgroup (compile time only)
; SGPRBlocks: 2
; VGPRBlocks: 1
; NumSGPRsForWavesPerEU: 18
; NumVGPRsForWavesPerEU: 14
; Occupancy: 16
; WaveLimiterHint : 0
; COMPUTE_PGM_RSRC2:SCRATCH_EN: 0
; COMPUTE_PGM_RSRC2:USER_SGPR: 15
; COMPUTE_PGM_RSRC2:TRAP_HANDLER: 0
; COMPUTE_PGM_RSRC2:TGID_X_EN: 1
; COMPUTE_PGM_RSRC2:TGID_Y_EN: 0
; COMPUTE_PGM_RSRC2:TGID_Z_EN: 0
; COMPUTE_PGM_RSRC2:TIDIG_COMP_CNT: 0
	.section	.text._ZN7rocprim17ROCPRIM_400000_NS6detail17trampoline_kernelINS0_14default_configENS1_32segmented_reduce_config_selectorIfEEZNS1_21segmented_reduce_implIS3_PKfPfPKlfN6hipcub16HIPCUB_304000_NS6detail27convert_result_type_wrapperIS8_S9_N2at6native12_GLOBAL__N_19CustomMinEEEEE10hipError_tPvRmT0_T1_jT2_SQ_T4_T3_P12ihipStream_tbEUlT_E_NS1_11comp_targetILNS1_3genE0ELNS1_11target_archE4294967295ELNS1_3gpuE0ELNS1_3repE0EEENS1_30default_config_static_selectorELNS0_4arch9wavefront6targetE0EEEvSP_,"axG",@progbits,_ZN7rocprim17ROCPRIM_400000_NS6detail17trampoline_kernelINS0_14default_configENS1_32segmented_reduce_config_selectorIfEEZNS1_21segmented_reduce_implIS3_PKfPfPKlfN6hipcub16HIPCUB_304000_NS6detail27convert_result_type_wrapperIS8_S9_N2at6native12_GLOBAL__N_19CustomMinEEEEE10hipError_tPvRmT0_T1_jT2_SQ_T4_T3_P12ihipStream_tbEUlT_E_NS1_11comp_targetILNS1_3genE0ELNS1_11target_archE4294967295ELNS1_3gpuE0ELNS1_3repE0EEENS1_30default_config_static_selectorELNS0_4arch9wavefront6targetE0EEEvSP_,comdat
	.globl	_ZN7rocprim17ROCPRIM_400000_NS6detail17trampoline_kernelINS0_14default_configENS1_32segmented_reduce_config_selectorIfEEZNS1_21segmented_reduce_implIS3_PKfPfPKlfN6hipcub16HIPCUB_304000_NS6detail27convert_result_type_wrapperIS8_S9_N2at6native12_GLOBAL__N_19CustomMinEEEEE10hipError_tPvRmT0_T1_jT2_SQ_T4_T3_P12ihipStream_tbEUlT_E_NS1_11comp_targetILNS1_3genE0ELNS1_11target_archE4294967295ELNS1_3gpuE0ELNS1_3repE0EEENS1_30default_config_static_selectorELNS0_4arch9wavefront6targetE0EEEvSP_ ; -- Begin function _ZN7rocprim17ROCPRIM_400000_NS6detail17trampoline_kernelINS0_14default_configENS1_32segmented_reduce_config_selectorIfEEZNS1_21segmented_reduce_implIS3_PKfPfPKlfN6hipcub16HIPCUB_304000_NS6detail27convert_result_type_wrapperIS8_S9_N2at6native12_GLOBAL__N_19CustomMinEEEEE10hipError_tPvRmT0_T1_jT2_SQ_T4_T3_P12ihipStream_tbEUlT_E_NS1_11comp_targetILNS1_3genE0ELNS1_11target_archE4294967295ELNS1_3gpuE0ELNS1_3repE0EEENS1_30default_config_static_selectorELNS0_4arch9wavefront6targetE0EEEvSP_
	.p2align	8
	.type	_ZN7rocprim17ROCPRIM_400000_NS6detail17trampoline_kernelINS0_14default_configENS1_32segmented_reduce_config_selectorIfEEZNS1_21segmented_reduce_implIS3_PKfPfPKlfN6hipcub16HIPCUB_304000_NS6detail27convert_result_type_wrapperIS8_S9_N2at6native12_GLOBAL__N_19CustomMinEEEEE10hipError_tPvRmT0_T1_jT2_SQ_T4_T3_P12ihipStream_tbEUlT_E_NS1_11comp_targetILNS1_3genE0ELNS1_11target_archE4294967295ELNS1_3gpuE0ELNS1_3repE0EEENS1_30default_config_static_selectorELNS0_4arch9wavefront6targetE0EEEvSP_,@function
_ZN7rocprim17ROCPRIM_400000_NS6detail17trampoline_kernelINS0_14default_configENS1_32segmented_reduce_config_selectorIfEEZNS1_21segmented_reduce_implIS3_PKfPfPKlfN6hipcub16HIPCUB_304000_NS6detail27convert_result_type_wrapperIS8_S9_N2at6native12_GLOBAL__N_19CustomMinEEEEE10hipError_tPvRmT0_T1_jT2_SQ_T4_T3_P12ihipStream_tbEUlT_E_NS1_11comp_targetILNS1_3genE0ELNS1_11target_archE4294967295ELNS1_3gpuE0ELNS1_3repE0EEENS1_30default_config_static_selectorELNS0_4arch9wavefront6targetE0EEEvSP_: ; @_ZN7rocprim17ROCPRIM_400000_NS6detail17trampoline_kernelINS0_14default_configENS1_32segmented_reduce_config_selectorIfEEZNS1_21segmented_reduce_implIS3_PKfPfPKlfN6hipcub16HIPCUB_304000_NS6detail27convert_result_type_wrapperIS8_S9_N2at6native12_GLOBAL__N_19CustomMinEEEEE10hipError_tPvRmT0_T1_jT2_SQ_T4_T3_P12ihipStream_tbEUlT_E_NS1_11comp_targetILNS1_3genE0ELNS1_11target_archE4294967295ELNS1_3gpuE0ELNS1_3repE0EEENS1_30default_config_static_selectorELNS0_4arch9wavefront6targetE0EEEvSP_
; %bb.0:
	.section	.rodata,"a",@progbits
	.p2align	6, 0x0
	.amdhsa_kernel _ZN7rocprim17ROCPRIM_400000_NS6detail17trampoline_kernelINS0_14default_configENS1_32segmented_reduce_config_selectorIfEEZNS1_21segmented_reduce_implIS3_PKfPfPKlfN6hipcub16HIPCUB_304000_NS6detail27convert_result_type_wrapperIS8_S9_N2at6native12_GLOBAL__N_19CustomMinEEEEE10hipError_tPvRmT0_T1_jT2_SQ_T4_T3_P12ihipStream_tbEUlT_E_NS1_11comp_targetILNS1_3genE0ELNS1_11target_archE4294967295ELNS1_3gpuE0ELNS1_3repE0EEENS1_30default_config_static_selectorELNS0_4arch9wavefront6targetE0EEEvSP_
		.amdhsa_group_segment_fixed_size 0
		.amdhsa_private_segment_fixed_size 0
		.amdhsa_kernarg_size 48
		.amdhsa_user_sgpr_count 15
		.amdhsa_user_sgpr_dispatch_ptr 0
		.amdhsa_user_sgpr_queue_ptr 0
		.amdhsa_user_sgpr_kernarg_segment_ptr 1
		.amdhsa_user_sgpr_dispatch_id 0
		.amdhsa_user_sgpr_private_segment_size 0
		.amdhsa_wavefront_size32 1
		.amdhsa_uses_dynamic_stack 0
		.amdhsa_enable_private_segment 0
		.amdhsa_system_sgpr_workgroup_id_x 1
		.amdhsa_system_sgpr_workgroup_id_y 0
		.amdhsa_system_sgpr_workgroup_id_z 0
		.amdhsa_system_sgpr_workgroup_info 0
		.amdhsa_system_vgpr_workitem_id 0
		.amdhsa_next_free_vgpr 1
		.amdhsa_next_free_sgpr 1
		.amdhsa_reserve_vcc 0
		.amdhsa_float_round_mode_32 0
		.amdhsa_float_round_mode_16_64 0
		.amdhsa_float_denorm_mode_32 3
		.amdhsa_float_denorm_mode_16_64 3
		.amdhsa_dx10_clamp 1
		.amdhsa_ieee_mode 1
		.amdhsa_fp16_overflow 0
		.amdhsa_workgroup_processor_mode 1
		.amdhsa_memory_ordered 1
		.amdhsa_forward_progress 0
		.amdhsa_shared_vgpr_count 0
		.amdhsa_exception_fp_ieee_invalid_op 0
		.amdhsa_exception_fp_denorm_src 0
		.amdhsa_exception_fp_ieee_div_zero 0
		.amdhsa_exception_fp_ieee_overflow 0
		.amdhsa_exception_fp_ieee_underflow 0
		.amdhsa_exception_fp_ieee_inexact 0
		.amdhsa_exception_int_div_zero 0
	.end_amdhsa_kernel
	.section	.text._ZN7rocprim17ROCPRIM_400000_NS6detail17trampoline_kernelINS0_14default_configENS1_32segmented_reduce_config_selectorIfEEZNS1_21segmented_reduce_implIS3_PKfPfPKlfN6hipcub16HIPCUB_304000_NS6detail27convert_result_type_wrapperIS8_S9_N2at6native12_GLOBAL__N_19CustomMinEEEEE10hipError_tPvRmT0_T1_jT2_SQ_T4_T3_P12ihipStream_tbEUlT_E_NS1_11comp_targetILNS1_3genE0ELNS1_11target_archE4294967295ELNS1_3gpuE0ELNS1_3repE0EEENS1_30default_config_static_selectorELNS0_4arch9wavefront6targetE0EEEvSP_,"axG",@progbits,_ZN7rocprim17ROCPRIM_400000_NS6detail17trampoline_kernelINS0_14default_configENS1_32segmented_reduce_config_selectorIfEEZNS1_21segmented_reduce_implIS3_PKfPfPKlfN6hipcub16HIPCUB_304000_NS6detail27convert_result_type_wrapperIS8_S9_N2at6native12_GLOBAL__N_19CustomMinEEEEE10hipError_tPvRmT0_T1_jT2_SQ_T4_T3_P12ihipStream_tbEUlT_E_NS1_11comp_targetILNS1_3genE0ELNS1_11target_archE4294967295ELNS1_3gpuE0ELNS1_3repE0EEENS1_30default_config_static_selectorELNS0_4arch9wavefront6targetE0EEEvSP_,comdat
.Lfunc_end196:
	.size	_ZN7rocprim17ROCPRIM_400000_NS6detail17trampoline_kernelINS0_14default_configENS1_32segmented_reduce_config_selectorIfEEZNS1_21segmented_reduce_implIS3_PKfPfPKlfN6hipcub16HIPCUB_304000_NS6detail27convert_result_type_wrapperIS8_S9_N2at6native12_GLOBAL__N_19CustomMinEEEEE10hipError_tPvRmT0_T1_jT2_SQ_T4_T3_P12ihipStream_tbEUlT_E_NS1_11comp_targetILNS1_3genE0ELNS1_11target_archE4294967295ELNS1_3gpuE0ELNS1_3repE0EEENS1_30default_config_static_selectorELNS0_4arch9wavefront6targetE0EEEvSP_, .Lfunc_end196-_ZN7rocprim17ROCPRIM_400000_NS6detail17trampoline_kernelINS0_14default_configENS1_32segmented_reduce_config_selectorIfEEZNS1_21segmented_reduce_implIS3_PKfPfPKlfN6hipcub16HIPCUB_304000_NS6detail27convert_result_type_wrapperIS8_S9_N2at6native12_GLOBAL__N_19CustomMinEEEEE10hipError_tPvRmT0_T1_jT2_SQ_T4_T3_P12ihipStream_tbEUlT_E_NS1_11comp_targetILNS1_3genE0ELNS1_11target_archE4294967295ELNS1_3gpuE0ELNS1_3repE0EEENS1_30default_config_static_selectorELNS0_4arch9wavefront6targetE0EEEvSP_
                                        ; -- End function
	.section	.AMDGPU.csdata,"",@progbits
; Kernel info:
; codeLenInByte = 0
; NumSgprs: 0
; NumVgprs: 0
; ScratchSize: 0
; MemoryBound: 0
; FloatMode: 240
; IeeeMode: 1
; LDSByteSize: 0 bytes/workgroup (compile time only)
; SGPRBlocks: 0
; VGPRBlocks: 0
; NumSGPRsForWavesPerEU: 1
; NumVGPRsForWavesPerEU: 1
; Occupancy: 16
; WaveLimiterHint : 0
; COMPUTE_PGM_RSRC2:SCRATCH_EN: 0
; COMPUTE_PGM_RSRC2:USER_SGPR: 15
; COMPUTE_PGM_RSRC2:TRAP_HANDLER: 0
; COMPUTE_PGM_RSRC2:TGID_X_EN: 1
; COMPUTE_PGM_RSRC2:TGID_Y_EN: 0
; COMPUTE_PGM_RSRC2:TGID_Z_EN: 0
; COMPUTE_PGM_RSRC2:TIDIG_COMP_CNT: 0
	.section	.text._ZN7rocprim17ROCPRIM_400000_NS6detail17trampoline_kernelINS0_14default_configENS1_32segmented_reduce_config_selectorIfEEZNS1_21segmented_reduce_implIS3_PKfPfPKlfN6hipcub16HIPCUB_304000_NS6detail27convert_result_type_wrapperIS8_S9_N2at6native12_GLOBAL__N_19CustomMinEEEEE10hipError_tPvRmT0_T1_jT2_SQ_T4_T3_P12ihipStream_tbEUlT_E_NS1_11comp_targetILNS1_3genE5ELNS1_11target_archE942ELNS1_3gpuE9ELNS1_3repE0EEENS1_30default_config_static_selectorELNS0_4arch9wavefront6targetE0EEEvSP_,"axG",@progbits,_ZN7rocprim17ROCPRIM_400000_NS6detail17trampoline_kernelINS0_14default_configENS1_32segmented_reduce_config_selectorIfEEZNS1_21segmented_reduce_implIS3_PKfPfPKlfN6hipcub16HIPCUB_304000_NS6detail27convert_result_type_wrapperIS8_S9_N2at6native12_GLOBAL__N_19CustomMinEEEEE10hipError_tPvRmT0_T1_jT2_SQ_T4_T3_P12ihipStream_tbEUlT_E_NS1_11comp_targetILNS1_3genE5ELNS1_11target_archE942ELNS1_3gpuE9ELNS1_3repE0EEENS1_30default_config_static_selectorELNS0_4arch9wavefront6targetE0EEEvSP_,comdat
	.globl	_ZN7rocprim17ROCPRIM_400000_NS6detail17trampoline_kernelINS0_14default_configENS1_32segmented_reduce_config_selectorIfEEZNS1_21segmented_reduce_implIS3_PKfPfPKlfN6hipcub16HIPCUB_304000_NS6detail27convert_result_type_wrapperIS8_S9_N2at6native12_GLOBAL__N_19CustomMinEEEEE10hipError_tPvRmT0_T1_jT2_SQ_T4_T3_P12ihipStream_tbEUlT_E_NS1_11comp_targetILNS1_3genE5ELNS1_11target_archE942ELNS1_3gpuE9ELNS1_3repE0EEENS1_30default_config_static_selectorELNS0_4arch9wavefront6targetE0EEEvSP_ ; -- Begin function _ZN7rocprim17ROCPRIM_400000_NS6detail17trampoline_kernelINS0_14default_configENS1_32segmented_reduce_config_selectorIfEEZNS1_21segmented_reduce_implIS3_PKfPfPKlfN6hipcub16HIPCUB_304000_NS6detail27convert_result_type_wrapperIS8_S9_N2at6native12_GLOBAL__N_19CustomMinEEEEE10hipError_tPvRmT0_T1_jT2_SQ_T4_T3_P12ihipStream_tbEUlT_E_NS1_11comp_targetILNS1_3genE5ELNS1_11target_archE942ELNS1_3gpuE9ELNS1_3repE0EEENS1_30default_config_static_selectorELNS0_4arch9wavefront6targetE0EEEvSP_
	.p2align	8
	.type	_ZN7rocprim17ROCPRIM_400000_NS6detail17trampoline_kernelINS0_14default_configENS1_32segmented_reduce_config_selectorIfEEZNS1_21segmented_reduce_implIS3_PKfPfPKlfN6hipcub16HIPCUB_304000_NS6detail27convert_result_type_wrapperIS8_S9_N2at6native12_GLOBAL__N_19CustomMinEEEEE10hipError_tPvRmT0_T1_jT2_SQ_T4_T3_P12ihipStream_tbEUlT_E_NS1_11comp_targetILNS1_3genE5ELNS1_11target_archE942ELNS1_3gpuE9ELNS1_3repE0EEENS1_30default_config_static_selectorELNS0_4arch9wavefront6targetE0EEEvSP_,@function
_ZN7rocprim17ROCPRIM_400000_NS6detail17trampoline_kernelINS0_14default_configENS1_32segmented_reduce_config_selectorIfEEZNS1_21segmented_reduce_implIS3_PKfPfPKlfN6hipcub16HIPCUB_304000_NS6detail27convert_result_type_wrapperIS8_S9_N2at6native12_GLOBAL__N_19CustomMinEEEEE10hipError_tPvRmT0_T1_jT2_SQ_T4_T3_P12ihipStream_tbEUlT_E_NS1_11comp_targetILNS1_3genE5ELNS1_11target_archE942ELNS1_3gpuE9ELNS1_3repE0EEENS1_30default_config_static_selectorELNS0_4arch9wavefront6targetE0EEEvSP_: ; @_ZN7rocprim17ROCPRIM_400000_NS6detail17trampoline_kernelINS0_14default_configENS1_32segmented_reduce_config_selectorIfEEZNS1_21segmented_reduce_implIS3_PKfPfPKlfN6hipcub16HIPCUB_304000_NS6detail27convert_result_type_wrapperIS8_S9_N2at6native12_GLOBAL__N_19CustomMinEEEEE10hipError_tPvRmT0_T1_jT2_SQ_T4_T3_P12ihipStream_tbEUlT_E_NS1_11comp_targetILNS1_3genE5ELNS1_11target_archE942ELNS1_3gpuE9ELNS1_3repE0EEENS1_30default_config_static_selectorELNS0_4arch9wavefront6targetE0EEEvSP_
; %bb.0:
	.section	.rodata,"a",@progbits
	.p2align	6, 0x0
	.amdhsa_kernel _ZN7rocprim17ROCPRIM_400000_NS6detail17trampoline_kernelINS0_14default_configENS1_32segmented_reduce_config_selectorIfEEZNS1_21segmented_reduce_implIS3_PKfPfPKlfN6hipcub16HIPCUB_304000_NS6detail27convert_result_type_wrapperIS8_S9_N2at6native12_GLOBAL__N_19CustomMinEEEEE10hipError_tPvRmT0_T1_jT2_SQ_T4_T3_P12ihipStream_tbEUlT_E_NS1_11comp_targetILNS1_3genE5ELNS1_11target_archE942ELNS1_3gpuE9ELNS1_3repE0EEENS1_30default_config_static_selectorELNS0_4arch9wavefront6targetE0EEEvSP_
		.amdhsa_group_segment_fixed_size 0
		.amdhsa_private_segment_fixed_size 0
		.amdhsa_kernarg_size 48
		.amdhsa_user_sgpr_count 15
		.amdhsa_user_sgpr_dispatch_ptr 0
		.amdhsa_user_sgpr_queue_ptr 0
		.amdhsa_user_sgpr_kernarg_segment_ptr 1
		.amdhsa_user_sgpr_dispatch_id 0
		.amdhsa_user_sgpr_private_segment_size 0
		.amdhsa_wavefront_size32 1
		.amdhsa_uses_dynamic_stack 0
		.amdhsa_enable_private_segment 0
		.amdhsa_system_sgpr_workgroup_id_x 1
		.amdhsa_system_sgpr_workgroup_id_y 0
		.amdhsa_system_sgpr_workgroup_id_z 0
		.amdhsa_system_sgpr_workgroup_info 0
		.amdhsa_system_vgpr_workitem_id 0
		.amdhsa_next_free_vgpr 1
		.amdhsa_next_free_sgpr 1
		.amdhsa_reserve_vcc 0
		.amdhsa_float_round_mode_32 0
		.amdhsa_float_round_mode_16_64 0
		.amdhsa_float_denorm_mode_32 3
		.amdhsa_float_denorm_mode_16_64 3
		.amdhsa_dx10_clamp 1
		.amdhsa_ieee_mode 1
		.amdhsa_fp16_overflow 0
		.amdhsa_workgroup_processor_mode 1
		.amdhsa_memory_ordered 1
		.amdhsa_forward_progress 0
		.amdhsa_shared_vgpr_count 0
		.amdhsa_exception_fp_ieee_invalid_op 0
		.amdhsa_exception_fp_denorm_src 0
		.amdhsa_exception_fp_ieee_div_zero 0
		.amdhsa_exception_fp_ieee_overflow 0
		.amdhsa_exception_fp_ieee_underflow 0
		.amdhsa_exception_fp_ieee_inexact 0
		.amdhsa_exception_int_div_zero 0
	.end_amdhsa_kernel
	.section	.text._ZN7rocprim17ROCPRIM_400000_NS6detail17trampoline_kernelINS0_14default_configENS1_32segmented_reduce_config_selectorIfEEZNS1_21segmented_reduce_implIS3_PKfPfPKlfN6hipcub16HIPCUB_304000_NS6detail27convert_result_type_wrapperIS8_S9_N2at6native12_GLOBAL__N_19CustomMinEEEEE10hipError_tPvRmT0_T1_jT2_SQ_T4_T3_P12ihipStream_tbEUlT_E_NS1_11comp_targetILNS1_3genE5ELNS1_11target_archE942ELNS1_3gpuE9ELNS1_3repE0EEENS1_30default_config_static_selectorELNS0_4arch9wavefront6targetE0EEEvSP_,"axG",@progbits,_ZN7rocprim17ROCPRIM_400000_NS6detail17trampoline_kernelINS0_14default_configENS1_32segmented_reduce_config_selectorIfEEZNS1_21segmented_reduce_implIS3_PKfPfPKlfN6hipcub16HIPCUB_304000_NS6detail27convert_result_type_wrapperIS8_S9_N2at6native12_GLOBAL__N_19CustomMinEEEEE10hipError_tPvRmT0_T1_jT2_SQ_T4_T3_P12ihipStream_tbEUlT_E_NS1_11comp_targetILNS1_3genE5ELNS1_11target_archE942ELNS1_3gpuE9ELNS1_3repE0EEENS1_30default_config_static_selectorELNS0_4arch9wavefront6targetE0EEEvSP_,comdat
.Lfunc_end197:
	.size	_ZN7rocprim17ROCPRIM_400000_NS6detail17trampoline_kernelINS0_14default_configENS1_32segmented_reduce_config_selectorIfEEZNS1_21segmented_reduce_implIS3_PKfPfPKlfN6hipcub16HIPCUB_304000_NS6detail27convert_result_type_wrapperIS8_S9_N2at6native12_GLOBAL__N_19CustomMinEEEEE10hipError_tPvRmT0_T1_jT2_SQ_T4_T3_P12ihipStream_tbEUlT_E_NS1_11comp_targetILNS1_3genE5ELNS1_11target_archE942ELNS1_3gpuE9ELNS1_3repE0EEENS1_30default_config_static_selectorELNS0_4arch9wavefront6targetE0EEEvSP_, .Lfunc_end197-_ZN7rocprim17ROCPRIM_400000_NS6detail17trampoline_kernelINS0_14default_configENS1_32segmented_reduce_config_selectorIfEEZNS1_21segmented_reduce_implIS3_PKfPfPKlfN6hipcub16HIPCUB_304000_NS6detail27convert_result_type_wrapperIS8_S9_N2at6native12_GLOBAL__N_19CustomMinEEEEE10hipError_tPvRmT0_T1_jT2_SQ_T4_T3_P12ihipStream_tbEUlT_E_NS1_11comp_targetILNS1_3genE5ELNS1_11target_archE942ELNS1_3gpuE9ELNS1_3repE0EEENS1_30default_config_static_selectorELNS0_4arch9wavefront6targetE0EEEvSP_
                                        ; -- End function
	.section	.AMDGPU.csdata,"",@progbits
; Kernel info:
; codeLenInByte = 0
; NumSgprs: 0
; NumVgprs: 0
; ScratchSize: 0
; MemoryBound: 0
; FloatMode: 240
; IeeeMode: 1
; LDSByteSize: 0 bytes/workgroup (compile time only)
; SGPRBlocks: 0
; VGPRBlocks: 0
; NumSGPRsForWavesPerEU: 1
; NumVGPRsForWavesPerEU: 1
; Occupancy: 16
; WaveLimiterHint : 0
; COMPUTE_PGM_RSRC2:SCRATCH_EN: 0
; COMPUTE_PGM_RSRC2:USER_SGPR: 15
; COMPUTE_PGM_RSRC2:TRAP_HANDLER: 0
; COMPUTE_PGM_RSRC2:TGID_X_EN: 1
; COMPUTE_PGM_RSRC2:TGID_Y_EN: 0
; COMPUTE_PGM_RSRC2:TGID_Z_EN: 0
; COMPUTE_PGM_RSRC2:TIDIG_COMP_CNT: 0
	.section	.text._ZN7rocprim17ROCPRIM_400000_NS6detail17trampoline_kernelINS0_14default_configENS1_32segmented_reduce_config_selectorIfEEZNS1_21segmented_reduce_implIS3_PKfPfPKlfN6hipcub16HIPCUB_304000_NS6detail27convert_result_type_wrapperIS8_S9_N2at6native12_GLOBAL__N_19CustomMinEEEEE10hipError_tPvRmT0_T1_jT2_SQ_T4_T3_P12ihipStream_tbEUlT_E_NS1_11comp_targetILNS1_3genE10ELNS1_11target_archE1201ELNS1_3gpuE5ELNS1_3repE0EEENS1_30default_config_static_selectorELNS0_4arch9wavefront6targetE0EEEvSP_,"axG",@progbits,_ZN7rocprim17ROCPRIM_400000_NS6detail17trampoline_kernelINS0_14default_configENS1_32segmented_reduce_config_selectorIfEEZNS1_21segmented_reduce_implIS3_PKfPfPKlfN6hipcub16HIPCUB_304000_NS6detail27convert_result_type_wrapperIS8_S9_N2at6native12_GLOBAL__N_19CustomMinEEEEE10hipError_tPvRmT0_T1_jT2_SQ_T4_T3_P12ihipStream_tbEUlT_E_NS1_11comp_targetILNS1_3genE10ELNS1_11target_archE1201ELNS1_3gpuE5ELNS1_3repE0EEENS1_30default_config_static_selectorELNS0_4arch9wavefront6targetE0EEEvSP_,comdat
	.globl	_ZN7rocprim17ROCPRIM_400000_NS6detail17trampoline_kernelINS0_14default_configENS1_32segmented_reduce_config_selectorIfEEZNS1_21segmented_reduce_implIS3_PKfPfPKlfN6hipcub16HIPCUB_304000_NS6detail27convert_result_type_wrapperIS8_S9_N2at6native12_GLOBAL__N_19CustomMinEEEEE10hipError_tPvRmT0_T1_jT2_SQ_T4_T3_P12ihipStream_tbEUlT_E_NS1_11comp_targetILNS1_3genE10ELNS1_11target_archE1201ELNS1_3gpuE5ELNS1_3repE0EEENS1_30default_config_static_selectorELNS0_4arch9wavefront6targetE0EEEvSP_ ; -- Begin function _ZN7rocprim17ROCPRIM_400000_NS6detail17trampoline_kernelINS0_14default_configENS1_32segmented_reduce_config_selectorIfEEZNS1_21segmented_reduce_implIS3_PKfPfPKlfN6hipcub16HIPCUB_304000_NS6detail27convert_result_type_wrapperIS8_S9_N2at6native12_GLOBAL__N_19CustomMinEEEEE10hipError_tPvRmT0_T1_jT2_SQ_T4_T3_P12ihipStream_tbEUlT_E_NS1_11comp_targetILNS1_3genE10ELNS1_11target_archE1201ELNS1_3gpuE5ELNS1_3repE0EEENS1_30default_config_static_selectorELNS0_4arch9wavefront6targetE0EEEvSP_
	.p2align	8
	.type	_ZN7rocprim17ROCPRIM_400000_NS6detail17trampoline_kernelINS0_14default_configENS1_32segmented_reduce_config_selectorIfEEZNS1_21segmented_reduce_implIS3_PKfPfPKlfN6hipcub16HIPCUB_304000_NS6detail27convert_result_type_wrapperIS8_S9_N2at6native12_GLOBAL__N_19CustomMinEEEEE10hipError_tPvRmT0_T1_jT2_SQ_T4_T3_P12ihipStream_tbEUlT_E_NS1_11comp_targetILNS1_3genE10ELNS1_11target_archE1201ELNS1_3gpuE5ELNS1_3repE0EEENS1_30default_config_static_selectorELNS0_4arch9wavefront6targetE0EEEvSP_,@function
_ZN7rocprim17ROCPRIM_400000_NS6detail17trampoline_kernelINS0_14default_configENS1_32segmented_reduce_config_selectorIfEEZNS1_21segmented_reduce_implIS3_PKfPfPKlfN6hipcub16HIPCUB_304000_NS6detail27convert_result_type_wrapperIS8_S9_N2at6native12_GLOBAL__N_19CustomMinEEEEE10hipError_tPvRmT0_T1_jT2_SQ_T4_T3_P12ihipStream_tbEUlT_E_NS1_11comp_targetILNS1_3genE10ELNS1_11target_archE1201ELNS1_3gpuE5ELNS1_3repE0EEENS1_30default_config_static_selectorELNS0_4arch9wavefront6targetE0EEEvSP_: ; @_ZN7rocprim17ROCPRIM_400000_NS6detail17trampoline_kernelINS0_14default_configENS1_32segmented_reduce_config_selectorIfEEZNS1_21segmented_reduce_implIS3_PKfPfPKlfN6hipcub16HIPCUB_304000_NS6detail27convert_result_type_wrapperIS8_S9_N2at6native12_GLOBAL__N_19CustomMinEEEEE10hipError_tPvRmT0_T1_jT2_SQ_T4_T3_P12ihipStream_tbEUlT_E_NS1_11comp_targetILNS1_3genE10ELNS1_11target_archE1201ELNS1_3gpuE5ELNS1_3repE0EEENS1_30default_config_static_selectorELNS0_4arch9wavefront6targetE0EEEvSP_
; %bb.0:
	.section	.rodata,"a",@progbits
	.p2align	6, 0x0
	.amdhsa_kernel _ZN7rocprim17ROCPRIM_400000_NS6detail17trampoline_kernelINS0_14default_configENS1_32segmented_reduce_config_selectorIfEEZNS1_21segmented_reduce_implIS3_PKfPfPKlfN6hipcub16HIPCUB_304000_NS6detail27convert_result_type_wrapperIS8_S9_N2at6native12_GLOBAL__N_19CustomMinEEEEE10hipError_tPvRmT0_T1_jT2_SQ_T4_T3_P12ihipStream_tbEUlT_E_NS1_11comp_targetILNS1_3genE10ELNS1_11target_archE1201ELNS1_3gpuE5ELNS1_3repE0EEENS1_30default_config_static_selectorELNS0_4arch9wavefront6targetE0EEEvSP_
		.amdhsa_group_segment_fixed_size 0
		.amdhsa_private_segment_fixed_size 0
		.amdhsa_kernarg_size 48
		.amdhsa_user_sgpr_count 15
		.amdhsa_user_sgpr_dispatch_ptr 0
		.amdhsa_user_sgpr_queue_ptr 0
		.amdhsa_user_sgpr_kernarg_segment_ptr 1
		.amdhsa_user_sgpr_dispatch_id 0
		.amdhsa_user_sgpr_private_segment_size 0
		.amdhsa_wavefront_size32 1
		.amdhsa_uses_dynamic_stack 0
		.amdhsa_enable_private_segment 0
		.amdhsa_system_sgpr_workgroup_id_x 1
		.amdhsa_system_sgpr_workgroup_id_y 0
		.amdhsa_system_sgpr_workgroup_id_z 0
		.amdhsa_system_sgpr_workgroup_info 0
		.amdhsa_system_vgpr_workitem_id 0
		.amdhsa_next_free_vgpr 1
		.amdhsa_next_free_sgpr 1
		.amdhsa_reserve_vcc 0
		.amdhsa_float_round_mode_32 0
		.amdhsa_float_round_mode_16_64 0
		.amdhsa_float_denorm_mode_32 3
		.amdhsa_float_denorm_mode_16_64 3
		.amdhsa_dx10_clamp 1
		.amdhsa_ieee_mode 1
		.amdhsa_fp16_overflow 0
		.amdhsa_workgroup_processor_mode 1
		.amdhsa_memory_ordered 1
		.amdhsa_forward_progress 0
		.amdhsa_shared_vgpr_count 0
		.amdhsa_exception_fp_ieee_invalid_op 0
		.amdhsa_exception_fp_denorm_src 0
		.amdhsa_exception_fp_ieee_div_zero 0
		.amdhsa_exception_fp_ieee_overflow 0
		.amdhsa_exception_fp_ieee_underflow 0
		.amdhsa_exception_fp_ieee_inexact 0
		.amdhsa_exception_int_div_zero 0
	.end_amdhsa_kernel
	.section	.text._ZN7rocprim17ROCPRIM_400000_NS6detail17trampoline_kernelINS0_14default_configENS1_32segmented_reduce_config_selectorIfEEZNS1_21segmented_reduce_implIS3_PKfPfPKlfN6hipcub16HIPCUB_304000_NS6detail27convert_result_type_wrapperIS8_S9_N2at6native12_GLOBAL__N_19CustomMinEEEEE10hipError_tPvRmT0_T1_jT2_SQ_T4_T3_P12ihipStream_tbEUlT_E_NS1_11comp_targetILNS1_3genE10ELNS1_11target_archE1201ELNS1_3gpuE5ELNS1_3repE0EEENS1_30default_config_static_selectorELNS0_4arch9wavefront6targetE0EEEvSP_,"axG",@progbits,_ZN7rocprim17ROCPRIM_400000_NS6detail17trampoline_kernelINS0_14default_configENS1_32segmented_reduce_config_selectorIfEEZNS1_21segmented_reduce_implIS3_PKfPfPKlfN6hipcub16HIPCUB_304000_NS6detail27convert_result_type_wrapperIS8_S9_N2at6native12_GLOBAL__N_19CustomMinEEEEE10hipError_tPvRmT0_T1_jT2_SQ_T4_T3_P12ihipStream_tbEUlT_E_NS1_11comp_targetILNS1_3genE10ELNS1_11target_archE1201ELNS1_3gpuE5ELNS1_3repE0EEENS1_30default_config_static_selectorELNS0_4arch9wavefront6targetE0EEEvSP_,comdat
.Lfunc_end198:
	.size	_ZN7rocprim17ROCPRIM_400000_NS6detail17trampoline_kernelINS0_14default_configENS1_32segmented_reduce_config_selectorIfEEZNS1_21segmented_reduce_implIS3_PKfPfPKlfN6hipcub16HIPCUB_304000_NS6detail27convert_result_type_wrapperIS8_S9_N2at6native12_GLOBAL__N_19CustomMinEEEEE10hipError_tPvRmT0_T1_jT2_SQ_T4_T3_P12ihipStream_tbEUlT_E_NS1_11comp_targetILNS1_3genE10ELNS1_11target_archE1201ELNS1_3gpuE5ELNS1_3repE0EEENS1_30default_config_static_selectorELNS0_4arch9wavefront6targetE0EEEvSP_, .Lfunc_end198-_ZN7rocprim17ROCPRIM_400000_NS6detail17trampoline_kernelINS0_14default_configENS1_32segmented_reduce_config_selectorIfEEZNS1_21segmented_reduce_implIS3_PKfPfPKlfN6hipcub16HIPCUB_304000_NS6detail27convert_result_type_wrapperIS8_S9_N2at6native12_GLOBAL__N_19CustomMinEEEEE10hipError_tPvRmT0_T1_jT2_SQ_T4_T3_P12ihipStream_tbEUlT_E_NS1_11comp_targetILNS1_3genE10ELNS1_11target_archE1201ELNS1_3gpuE5ELNS1_3repE0EEENS1_30default_config_static_selectorELNS0_4arch9wavefront6targetE0EEEvSP_
                                        ; -- End function
	.section	.AMDGPU.csdata,"",@progbits
; Kernel info:
; codeLenInByte = 0
; NumSgprs: 0
; NumVgprs: 0
; ScratchSize: 0
; MemoryBound: 0
; FloatMode: 240
; IeeeMode: 1
; LDSByteSize: 0 bytes/workgroup (compile time only)
; SGPRBlocks: 0
; VGPRBlocks: 0
; NumSGPRsForWavesPerEU: 1
; NumVGPRsForWavesPerEU: 1
; Occupancy: 16
; WaveLimiterHint : 0
; COMPUTE_PGM_RSRC2:SCRATCH_EN: 0
; COMPUTE_PGM_RSRC2:USER_SGPR: 15
; COMPUTE_PGM_RSRC2:TRAP_HANDLER: 0
; COMPUTE_PGM_RSRC2:TGID_X_EN: 1
; COMPUTE_PGM_RSRC2:TGID_Y_EN: 0
; COMPUTE_PGM_RSRC2:TGID_Z_EN: 0
; COMPUTE_PGM_RSRC2:TIDIG_COMP_CNT: 0
	.section	.text._ZN7rocprim17ROCPRIM_400000_NS6detail17trampoline_kernelINS0_14default_configENS1_32segmented_reduce_config_selectorIfEEZNS1_21segmented_reduce_implIS3_PKfPfPKlfN6hipcub16HIPCUB_304000_NS6detail27convert_result_type_wrapperIS8_S9_N2at6native12_GLOBAL__N_19CustomMinEEEEE10hipError_tPvRmT0_T1_jT2_SQ_T4_T3_P12ihipStream_tbEUlT_E_NS1_11comp_targetILNS1_3genE4ELNS1_11target_archE910ELNS1_3gpuE8ELNS1_3repE0EEENS1_30default_config_static_selectorELNS0_4arch9wavefront6targetE0EEEvSP_,"axG",@progbits,_ZN7rocprim17ROCPRIM_400000_NS6detail17trampoline_kernelINS0_14default_configENS1_32segmented_reduce_config_selectorIfEEZNS1_21segmented_reduce_implIS3_PKfPfPKlfN6hipcub16HIPCUB_304000_NS6detail27convert_result_type_wrapperIS8_S9_N2at6native12_GLOBAL__N_19CustomMinEEEEE10hipError_tPvRmT0_T1_jT2_SQ_T4_T3_P12ihipStream_tbEUlT_E_NS1_11comp_targetILNS1_3genE4ELNS1_11target_archE910ELNS1_3gpuE8ELNS1_3repE0EEENS1_30default_config_static_selectorELNS0_4arch9wavefront6targetE0EEEvSP_,comdat
	.globl	_ZN7rocprim17ROCPRIM_400000_NS6detail17trampoline_kernelINS0_14default_configENS1_32segmented_reduce_config_selectorIfEEZNS1_21segmented_reduce_implIS3_PKfPfPKlfN6hipcub16HIPCUB_304000_NS6detail27convert_result_type_wrapperIS8_S9_N2at6native12_GLOBAL__N_19CustomMinEEEEE10hipError_tPvRmT0_T1_jT2_SQ_T4_T3_P12ihipStream_tbEUlT_E_NS1_11comp_targetILNS1_3genE4ELNS1_11target_archE910ELNS1_3gpuE8ELNS1_3repE0EEENS1_30default_config_static_selectorELNS0_4arch9wavefront6targetE0EEEvSP_ ; -- Begin function _ZN7rocprim17ROCPRIM_400000_NS6detail17trampoline_kernelINS0_14default_configENS1_32segmented_reduce_config_selectorIfEEZNS1_21segmented_reduce_implIS3_PKfPfPKlfN6hipcub16HIPCUB_304000_NS6detail27convert_result_type_wrapperIS8_S9_N2at6native12_GLOBAL__N_19CustomMinEEEEE10hipError_tPvRmT0_T1_jT2_SQ_T4_T3_P12ihipStream_tbEUlT_E_NS1_11comp_targetILNS1_3genE4ELNS1_11target_archE910ELNS1_3gpuE8ELNS1_3repE0EEENS1_30default_config_static_selectorELNS0_4arch9wavefront6targetE0EEEvSP_
	.p2align	8
	.type	_ZN7rocprim17ROCPRIM_400000_NS6detail17trampoline_kernelINS0_14default_configENS1_32segmented_reduce_config_selectorIfEEZNS1_21segmented_reduce_implIS3_PKfPfPKlfN6hipcub16HIPCUB_304000_NS6detail27convert_result_type_wrapperIS8_S9_N2at6native12_GLOBAL__N_19CustomMinEEEEE10hipError_tPvRmT0_T1_jT2_SQ_T4_T3_P12ihipStream_tbEUlT_E_NS1_11comp_targetILNS1_3genE4ELNS1_11target_archE910ELNS1_3gpuE8ELNS1_3repE0EEENS1_30default_config_static_selectorELNS0_4arch9wavefront6targetE0EEEvSP_,@function
_ZN7rocprim17ROCPRIM_400000_NS6detail17trampoline_kernelINS0_14default_configENS1_32segmented_reduce_config_selectorIfEEZNS1_21segmented_reduce_implIS3_PKfPfPKlfN6hipcub16HIPCUB_304000_NS6detail27convert_result_type_wrapperIS8_S9_N2at6native12_GLOBAL__N_19CustomMinEEEEE10hipError_tPvRmT0_T1_jT2_SQ_T4_T3_P12ihipStream_tbEUlT_E_NS1_11comp_targetILNS1_3genE4ELNS1_11target_archE910ELNS1_3gpuE8ELNS1_3repE0EEENS1_30default_config_static_selectorELNS0_4arch9wavefront6targetE0EEEvSP_: ; @_ZN7rocprim17ROCPRIM_400000_NS6detail17trampoline_kernelINS0_14default_configENS1_32segmented_reduce_config_selectorIfEEZNS1_21segmented_reduce_implIS3_PKfPfPKlfN6hipcub16HIPCUB_304000_NS6detail27convert_result_type_wrapperIS8_S9_N2at6native12_GLOBAL__N_19CustomMinEEEEE10hipError_tPvRmT0_T1_jT2_SQ_T4_T3_P12ihipStream_tbEUlT_E_NS1_11comp_targetILNS1_3genE4ELNS1_11target_archE910ELNS1_3gpuE8ELNS1_3repE0EEENS1_30default_config_static_selectorELNS0_4arch9wavefront6targetE0EEEvSP_
; %bb.0:
	.section	.rodata,"a",@progbits
	.p2align	6, 0x0
	.amdhsa_kernel _ZN7rocprim17ROCPRIM_400000_NS6detail17trampoline_kernelINS0_14default_configENS1_32segmented_reduce_config_selectorIfEEZNS1_21segmented_reduce_implIS3_PKfPfPKlfN6hipcub16HIPCUB_304000_NS6detail27convert_result_type_wrapperIS8_S9_N2at6native12_GLOBAL__N_19CustomMinEEEEE10hipError_tPvRmT0_T1_jT2_SQ_T4_T3_P12ihipStream_tbEUlT_E_NS1_11comp_targetILNS1_3genE4ELNS1_11target_archE910ELNS1_3gpuE8ELNS1_3repE0EEENS1_30default_config_static_selectorELNS0_4arch9wavefront6targetE0EEEvSP_
		.amdhsa_group_segment_fixed_size 0
		.amdhsa_private_segment_fixed_size 0
		.amdhsa_kernarg_size 48
		.amdhsa_user_sgpr_count 15
		.amdhsa_user_sgpr_dispatch_ptr 0
		.amdhsa_user_sgpr_queue_ptr 0
		.amdhsa_user_sgpr_kernarg_segment_ptr 1
		.amdhsa_user_sgpr_dispatch_id 0
		.amdhsa_user_sgpr_private_segment_size 0
		.amdhsa_wavefront_size32 1
		.amdhsa_uses_dynamic_stack 0
		.amdhsa_enable_private_segment 0
		.amdhsa_system_sgpr_workgroup_id_x 1
		.amdhsa_system_sgpr_workgroup_id_y 0
		.amdhsa_system_sgpr_workgroup_id_z 0
		.amdhsa_system_sgpr_workgroup_info 0
		.amdhsa_system_vgpr_workitem_id 0
		.amdhsa_next_free_vgpr 1
		.amdhsa_next_free_sgpr 1
		.amdhsa_reserve_vcc 0
		.amdhsa_float_round_mode_32 0
		.amdhsa_float_round_mode_16_64 0
		.amdhsa_float_denorm_mode_32 3
		.amdhsa_float_denorm_mode_16_64 3
		.amdhsa_dx10_clamp 1
		.amdhsa_ieee_mode 1
		.amdhsa_fp16_overflow 0
		.amdhsa_workgroup_processor_mode 1
		.amdhsa_memory_ordered 1
		.amdhsa_forward_progress 0
		.amdhsa_shared_vgpr_count 0
		.amdhsa_exception_fp_ieee_invalid_op 0
		.amdhsa_exception_fp_denorm_src 0
		.amdhsa_exception_fp_ieee_div_zero 0
		.amdhsa_exception_fp_ieee_overflow 0
		.amdhsa_exception_fp_ieee_underflow 0
		.amdhsa_exception_fp_ieee_inexact 0
		.amdhsa_exception_int_div_zero 0
	.end_amdhsa_kernel
	.section	.text._ZN7rocprim17ROCPRIM_400000_NS6detail17trampoline_kernelINS0_14default_configENS1_32segmented_reduce_config_selectorIfEEZNS1_21segmented_reduce_implIS3_PKfPfPKlfN6hipcub16HIPCUB_304000_NS6detail27convert_result_type_wrapperIS8_S9_N2at6native12_GLOBAL__N_19CustomMinEEEEE10hipError_tPvRmT0_T1_jT2_SQ_T4_T3_P12ihipStream_tbEUlT_E_NS1_11comp_targetILNS1_3genE4ELNS1_11target_archE910ELNS1_3gpuE8ELNS1_3repE0EEENS1_30default_config_static_selectorELNS0_4arch9wavefront6targetE0EEEvSP_,"axG",@progbits,_ZN7rocprim17ROCPRIM_400000_NS6detail17trampoline_kernelINS0_14default_configENS1_32segmented_reduce_config_selectorIfEEZNS1_21segmented_reduce_implIS3_PKfPfPKlfN6hipcub16HIPCUB_304000_NS6detail27convert_result_type_wrapperIS8_S9_N2at6native12_GLOBAL__N_19CustomMinEEEEE10hipError_tPvRmT0_T1_jT2_SQ_T4_T3_P12ihipStream_tbEUlT_E_NS1_11comp_targetILNS1_3genE4ELNS1_11target_archE910ELNS1_3gpuE8ELNS1_3repE0EEENS1_30default_config_static_selectorELNS0_4arch9wavefront6targetE0EEEvSP_,comdat
.Lfunc_end199:
	.size	_ZN7rocprim17ROCPRIM_400000_NS6detail17trampoline_kernelINS0_14default_configENS1_32segmented_reduce_config_selectorIfEEZNS1_21segmented_reduce_implIS3_PKfPfPKlfN6hipcub16HIPCUB_304000_NS6detail27convert_result_type_wrapperIS8_S9_N2at6native12_GLOBAL__N_19CustomMinEEEEE10hipError_tPvRmT0_T1_jT2_SQ_T4_T3_P12ihipStream_tbEUlT_E_NS1_11comp_targetILNS1_3genE4ELNS1_11target_archE910ELNS1_3gpuE8ELNS1_3repE0EEENS1_30default_config_static_selectorELNS0_4arch9wavefront6targetE0EEEvSP_, .Lfunc_end199-_ZN7rocprim17ROCPRIM_400000_NS6detail17trampoline_kernelINS0_14default_configENS1_32segmented_reduce_config_selectorIfEEZNS1_21segmented_reduce_implIS3_PKfPfPKlfN6hipcub16HIPCUB_304000_NS6detail27convert_result_type_wrapperIS8_S9_N2at6native12_GLOBAL__N_19CustomMinEEEEE10hipError_tPvRmT0_T1_jT2_SQ_T4_T3_P12ihipStream_tbEUlT_E_NS1_11comp_targetILNS1_3genE4ELNS1_11target_archE910ELNS1_3gpuE8ELNS1_3repE0EEENS1_30default_config_static_selectorELNS0_4arch9wavefront6targetE0EEEvSP_
                                        ; -- End function
	.section	.AMDGPU.csdata,"",@progbits
; Kernel info:
; codeLenInByte = 0
; NumSgprs: 0
; NumVgprs: 0
; ScratchSize: 0
; MemoryBound: 0
; FloatMode: 240
; IeeeMode: 1
; LDSByteSize: 0 bytes/workgroup (compile time only)
; SGPRBlocks: 0
; VGPRBlocks: 0
; NumSGPRsForWavesPerEU: 1
; NumVGPRsForWavesPerEU: 1
; Occupancy: 16
; WaveLimiterHint : 0
; COMPUTE_PGM_RSRC2:SCRATCH_EN: 0
; COMPUTE_PGM_RSRC2:USER_SGPR: 15
; COMPUTE_PGM_RSRC2:TRAP_HANDLER: 0
; COMPUTE_PGM_RSRC2:TGID_X_EN: 1
; COMPUTE_PGM_RSRC2:TGID_Y_EN: 0
; COMPUTE_PGM_RSRC2:TGID_Z_EN: 0
; COMPUTE_PGM_RSRC2:TIDIG_COMP_CNT: 0
	.section	.text._ZN7rocprim17ROCPRIM_400000_NS6detail17trampoline_kernelINS0_14default_configENS1_32segmented_reduce_config_selectorIfEEZNS1_21segmented_reduce_implIS3_PKfPfPKlfN6hipcub16HIPCUB_304000_NS6detail27convert_result_type_wrapperIS8_S9_N2at6native12_GLOBAL__N_19CustomMinEEEEE10hipError_tPvRmT0_T1_jT2_SQ_T4_T3_P12ihipStream_tbEUlT_E_NS1_11comp_targetILNS1_3genE3ELNS1_11target_archE908ELNS1_3gpuE7ELNS1_3repE0EEENS1_30default_config_static_selectorELNS0_4arch9wavefront6targetE0EEEvSP_,"axG",@progbits,_ZN7rocprim17ROCPRIM_400000_NS6detail17trampoline_kernelINS0_14default_configENS1_32segmented_reduce_config_selectorIfEEZNS1_21segmented_reduce_implIS3_PKfPfPKlfN6hipcub16HIPCUB_304000_NS6detail27convert_result_type_wrapperIS8_S9_N2at6native12_GLOBAL__N_19CustomMinEEEEE10hipError_tPvRmT0_T1_jT2_SQ_T4_T3_P12ihipStream_tbEUlT_E_NS1_11comp_targetILNS1_3genE3ELNS1_11target_archE908ELNS1_3gpuE7ELNS1_3repE0EEENS1_30default_config_static_selectorELNS0_4arch9wavefront6targetE0EEEvSP_,comdat
	.globl	_ZN7rocprim17ROCPRIM_400000_NS6detail17trampoline_kernelINS0_14default_configENS1_32segmented_reduce_config_selectorIfEEZNS1_21segmented_reduce_implIS3_PKfPfPKlfN6hipcub16HIPCUB_304000_NS6detail27convert_result_type_wrapperIS8_S9_N2at6native12_GLOBAL__N_19CustomMinEEEEE10hipError_tPvRmT0_T1_jT2_SQ_T4_T3_P12ihipStream_tbEUlT_E_NS1_11comp_targetILNS1_3genE3ELNS1_11target_archE908ELNS1_3gpuE7ELNS1_3repE0EEENS1_30default_config_static_selectorELNS0_4arch9wavefront6targetE0EEEvSP_ ; -- Begin function _ZN7rocprim17ROCPRIM_400000_NS6detail17trampoline_kernelINS0_14default_configENS1_32segmented_reduce_config_selectorIfEEZNS1_21segmented_reduce_implIS3_PKfPfPKlfN6hipcub16HIPCUB_304000_NS6detail27convert_result_type_wrapperIS8_S9_N2at6native12_GLOBAL__N_19CustomMinEEEEE10hipError_tPvRmT0_T1_jT2_SQ_T4_T3_P12ihipStream_tbEUlT_E_NS1_11comp_targetILNS1_3genE3ELNS1_11target_archE908ELNS1_3gpuE7ELNS1_3repE0EEENS1_30default_config_static_selectorELNS0_4arch9wavefront6targetE0EEEvSP_
	.p2align	8
	.type	_ZN7rocprim17ROCPRIM_400000_NS6detail17trampoline_kernelINS0_14default_configENS1_32segmented_reduce_config_selectorIfEEZNS1_21segmented_reduce_implIS3_PKfPfPKlfN6hipcub16HIPCUB_304000_NS6detail27convert_result_type_wrapperIS8_S9_N2at6native12_GLOBAL__N_19CustomMinEEEEE10hipError_tPvRmT0_T1_jT2_SQ_T4_T3_P12ihipStream_tbEUlT_E_NS1_11comp_targetILNS1_3genE3ELNS1_11target_archE908ELNS1_3gpuE7ELNS1_3repE0EEENS1_30default_config_static_selectorELNS0_4arch9wavefront6targetE0EEEvSP_,@function
_ZN7rocprim17ROCPRIM_400000_NS6detail17trampoline_kernelINS0_14default_configENS1_32segmented_reduce_config_selectorIfEEZNS1_21segmented_reduce_implIS3_PKfPfPKlfN6hipcub16HIPCUB_304000_NS6detail27convert_result_type_wrapperIS8_S9_N2at6native12_GLOBAL__N_19CustomMinEEEEE10hipError_tPvRmT0_T1_jT2_SQ_T4_T3_P12ihipStream_tbEUlT_E_NS1_11comp_targetILNS1_3genE3ELNS1_11target_archE908ELNS1_3gpuE7ELNS1_3repE0EEENS1_30default_config_static_selectorELNS0_4arch9wavefront6targetE0EEEvSP_: ; @_ZN7rocprim17ROCPRIM_400000_NS6detail17trampoline_kernelINS0_14default_configENS1_32segmented_reduce_config_selectorIfEEZNS1_21segmented_reduce_implIS3_PKfPfPKlfN6hipcub16HIPCUB_304000_NS6detail27convert_result_type_wrapperIS8_S9_N2at6native12_GLOBAL__N_19CustomMinEEEEE10hipError_tPvRmT0_T1_jT2_SQ_T4_T3_P12ihipStream_tbEUlT_E_NS1_11comp_targetILNS1_3genE3ELNS1_11target_archE908ELNS1_3gpuE7ELNS1_3repE0EEENS1_30default_config_static_selectorELNS0_4arch9wavefront6targetE0EEEvSP_
; %bb.0:
	.section	.rodata,"a",@progbits
	.p2align	6, 0x0
	.amdhsa_kernel _ZN7rocprim17ROCPRIM_400000_NS6detail17trampoline_kernelINS0_14default_configENS1_32segmented_reduce_config_selectorIfEEZNS1_21segmented_reduce_implIS3_PKfPfPKlfN6hipcub16HIPCUB_304000_NS6detail27convert_result_type_wrapperIS8_S9_N2at6native12_GLOBAL__N_19CustomMinEEEEE10hipError_tPvRmT0_T1_jT2_SQ_T4_T3_P12ihipStream_tbEUlT_E_NS1_11comp_targetILNS1_3genE3ELNS1_11target_archE908ELNS1_3gpuE7ELNS1_3repE0EEENS1_30default_config_static_selectorELNS0_4arch9wavefront6targetE0EEEvSP_
		.amdhsa_group_segment_fixed_size 0
		.amdhsa_private_segment_fixed_size 0
		.amdhsa_kernarg_size 48
		.amdhsa_user_sgpr_count 15
		.amdhsa_user_sgpr_dispatch_ptr 0
		.amdhsa_user_sgpr_queue_ptr 0
		.amdhsa_user_sgpr_kernarg_segment_ptr 1
		.amdhsa_user_sgpr_dispatch_id 0
		.amdhsa_user_sgpr_private_segment_size 0
		.amdhsa_wavefront_size32 1
		.amdhsa_uses_dynamic_stack 0
		.amdhsa_enable_private_segment 0
		.amdhsa_system_sgpr_workgroup_id_x 1
		.amdhsa_system_sgpr_workgroup_id_y 0
		.amdhsa_system_sgpr_workgroup_id_z 0
		.amdhsa_system_sgpr_workgroup_info 0
		.amdhsa_system_vgpr_workitem_id 0
		.amdhsa_next_free_vgpr 1
		.amdhsa_next_free_sgpr 1
		.amdhsa_reserve_vcc 0
		.amdhsa_float_round_mode_32 0
		.amdhsa_float_round_mode_16_64 0
		.amdhsa_float_denorm_mode_32 3
		.amdhsa_float_denorm_mode_16_64 3
		.amdhsa_dx10_clamp 1
		.amdhsa_ieee_mode 1
		.amdhsa_fp16_overflow 0
		.amdhsa_workgroup_processor_mode 1
		.amdhsa_memory_ordered 1
		.amdhsa_forward_progress 0
		.amdhsa_shared_vgpr_count 0
		.amdhsa_exception_fp_ieee_invalid_op 0
		.amdhsa_exception_fp_denorm_src 0
		.amdhsa_exception_fp_ieee_div_zero 0
		.amdhsa_exception_fp_ieee_overflow 0
		.amdhsa_exception_fp_ieee_underflow 0
		.amdhsa_exception_fp_ieee_inexact 0
		.amdhsa_exception_int_div_zero 0
	.end_amdhsa_kernel
	.section	.text._ZN7rocprim17ROCPRIM_400000_NS6detail17trampoline_kernelINS0_14default_configENS1_32segmented_reduce_config_selectorIfEEZNS1_21segmented_reduce_implIS3_PKfPfPKlfN6hipcub16HIPCUB_304000_NS6detail27convert_result_type_wrapperIS8_S9_N2at6native12_GLOBAL__N_19CustomMinEEEEE10hipError_tPvRmT0_T1_jT2_SQ_T4_T3_P12ihipStream_tbEUlT_E_NS1_11comp_targetILNS1_3genE3ELNS1_11target_archE908ELNS1_3gpuE7ELNS1_3repE0EEENS1_30default_config_static_selectorELNS0_4arch9wavefront6targetE0EEEvSP_,"axG",@progbits,_ZN7rocprim17ROCPRIM_400000_NS6detail17trampoline_kernelINS0_14default_configENS1_32segmented_reduce_config_selectorIfEEZNS1_21segmented_reduce_implIS3_PKfPfPKlfN6hipcub16HIPCUB_304000_NS6detail27convert_result_type_wrapperIS8_S9_N2at6native12_GLOBAL__N_19CustomMinEEEEE10hipError_tPvRmT0_T1_jT2_SQ_T4_T3_P12ihipStream_tbEUlT_E_NS1_11comp_targetILNS1_3genE3ELNS1_11target_archE908ELNS1_3gpuE7ELNS1_3repE0EEENS1_30default_config_static_selectorELNS0_4arch9wavefront6targetE0EEEvSP_,comdat
.Lfunc_end200:
	.size	_ZN7rocprim17ROCPRIM_400000_NS6detail17trampoline_kernelINS0_14default_configENS1_32segmented_reduce_config_selectorIfEEZNS1_21segmented_reduce_implIS3_PKfPfPKlfN6hipcub16HIPCUB_304000_NS6detail27convert_result_type_wrapperIS8_S9_N2at6native12_GLOBAL__N_19CustomMinEEEEE10hipError_tPvRmT0_T1_jT2_SQ_T4_T3_P12ihipStream_tbEUlT_E_NS1_11comp_targetILNS1_3genE3ELNS1_11target_archE908ELNS1_3gpuE7ELNS1_3repE0EEENS1_30default_config_static_selectorELNS0_4arch9wavefront6targetE0EEEvSP_, .Lfunc_end200-_ZN7rocprim17ROCPRIM_400000_NS6detail17trampoline_kernelINS0_14default_configENS1_32segmented_reduce_config_selectorIfEEZNS1_21segmented_reduce_implIS3_PKfPfPKlfN6hipcub16HIPCUB_304000_NS6detail27convert_result_type_wrapperIS8_S9_N2at6native12_GLOBAL__N_19CustomMinEEEEE10hipError_tPvRmT0_T1_jT2_SQ_T4_T3_P12ihipStream_tbEUlT_E_NS1_11comp_targetILNS1_3genE3ELNS1_11target_archE908ELNS1_3gpuE7ELNS1_3repE0EEENS1_30default_config_static_selectorELNS0_4arch9wavefront6targetE0EEEvSP_
                                        ; -- End function
	.section	.AMDGPU.csdata,"",@progbits
; Kernel info:
; codeLenInByte = 0
; NumSgprs: 0
; NumVgprs: 0
; ScratchSize: 0
; MemoryBound: 0
; FloatMode: 240
; IeeeMode: 1
; LDSByteSize: 0 bytes/workgroup (compile time only)
; SGPRBlocks: 0
; VGPRBlocks: 0
; NumSGPRsForWavesPerEU: 1
; NumVGPRsForWavesPerEU: 1
; Occupancy: 16
; WaveLimiterHint : 0
; COMPUTE_PGM_RSRC2:SCRATCH_EN: 0
; COMPUTE_PGM_RSRC2:USER_SGPR: 15
; COMPUTE_PGM_RSRC2:TRAP_HANDLER: 0
; COMPUTE_PGM_RSRC2:TGID_X_EN: 1
; COMPUTE_PGM_RSRC2:TGID_Y_EN: 0
; COMPUTE_PGM_RSRC2:TGID_Z_EN: 0
; COMPUTE_PGM_RSRC2:TIDIG_COMP_CNT: 0
	.section	.text._ZN7rocprim17ROCPRIM_400000_NS6detail17trampoline_kernelINS0_14default_configENS1_32segmented_reduce_config_selectorIfEEZNS1_21segmented_reduce_implIS3_PKfPfPKlfN6hipcub16HIPCUB_304000_NS6detail27convert_result_type_wrapperIS8_S9_N2at6native12_GLOBAL__N_19CustomMinEEEEE10hipError_tPvRmT0_T1_jT2_SQ_T4_T3_P12ihipStream_tbEUlT_E_NS1_11comp_targetILNS1_3genE2ELNS1_11target_archE906ELNS1_3gpuE6ELNS1_3repE0EEENS1_30default_config_static_selectorELNS0_4arch9wavefront6targetE0EEEvSP_,"axG",@progbits,_ZN7rocprim17ROCPRIM_400000_NS6detail17trampoline_kernelINS0_14default_configENS1_32segmented_reduce_config_selectorIfEEZNS1_21segmented_reduce_implIS3_PKfPfPKlfN6hipcub16HIPCUB_304000_NS6detail27convert_result_type_wrapperIS8_S9_N2at6native12_GLOBAL__N_19CustomMinEEEEE10hipError_tPvRmT0_T1_jT2_SQ_T4_T3_P12ihipStream_tbEUlT_E_NS1_11comp_targetILNS1_3genE2ELNS1_11target_archE906ELNS1_3gpuE6ELNS1_3repE0EEENS1_30default_config_static_selectorELNS0_4arch9wavefront6targetE0EEEvSP_,comdat
	.globl	_ZN7rocprim17ROCPRIM_400000_NS6detail17trampoline_kernelINS0_14default_configENS1_32segmented_reduce_config_selectorIfEEZNS1_21segmented_reduce_implIS3_PKfPfPKlfN6hipcub16HIPCUB_304000_NS6detail27convert_result_type_wrapperIS8_S9_N2at6native12_GLOBAL__N_19CustomMinEEEEE10hipError_tPvRmT0_T1_jT2_SQ_T4_T3_P12ihipStream_tbEUlT_E_NS1_11comp_targetILNS1_3genE2ELNS1_11target_archE906ELNS1_3gpuE6ELNS1_3repE0EEENS1_30default_config_static_selectorELNS0_4arch9wavefront6targetE0EEEvSP_ ; -- Begin function _ZN7rocprim17ROCPRIM_400000_NS6detail17trampoline_kernelINS0_14default_configENS1_32segmented_reduce_config_selectorIfEEZNS1_21segmented_reduce_implIS3_PKfPfPKlfN6hipcub16HIPCUB_304000_NS6detail27convert_result_type_wrapperIS8_S9_N2at6native12_GLOBAL__N_19CustomMinEEEEE10hipError_tPvRmT0_T1_jT2_SQ_T4_T3_P12ihipStream_tbEUlT_E_NS1_11comp_targetILNS1_3genE2ELNS1_11target_archE906ELNS1_3gpuE6ELNS1_3repE0EEENS1_30default_config_static_selectorELNS0_4arch9wavefront6targetE0EEEvSP_
	.p2align	8
	.type	_ZN7rocprim17ROCPRIM_400000_NS6detail17trampoline_kernelINS0_14default_configENS1_32segmented_reduce_config_selectorIfEEZNS1_21segmented_reduce_implIS3_PKfPfPKlfN6hipcub16HIPCUB_304000_NS6detail27convert_result_type_wrapperIS8_S9_N2at6native12_GLOBAL__N_19CustomMinEEEEE10hipError_tPvRmT0_T1_jT2_SQ_T4_T3_P12ihipStream_tbEUlT_E_NS1_11comp_targetILNS1_3genE2ELNS1_11target_archE906ELNS1_3gpuE6ELNS1_3repE0EEENS1_30default_config_static_selectorELNS0_4arch9wavefront6targetE0EEEvSP_,@function
_ZN7rocprim17ROCPRIM_400000_NS6detail17trampoline_kernelINS0_14default_configENS1_32segmented_reduce_config_selectorIfEEZNS1_21segmented_reduce_implIS3_PKfPfPKlfN6hipcub16HIPCUB_304000_NS6detail27convert_result_type_wrapperIS8_S9_N2at6native12_GLOBAL__N_19CustomMinEEEEE10hipError_tPvRmT0_T1_jT2_SQ_T4_T3_P12ihipStream_tbEUlT_E_NS1_11comp_targetILNS1_3genE2ELNS1_11target_archE906ELNS1_3gpuE6ELNS1_3repE0EEENS1_30default_config_static_selectorELNS0_4arch9wavefront6targetE0EEEvSP_: ; @_ZN7rocprim17ROCPRIM_400000_NS6detail17trampoline_kernelINS0_14default_configENS1_32segmented_reduce_config_selectorIfEEZNS1_21segmented_reduce_implIS3_PKfPfPKlfN6hipcub16HIPCUB_304000_NS6detail27convert_result_type_wrapperIS8_S9_N2at6native12_GLOBAL__N_19CustomMinEEEEE10hipError_tPvRmT0_T1_jT2_SQ_T4_T3_P12ihipStream_tbEUlT_E_NS1_11comp_targetILNS1_3genE2ELNS1_11target_archE906ELNS1_3gpuE6ELNS1_3repE0EEENS1_30default_config_static_selectorELNS0_4arch9wavefront6targetE0EEEvSP_
; %bb.0:
	.section	.rodata,"a",@progbits
	.p2align	6, 0x0
	.amdhsa_kernel _ZN7rocprim17ROCPRIM_400000_NS6detail17trampoline_kernelINS0_14default_configENS1_32segmented_reduce_config_selectorIfEEZNS1_21segmented_reduce_implIS3_PKfPfPKlfN6hipcub16HIPCUB_304000_NS6detail27convert_result_type_wrapperIS8_S9_N2at6native12_GLOBAL__N_19CustomMinEEEEE10hipError_tPvRmT0_T1_jT2_SQ_T4_T3_P12ihipStream_tbEUlT_E_NS1_11comp_targetILNS1_3genE2ELNS1_11target_archE906ELNS1_3gpuE6ELNS1_3repE0EEENS1_30default_config_static_selectorELNS0_4arch9wavefront6targetE0EEEvSP_
		.amdhsa_group_segment_fixed_size 0
		.amdhsa_private_segment_fixed_size 0
		.amdhsa_kernarg_size 48
		.amdhsa_user_sgpr_count 15
		.amdhsa_user_sgpr_dispatch_ptr 0
		.amdhsa_user_sgpr_queue_ptr 0
		.amdhsa_user_sgpr_kernarg_segment_ptr 1
		.amdhsa_user_sgpr_dispatch_id 0
		.amdhsa_user_sgpr_private_segment_size 0
		.amdhsa_wavefront_size32 1
		.amdhsa_uses_dynamic_stack 0
		.amdhsa_enable_private_segment 0
		.amdhsa_system_sgpr_workgroup_id_x 1
		.amdhsa_system_sgpr_workgroup_id_y 0
		.amdhsa_system_sgpr_workgroup_id_z 0
		.amdhsa_system_sgpr_workgroup_info 0
		.amdhsa_system_vgpr_workitem_id 0
		.amdhsa_next_free_vgpr 1
		.amdhsa_next_free_sgpr 1
		.amdhsa_reserve_vcc 0
		.amdhsa_float_round_mode_32 0
		.amdhsa_float_round_mode_16_64 0
		.amdhsa_float_denorm_mode_32 3
		.amdhsa_float_denorm_mode_16_64 3
		.amdhsa_dx10_clamp 1
		.amdhsa_ieee_mode 1
		.amdhsa_fp16_overflow 0
		.amdhsa_workgroup_processor_mode 1
		.amdhsa_memory_ordered 1
		.amdhsa_forward_progress 0
		.amdhsa_shared_vgpr_count 0
		.amdhsa_exception_fp_ieee_invalid_op 0
		.amdhsa_exception_fp_denorm_src 0
		.amdhsa_exception_fp_ieee_div_zero 0
		.amdhsa_exception_fp_ieee_overflow 0
		.amdhsa_exception_fp_ieee_underflow 0
		.amdhsa_exception_fp_ieee_inexact 0
		.amdhsa_exception_int_div_zero 0
	.end_amdhsa_kernel
	.section	.text._ZN7rocprim17ROCPRIM_400000_NS6detail17trampoline_kernelINS0_14default_configENS1_32segmented_reduce_config_selectorIfEEZNS1_21segmented_reduce_implIS3_PKfPfPKlfN6hipcub16HIPCUB_304000_NS6detail27convert_result_type_wrapperIS8_S9_N2at6native12_GLOBAL__N_19CustomMinEEEEE10hipError_tPvRmT0_T1_jT2_SQ_T4_T3_P12ihipStream_tbEUlT_E_NS1_11comp_targetILNS1_3genE2ELNS1_11target_archE906ELNS1_3gpuE6ELNS1_3repE0EEENS1_30default_config_static_selectorELNS0_4arch9wavefront6targetE0EEEvSP_,"axG",@progbits,_ZN7rocprim17ROCPRIM_400000_NS6detail17trampoline_kernelINS0_14default_configENS1_32segmented_reduce_config_selectorIfEEZNS1_21segmented_reduce_implIS3_PKfPfPKlfN6hipcub16HIPCUB_304000_NS6detail27convert_result_type_wrapperIS8_S9_N2at6native12_GLOBAL__N_19CustomMinEEEEE10hipError_tPvRmT0_T1_jT2_SQ_T4_T3_P12ihipStream_tbEUlT_E_NS1_11comp_targetILNS1_3genE2ELNS1_11target_archE906ELNS1_3gpuE6ELNS1_3repE0EEENS1_30default_config_static_selectorELNS0_4arch9wavefront6targetE0EEEvSP_,comdat
.Lfunc_end201:
	.size	_ZN7rocprim17ROCPRIM_400000_NS6detail17trampoline_kernelINS0_14default_configENS1_32segmented_reduce_config_selectorIfEEZNS1_21segmented_reduce_implIS3_PKfPfPKlfN6hipcub16HIPCUB_304000_NS6detail27convert_result_type_wrapperIS8_S9_N2at6native12_GLOBAL__N_19CustomMinEEEEE10hipError_tPvRmT0_T1_jT2_SQ_T4_T3_P12ihipStream_tbEUlT_E_NS1_11comp_targetILNS1_3genE2ELNS1_11target_archE906ELNS1_3gpuE6ELNS1_3repE0EEENS1_30default_config_static_selectorELNS0_4arch9wavefront6targetE0EEEvSP_, .Lfunc_end201-_ZN7rocprim17ROCPRIM_400000_NS6detail17trampoline_kernelINS0_14default_configENS1_32segmented_reduce_config_selectorIfEEZNS1_21segmented_reduce_implIS3_PKfPfPKlfN6hipcub16HIPCUB_304000_NS6detail27convert_result_type_wrapperIS8_S9_N2at6native12_GLOBAL__N_19CustomMinEEEEE10hipError_tPvRmT0_T1_jT2_SQ_T4_T3_P12ihipStream_tbEUlT_E_NS1_11comp_targetILNS1_3genE2ELNS1_11target_archE906ELNS1_3gpuE6ELNS1_3repE0EEENS1_30default_config_static_selectorELNS0_4arch9wavefront6targetE0EEEvSP_
                                        ; -- End function
	.section	.AMDGPU.csdata,"",@progbits
; Kernel info:
; codeLenInByte = 0
; NumSgprs: 0
; NumVgprs: 0
; ScratchSize: 0
; MemoryBound: 0
; FloatMode: 240
; IeeeMode: 1
; LDSByteSize: 0 bytes/workgroup (compile time only)
; SGPRBlocks: 0
; VGPRBlocks: 0
; NumSGPRsForWavesPerEU: 1
; NumVGPRsForWavesPerEU: 1
; Occupancy: 16
; WaveLimiterHint : 0
; COMPUTE_PGM_RSRC2:SCRATCH_EN: 0
; COMPUTE_PGM_RSRC2:USER_SGPR: 15
; COMPUTE_PGM_RSRC2:TRAP_HANDLER: 0
; COMPUTE_PGM_RSRC2:TGID_X_EN: 1
; COMPUTE_PGM_RSRC2:TGID_Y_EN: 0
; COMPUTE_PGM_RSRC2:TGID_Z_EN: 0
; COMPUTE_PGM_RSRC2:TIDIG_COMP_CNT: 0
	.section	.text._ZN7rocprim17ROCPRIM_400000_NS6detail17trampoline_kernelINS0_14default_configENS1_32segmented_reduce_config_selectorIfEEZNS1_21segmented_reduce_implIS3_PKfPfPKlfN6hipcub16HIPCUB_304000_NS6detail27convert_result_type_wrapperIS8_S9_N2at6native12_GLOBAL__N_19CustomMinEEEEE10hipError_tPvRmT0_T1_jT2_SQ_T4_T3_P12ihipStream_tbEUlT_E_NS1_11comp_targetILNS1_3genE9ELNS1_11target_archE1100ELNS1_3gpuE3ELNS1_3repE0EEENS1_30default_config_static_selectorELNS0_4arch9wavefront6targetE0EEEvSP_,"axG",@progbits,_ZN7rocprim17ROCPRIM_400000_NS6detail17trampoline_kernelINS0_14default_configENS1_32segmented_reduce_config_selectorIfEEZNS1_21segmented_reduce_implIS3_PKfPfPKlfN6hipcub16HIPCUB_304000_NS6detail27convert_result_type_wrapperIS8_S9_N2at6native12_GLOBAL__N_19CustomMinEEEEE10hipError_tPvRmT0_T1_jT2_SQ_T4_T3_P12ihipStream_tbEUlT_E_NS1_11comp_targetILNS1_3genE9ELNS1_11target_archE1100ELNS1_3gpuE3ELNS1_3repE0EEENS1_30default_config_static_selectorELNS0_4arch9wavefront6targetE0EEEvSP_,comdat
	.globl	_ZN7rocprim17ROCPRIM_400000_NS6detail17trampoline_kernelINS0_14default_configENS1_32segmented_reduce_config_selectorIfEEZNS1_21segmented_reduce_implIS3_PKfPfPKlfN6hipcub16HIPCUB_304000_NS6detail27convert_result_type_wrapperIS8_S9_N2at6native12_GLOBAL__N_19CustomMinEEEEE10hipError_tPvRmT0_T1_jT2_SQ_T4_T3_P12ihipStream_tbEUlT_E_NS1_11comp_targetILNS1_3genE9ELNS1_11target_archE1100ELNS1_3gpuE3ELNS1_3repE0EEENS1_30default_config_static_selectorELNS0_4arch9wavefront6targetE0EEEvSP_ ; -- Begin function _ZN7rocprim17ROCPRIM_400000_NS6detail17trampoline_kernelINS0_14default_configENS1_32segmented_reduce_config_selectorIfEEZNS1_21segmented_reduce_implIS3_PKfPfPKlfN6hipcub16HIPCUB_304000_NS6detail27convert_result_type_wrapperIS8_S9_N2at6native12_GLOBAL__N_19CustomMinEEEEE10hipError_tPvRmT0_T1_jT2_SQ_T4_T3_P12ihipStream_tbEUlT_E_NS1_11comp_targetILNS1_3genE9ELNS1_11target_archE1100ELNS1_3gpuE3ELNS1_3repE0EEENS1_30default_config_static_selectorELNS0_4arch9wavefront6targetE0EEEvSP_
	.p2align	8
	.type	_ZN7rocprim17ROCPRIM_400000_NS6detail17trampoline_kernelINS0_14default_configENS1_32segmented_reduce_config_selectorIfEEZNS1_21segmented_reduce_implIS3_PKfPfPKlfN6hipcub16HIPCUB_304000_NS6detail27convert_result_type_wrapperIS8_S9_N2at6native12_GLOBAL__N_19CustomMinEEEEE10hipError_tPvRmT0_T1_jT2_SQ_T4_T3_P12ihipStream_tbEUlT_E_NS1_11comp_targetILNS1_3genE9ELNS1_11target_archE1100ELNS1_3gpuE3ELNS1_3repE0EEENS1_30default_config_static_selectorELNS0_4arch9wavefront6targetE0EEEvSP_,@function
_ZN7rocprim17ROCPRIM_400000_NS6detail17trampoline_kernelINS0_14default_configENS1_32segmented_reduce_config_selectorIfEEZNS1_21segmented_reduce_implIS3_PKfPfPKlfN6hipcub16HIPCUB_304000_NS6detail27convert_result_type_wrapperIS8_S9_N2at6native12_GLOBAL__N_19CustomMinEEEEE10hipError_tPvRmT0_T1_jT2_SQ_T4_T3_P12ihipStream_tbEUlT_E_NS1_11comp_targetILNS1_3genE9ELNS1_11target_archE1100ELNS1_3gpuE3ELNS1_3repE0EEENS1_30default_config_static_selectorELNS0_4arch9wavefront6targetE0EEEvSP_: ; @_ZN7rocprim17ROCPRIM_400000_NS6detail17trampoline_kernelINS0_14default_configENS1_32segmented_reduce_config_selectorIfEEZNS1_21segmented_reduce_implIS3_PKfPfPKlfN6hipcub16HIPCUB_304000_NS6detail27convert_result_type_wrapperIS8_S9_N2at6native12_GLOBAL__N_19CustomMinEEEEE10hipError_tPvRmT0_T1_jT2_SQ_T4_T3_P12ihipStream_tbEUlT_E_NS1_11comp_targetILNS1_3genE9ELNS1_11target_archE1100ELNS1_3gpuE3ELNS1_3repE0EEENS1_30default_config_static_selectorELNS0_4arch9wavefront6targetE0EEEvSP_
; %bb.0:
	s_clause 0x1
	s_load_b256 s[4:11], s[0:1], 0x0
	s_load_b64 s[12:13], s[0:1], 0x20
	s_mov_b32 s2, s15
	s_mov_b32 s3, 0
	s_load_b32 s16, s[0:1], 0x2c
	s_waitcnt lgkmcnt(0)
	s_lshl_b64 s[14:15], s[8:9], 3
	s_delay_alu instid0(SALU_CYCLE_1) | instskip(SKIP_4) | instid1(SALU_CYCLE_1)
	s_add_u32 s10, s10, s14
	s_addc_u32 s11, s11, s15
	s_add_u32 s12, s12, s14
	s_addc_u32 s13, s13, s15
	s_lshl_b64 s[0:1], s[2:3], 3
	s_add_u32 s10, s10, s0
	s_addc_u32 s11, s11, s1
	s_add_u32 s0, s12, s0
	s_addc_u32 s1, s13, s1
	s_load_b64 s[12:13], s[10:11], 0x0
	s_load_b64 s[10:11], s[0:1], 0x0
	s_waitcnt lgkmcnt(0)
	v_cmp_gt_i64_e64 s0, s[10:11], s[12:13]
	s_delay_alu instid0(VALU_DEP_1)
	s_and_b32 vcc_lo, exec_lo, s0
	v_cmp_eq_u32_e64 s0, 0, v0
	s_cbranch_vccnz .LBB202_3
; %bb.1:
	s_delay_alu instid0(VALU_DEP_1)
	s_and_b32 s17, s0, exec_lo
	s_cbranch_execz .LBB202_4
; %bb.2:
	v_mov_b32_e32 v1, s16
	s_and_saveexec_b32 s0, s17
	s_cbranch_execnz .LBB202_373
	s_branch .LBB202_374
.LBB202_3:
	s_mov_b32 s17, s3
.LBB202_4:
	s_add_u32 s0, s12, 0x1000
	s_addc_u32 s1, s13, 0
	s_delay_alu instid0(SALU_CYCLE_1) | instskip(NEXT) | instid1(VALU_DEP_1)
	v_cmp_le_i64_e64 s14, s[0:1], s[10:11]
	s_and_b32 vcc_lo, exec_lo, s14
	s_cbranch_vccz .LBB202_133
; %bb.5:
	v_lshlrev_b32_e32 v20, 2, v0
	s_lshl_b64 s[14:15], s[12:13], 2
	s_delay_alu instid0(SALU_CYCLE_1) | instskip(SKIP_1) | instid1(VALU_DEP_1)
	s_add_u32 s18, s4, s14
	s_addc_u32 s19, s5, s15
	v_add_co_u32 v5, s20, s18, v20
	s_delay_alu instid0(VALU_DEP_1) | instskip(NEXT) | instid1(VALU_DEP_2)
	v_add_co_ci_u32_e64 v6, null, s19, 0, s20
	v_add_co_u32 v1, vcc_lo, 0x1000, v5
	s_delay_alu instid0(VALU_DEP_2)
	v_add_co_ci_u32_e32 v2, vcc_lo, 0, v6, vcc_lo
	v_add_co_u32 v21, vcc_lo, v5, 0x2000
	v_add_co_ci_u32_e32 v22, vcc_lo, 0, v6, vcc_lo
	v_add_co_u32 v3, vcc_lo, 0x2000, v5
	v_add_co_ci_u32_e32 v4, vcc_lo, 0, v6, vcc_lo
	global_load_b32 v11, v[21:22], off
	v_add_co_u32 v23, vcc_lo, 0x3000, v5
	v_add_co_ci_u32_e32 v24, vcc_lo, 0, v6, vcc_lo
	s_clause 0xe
	global_load_b32 v19, v20, s[18:19]
	global_load_b32 v18, v20, s[18:19] offset:1024
	global_load_b32 v17, v20, s[18:19] offset:2048
	;; [unrolled: 1-line block ×3, first 2 shown]
	global_load_b32 v14, v[1:2], off offset:1024
	global_load_b32 v13, v[1:2], off offset:2048
	;; [unrolled: 1-line block ×6, first 2 shown]
	global_load_b32 v6, v[23:24], off
	global_load_b32 v5, v[23:24], off offset:1024
	global_load_b32 v4, v[23:24], off offset:2048
	global_load_b32 v16, v[21:22], off offset:-4096
	global_load_b32 v3, v[23:24], off offset:3072
	s_mov_b32 s18, exec_lo
	s_waitcnt vmcnt(14)
	v_mov_b32_e32 v9, v19
	v_cmpx_o_f32_e32 v19, v19
	s_cbranch_execz .LBB202_9
; %bb.6:
	s_waitcnt vmcnt(13)
	v_mov_b32_e32 v9, v18
	s_mov_b32 s19, exec_lo
	v_cmpx_o_f32_e32 v18, v18
; %bb.7:
	v_cmp_lt_f32_e32 vcc_lo, v18, v19
	v_cndmask_b32_e32 v9, v19, v18, vcc_lo
; %bb.8:
	s_or_b32 exec_lo, exec_lo, s19
.LBB202_9:
	s_delay_alu instid0(SALU_CYCLE_1) | instskip(NEXT) | instid1(SALU_CYCLE_1)
	s_or_b32 exec_lo, exec_lo, s18
	s_mov_b32 s18, exec_lo
	s_delay_alu instid0(VALU_DEP_1)
	v_cmpx_o_f32_e32 v9, v9
	s_cbranch_execz .LBB202_13
; %bb.10:
	s_waitcnt vmcnt(12)
	v_mov_b32_e32 v1, v17
	s_mov_b32 s19, exec_lo
	v_cmpx_o_f32_e32 v17, v17
; %bb.11:
	v_cmp_lt_f32_e32 vcc_lo, v17, v9
	v_cndmask_b32_e32 v1, v9, v17, vcc_lo
; %bb.12:
	s_or_b32 exec_lo, exec_lo, s19
	s_delay_alu instid0(VALU_DEP_1)
	v_mov_b32_e32 v9, v1
.LBB202_13:
	s_or_b32 exec_lo, exec_lo, s18
	s_delay_alu instid0(SALU_CYCLE_1) | instskip(NEXT) | instid1(VALU_DEP_1)
	s_mov_b32 s18, exec_lo
	v_cmpx_o_f32_e32 v9, v9
	s_cbranch_execz .LBB202_17
; %bb.14:
	s_waitcnt vmcnt(11)
	v_mov_b32_e32 v1, v15
	s_mov_b32 s19, exec_lo
	v_cmpx_o_f32_e32 v15, v15
; %bb.15:
	v_cmp_lt_f32_e32 vcc_lo, v15, v9
	v_cndmask_b32_e32 v1, v9, v15, vcc_lo
; %bb.16:
	s_or_b32 exec_lo, exec_lo, s19
	s_delay_alu instid0(VALU_DEP_1)
	v_mov_b32_e32 v9, v1
.LBB202_17:
	s_or_b32 exec_lo, exec_lo, s18
	s_delay_alu instid0(SALU_CYCLE_1) | instskip(NEXT) | instid1(VALU_DEP_1)
	s_mov_b32 s18, exec_lo
	;; [unrolled: 18-line block ×6, first 2 shown]
	v_cmpx_o_f32_e32 v9, v9
	s_cbranch_execz .LBB202_37
; %bb.34:
	v_mov_b32_e32 v1, v11
	s_mov_b32 s19, exec_lo
	v_cmpx_o_f32_e32 v11, v11
; %bb.35:
	v_cmp_lt_f32_e32 vcc_lo, v11, v9
	v_cndmask_b32_e32 v1, v9, v11, vcc_lo
; %bb.36:
	s_or_b32 exec_lo, exec_lo, s19
	s_delay_alu instid0(VALU_DEP_1)
	v_mov_b32_e32 v9, v1
.LBB202_37:
	s_or_b32 exec_lo, exec_lo, s18
	s_delay_alu instid0(SALU_CYCLE_1) | instskip(NEXT) | instid1(VALU_DEP_1)
	s_mov_b32 s18, exec_lo
	v_cmpx_o_f32_e32 v9, v9
	s_cbranch_execz .LBB202_41
; %bb.38:
	s_waitcnt vmcnt(7)
	v_mov_b32_e32 v1, v10
	s_mov_b32 s19, exec_lo
	v_cmpx_o_f32_e32 v10, v10
; %bb.39:
	v_cmp_lt_f32_e32 vcc_lo, v10, v9
	v_cndmask_b32_e32 v1, v9, v10, vcc_lo
; %bb.40:
	s_or_b32 exec_lo, exec_lo, s19
	s_delay_alu instid0(VALU_DEP_1)
	v_mov_b32_e32 v9, v1
.LBB202_41:
	s_or_b32 exec_lo, exec_lo, s18
	s_delay_alu instid0(SALU_CYCLE_1) | instskip(NEXT) | instid1(VALU_DEP_1)
	s_mov_b32 s18, exec_lo
	v_cmpx_o_f32_e32 v9, v9
	s_cbranch_execz .LBB202_45
; %bb.42:
	s_waitcnt vmcnt(6)
	v_mov_b32_e32 v1, v8
	s_mov_b32 s19, exec_lo
	v_cmpx_o_f32_e32 v8, v8
; %bb.43:
	v_cmp_lt_f32_e32 vcc_lo, v8, v9
	v_cndmask_b32_e32 v1, v9, v8, vcc_lo
; %bb.44:
	s_or_b32 exec_lo, exec_lo, s19
	s_delay_alu instid0(VALU_DEP_1)
	v_mov_b32_e32 v9, v1
.LBB202_45:
	s_or_b32 exec_lo, exec_lo, s18
	s_delay_alu instid0(SALU_CYCLE_1) | instskip(NEXT) | instid1(VALU_DEP_1)
	s_mov_b32 s18, exec_lo
	v_cmpx_o_f32_e32 v9, v9
	s_cbranch_execz .LBB202_49
; %bb.46:
	s_waitcnt vmcnt(5)
	v_mov_b32_e32 v1, v7
	s_mov_b32 s19, exec_lo
	v_cmpx_o_f32_e32 v7, v7
; %bb.47:
	v_cmp_lt_f32_e32 vcc_lo, v7, v9
	v_cndmask_b32_e32 v1, v9, v7, vcc_lo
; %bb.48:
	s_or_b32 exec_lo, exec_lo, s19
	s_delay_alu instid0(VALU_DEP_1)
	v_mov_b32_e32 v9, v1
.LBB202_49:
	s_or_b32 exec_lo, exec_lo, s18
	s_delay_alu instid0(SALU_CYCLE_1) | instskip(NEXT) | instid1(VALU_DEP_1)
	s_mov_b32 s18, exec_lo
	v_cmpx_o_f32_e32 v9, v9
	s_cbranch_execz .LBB202_53
; %bb.50:
	s_waitcnt vmcnt(4)
	v_mov_b32_e32 v1, v6
	s_mov_b32 s19, exec_lo
	v_cmpx_o_f32_e32 v6, v6
; %bb.51:
	v_cmp_lt_f32_e32 vcc_lo, v6, v9
	v_cndmask_b32_e32 v1, v9, v6, vcc_lo
; %bb.52:
	s_or_b32 exec_lo, exec_lo, s19
	s_delay_alu instid0(VALU_DEP_1)
	v_mov_b32_e32 v9, v1
.LBB202_53:
	s_or_b32 exec_lo, exec_lo, s18
	s_delay_alu instid0(SALU_CYCLE_1) | instskip(NEXT) | instid1(VALU_DEP_1)
	s_mov_b32 s18, exec_lo
	v_cmpx_o_f32_e32 v9, v9
	s_cbranch_execz .LBB202_57
; %bb.54:
	s_waitcnt vmcnt(3)
	v_mov_b32_e32 v1, v5
	s_mov_b32 s19, exec_lo
	v_cmpx_o_f32_e32 v5, v5
; %bb.55:
	v_cmp_lt_f32_e32 vcc_lo, v5, v9
	v_cndmask_b32_e32 v1, v9, v5, vcc_lo
; %bb.56:
	s_or_b32 exec_lo, exec_lo, s19
	s_delay_alu instid0(VALU_DEP_1)
	v_mov_b32_e32 v9, v1
.LBB202_57:
	s_or_b32 exec_lo, exec_lo, s18
	s_delay_alu instid0(SALU_CYCLE_1) | instskip(NEXT) | instid1(VALU_DEP_1)
	s_mov_b32 s18, exec_lo
	v_cmpx_o_f32_e32 v9, v9
	s_cbranch_execz .LBB202_61
; %bb.58:
	s_waitcnt vmcnt(2)
	v_mov_b32_e32 v1, v4
	s_mov_b32 s19, exec_lo
	v_cmpx_o_f32_e32 v4, v4
; %bb.59:
	v_cmp_lt_f32_e32 vcc_lo, v4, v9
	v_cndmask_b32_e32 v1, v9, v4, vcc_lo
; %bb.60:
	s_or_b32 exec_lo, exec_lo, s19
	s_delay_alu instid0(VALU_DEP_1)
	v_mov_b32_e32 v9, v1
.LBB202_61:
	s_or_b32 exec_lo, exec_lo, s18
	s_delay_alu instid0(SALU_CYCLE_1) | instskip(NEXT) | instid1(VALU_DEP_1)
	s_mov_b32 s18, exec_lo
	v_cmpx_o_f32_e32 v9, v9
	s_cbranch_execz .LBB202_65
; %bb.62:
	s_waitcnt vmcnt(0)
	v_mov_b32_e32 v1, v3
	s_mov_b32 s19, exec_lo
	v_cmpx_o_f32_e32 v3, v3
; %bb.63:
	v_cmp_lt_f32_e32 vcc_lo, v3, v9
	v_cndmask_b32_e32 v1, v9, v3, vcc_lo
; %bb.64:
	s_or_b32 exec_lo, exec_lo, s19
	s_delay_alu instid0(VALU_DEP_1)
	v_mov_b32_e32 v9, v1
.LBB202_65:
	s_or_b32 exec_lo, exec_lo, s18
	s_add_u32 s18, s12, 0x2000
	s_addc_u32 s19, s13, 0
	s_delay_alu instid0(SALU_CYCLE_1) | instskip(NEXT) | instid1(VALU_DEP_1)
	v_cmp_ge_i64_e64 s18, s[18:19], s[10:11]
	s_and_b32 vcc_lo, exec_lo, s18
	s_cbranch_vccnz .LBB202_134
; %bb.66:
	s_add_u32 s14, s4, s14
	s_addc_u32 s15, s5, s15
	v_add_co_u32 v1, s14, s14, v20
	s_delay_alu instid0(VALU_DEP_1) | instskip(NEXT) | instid1(VALU_DEP_2)
	v_add_co_ci_u32_e64 v2, null, s15, 0, s14
	v_add_co_u32 v1, vcc_lo, 0x4000, v1
	s_delay_alu instid0(VALU_DEP_2)
	v_add_co_ci_u32_e32 v2, vcc_lo, 0, v2, vcc_lo
.LBB202_67:                             ; =>This Inner Loop Header: Depth=1
	s_waitcnt vmcnt(0)
	s_delay_alu instid0(VALU_DEP_2) | instskip(NEXT) | instid1(VALU_DEP_2)
	v_add_co_u32 v3, vcc_lo, 0x1000, v1
	v_add_co_ci_u32_e32 v4, vcc_lo, 0, v2, vcc_lo
	v_add_co_u32 v21, vcc_lo, v1, 0x2000
	v_add_co_ci_u32_e32 v22, vcc_lo, 0, v2, vcc_lo
	;; [unrolled: 2-line block ×3, first 2 shown]
	v_add_co_u32 v23, vcc_lo, 0x3000, v1
	s_clause 0x4
	global_load_b32 v18, v[1:2], off offset:1024
	global_load_b32 v17, v[1:2], off offset:2048
	;; [unrolled: 1-line block ×3, first 2 shown]
	global_load_b32 v19, v[1:2], off
	global_load_b32 v11, v[21:22], off
	v_add_co_ci_u32_e32 v24, vcc_lo, 0, v2, vcc_lo
	s_clause 0xa
	global_load_b32 v14, v[3:4], off offset:1024
	global_load_b32 v13, v[3:4], off offset:2048
	;; [unrolled: 1-line block ×6, first 2 shown]
	global_load_b32 v6, v[23:24], off
	global_load_b32 v5, v[23:24], off offset:1024
	global_load_b32 v4, v[23:24], off offset:2048
	global_load_b32 v16, v[21:22], off offset:-4096
	global_load_b32 v3, v[23:24], off offset:3072
	s_mov_b32 s14, exec_lo
	v_cmpx_o_f32_e32 v9, v9
	s_cbranch_execz .LBB202_71
; %bb.68:                               ;   in Loop: Header=BB202_67 Depth=1
	s_waitcnt vmcnt(12)
	v_mov_b32_e32 v21, v19
	s_mov_b32 s15, exec_lo
	v_cmpx_o_f32_e32 v19, v19
; %bb.69:                               ;   in Loop: Header=BB202_67 Depth=1
	v_cmp_lt_f32_e32 vcc_lo, v19, v9
	v_cndmask_b32_e32 v21, v9, v19, vcc_lo
; %bb.70:                               ;   in Loop: Header=BB202_67 Depth=1
	s_or_b32 exec_lo, exec_lo, s15
	s_delay_alu instid0(VALU_DEP_1)
	v_mov_b32_e32 v9, v21
.LBB202_71:                             ;   in Loop: Header=BB202_67 Depth=1
	s_or_b32 exec_lo, exec_lo, s14
	s_delay_alu instid0(SALU_CYCLE_1) | instskip(NEXT) | instid1(VALU_DEP_1)
	s_mov_b32 s14, exec_lo
	v_cmpx_o_f32_e32 v9, v9
	s_cbranch_execz .LBB202_75
; %bb.72:                               ;   in Loop: Header=BB202_67 Depth=1
	s_waitcnt vmcnt(15)
	v_mov_b32_e32 v21, v18
	s_mov_b32 s15, exec_lo
	v_cmpx_o_f32_e32 v18, v18
; %bb.73:                               ;   in Loop: Header=BB202_67 Depth=1
	v_cmp_lt_f32_e32 vcc_lo, v18, v9
	v_cndmask_b32_e32 v21, v9, v18, vcc_lo
; %bb.74:                               ;   in Loop: Header=BB202_67 Depth=1
	s_or_b32 exec_lo, exec_lo, s15
	s_delay_alu instid0(VALU_DEP_1)
	v_mov_b32_e32 v9, v21
.LBB202_75:                             ;   in Loop: Header=BB202_67 Depth=1
	s_or_b32 exec_lo, exec_lo, s14
	s_delay_alu instid0(SALU_CYCLE_1) | instskip(NEXT) | instid1(VALU_DEP_1)
	;; [unrolled: 18-line block ×8, first 2 shown]
	s_mov_b32 s14, exec_lo
	v_cmpx_o_f32_e32 v9, v9
	s_cbranch_execz .LBB202_103
; %bb.100:                              ;   in Loop: Header=BB202_67 Depth=1
	s_waitcnt vmcnt(11)
	v_mov_b32_e32 v21, v11
	s_mov_b32 s15, exec_lo
	v_cmpx_o_f32_e32 v11, v11
; %bb.101:                              ;   in Loop: Header=BB202_67 Depth=1
	v_cmp_lt_f32_e32 vcc_lo, v11, v9
	v_cndmask_b32_e32 v21, v9, v11, vcc_lo
; %bb.102:                              ;   in Loop: Header=BB202_67 Depth=1
	s_or_b32 exec_lo, exec_lo, s15
	s_delay_alu instid0(VALU_DEP_1)
	v_mov_b32_e32 v9, v21
.LBB202_103:                            ;   in Loop: Header=BB202_67 Depth=1
	s_or_b32 exec_lo, exec_lo, s14
	s_delay_alu instid0(SALU_CYCLE_1) | instskip(NEXT) | instid1(VALU_DEP_1)
	s_mov_b32 s14, exec_lo
	v_cmpx_o_f32_e32 v9, v9
	s_cbranch_execz .LBB202_107
; %bb.104:                              ;   in Loop: Header=BB202_67 Depth=1
	s_waitcnt vmcnt(7)
	v_mov_b32_e32 v21, v10
	s_mov_b32 s15, exec_lo
	v_cmpx_o_f32_e32 v10, v10
; %bb.105:                              ;   in Loop: Header=BB202_67 Depth=1
	v_cmp_lt_f32_e32 vcc_lo, v10, v9
	v_cndmask_b32_e32 v21, v9, v10, vcc_lo
; %bb.106:                              ;   in Loop: Header=BB202_67 Depth=1
	s_or_b32 exec_lo, exec_lo, s15
	s_delay_alu instid0(VALU_DEP_1)
	v_mov_b32_e32 v9, v21
.LBB202_107:                            ;   in Loop: Header=BB202_67 Depth=1
	s_or_b32 exec_lo, exec_lo, s14
	s_delay_alu instid0(SALU_CYCLE_1) | instskip(NEXT) | instid1(VALU_DEP_1)
	;; [unrolled: 18-line block ×7, first 2 shown]
	s_mov_b32 s14, exec_lo
	v_cmpx_o_f32_e32 v9, v9
	s_cbranch_execz .LBB202_131
; %bb.128:                              ;   in Loop: Header=BB202_67 Depth=1
	s_waitcnt vmcnt(0)
	v_mov_b32_e32 v21, v3
	s_mov_b32 s15, exec_lo
	v_cmpx_o_f32_e32 v3, v3
; %bb.129:                              ;   in Loop: Header=BB202_67 Depth=1
	v_cmp_lt_f32_e32 vcc_lo, v3, v9
	v_cndmask_b32_e32 v21, v9, v3, vcc_lo
; %bb.130:                              ;   in Loop: Header=BB202_67 Depth=1
	s_or_b32 exec_lo, exec_lo, s15
	s_delay_alu instid0(VALU_DEP_1)
	v_mov_b32_e32 v9, v21
.LBB202_131:                            ;   in Loop: Header=BB202_67 Depth=1
	s_or_b32 exec_lo, exec_lo, s14
	s_add_u32 s14, s0, 0x1000
	s_addc_u32 s15, s1, 0
	s_add_u32 s0, s0, 0x2000
	s_addc_u32 s1, s1, 0
	v_add_co_u32 v1, vcc_lo, 0x4000, v1
	v_cmp_lt_i64_e64 s0, s[0:1], s[10:11]
	v_add_co_ci_u32_e32 v2, vcc_lo, 0, v2, vcc_lo
	s_delay_alu instid0(VALU_DEP_2)
	s_and_b32 vcc_lo, exec_lo, s0
	s_cbranch_vccz .LBB202_135
; %bb.132:                              ;   in Loop: Header=BB202_67 Depth=1
	s_mov_b64 s[0:1], s[14:15]
	s_branch .LBB202_67
.LBB202_133:
                                        ; implicit-def: $vgpr2
	s_cbranch_execnz .LBB202_268
	s_branch .LBB202_366
.LBB202_134:
	s_mov_b64 s[14:15], s[0:1]
.LBB202_135:
	s_delay_alu instid0(SALU_CYCLE_1)
	s_lshl_b64 s[0:1], s[14:15], 2
	s_sub_i32 s18, s10, s14
	s_add_u32 s0, s4, s0
	s_addc_u32 s1, s5, s1
	s_mov_b32 s14, exec_lo
	v_cmpx_gt_u32_e64 s18, v0
	s_cbranch_execz .LBB202_137
; %bb.136:
	global_load_b32 v19, v20, s[0:1]
.LBB202_137:
	s_or_b32 exec_lo, exec_lo, s14
	v_or_b32_e32 v32, 0x100, v0
	s_mov_b32 s14, exec_lo
	s_delay_alu instid0(VALU_DEP_1)
	v_cmpx_gt_u32_e64 s18, v32
	s_cbranch_execz .LBB202_139
; %bb.138:
	global_load_b32 v18, v20, s[0:1] offset:1024
.LBB202_139:
	s_or_b32 exec_lo, exec_lo, s14
	v_or_b32_e32 v31, 0x200, v0
	s_mov_b32 s14, exec_lo
	s_delay_alu instid0(VALU_DEP_1)
	v_cmpx_gt_u32_e64 s18, v31
	s_cbranch_execz .LBB202_141
; %bb.140:
	global_load_b32 v17, v20, s[0:1] offset:2048
.LBB202_141:
	;; [unrolled: 9-line block ×3, first 2 shown]
	s_or_b32 exec_lo, exec_lo, s14
	v_or_b32_e32 v29, 0x400, v0
	s_mov_b32 s14, exec_lo
	s_delay_alu instid0(VALU_DEP_1)
	v_cmpx_gt_u32_e64 s18, v29
	s_cbranch_execz .LBB202_145
; %bb.144:
	v_lshlrev_b32_e32 v1, 2, v29
	global_load_b32 v16, v1, s[0:1]
.LBB202_145:
	s_or_b32 exec_lo, exec_lo, s14
	v_or_b32_e32 v28, 0x500, v0
	s_mov_b32 s14, exec_lo
	s_delay_alu instid0(VALU_DEP_1)
	v_cmpx_gt_u32_e64 s18, v28
	s_cbranch_execz .LBB202_147
; %bb.146:
	v_lshlrev_b32_e32 v1, 2, v28
	global_load_b32 v14, v1, s[0:1]
.LBB202_147:
	;; [unrolled: 10-line block ×11, first 2 shown]
	s_or_b32 exec_lo, exec_lo, s14
	v_or_b32_e32 v1, 0xf00, v0
	s_mov_b32 s14, exec_lo
	s_delay_alu instid0(VALU_DEP_1)
	v_cmpx_gt_u32_e64 s18, v1
	s_cbranch_execz .LBB202_167
; %bb.166:
	s_waitcnt vmcnt(0)
	v_lshlrev_b32_e32 v3, 2, v1
	global_load_b32 v3, v3, s[0:1]
.LBB202_167:
	s_or_b32 exec_lo, exec_lo, s14
	v_cmp_gt_u32_e32 vcc_lo, s18, v0
	v_cmp_o_f32_e64 s0, v9, v9
	s_delay_alu instid0(VALU_DEP_1) | instskip(NEXT) | instid1(SALU_CYCLE_1)
	s_and_b32 s1, vcc_lo, s0
	s_and_saveexec_b32 s0, s1
	s_cbranch_execz .LBB202_171
; %bb.168:
	s_mov_b32 s1, exec_lo
	s_waitcnt vmcnt(0)
	v_cmpx_o_f32_e32 v19, v19
; %bb.169:
	v_cmp_lt_f32_e32 vcc_lo, v19, v9
	v_cndmask_b32_e32 v19, v9, v19, vcc_lo
; %bb.170:
	s_or_b32 exec_lo, exec_lo, s1
	s_delay_alu instid0(VALU_DEP_1)
	v_mov_b32_e32 v9, v19
.LBB202_171:
	s_or_b32 exec_lo, exec_lo, s0
	v_cmp_gt_u32_e32 vcc_lo, s18, v32
	s_delay_alu instid0(VALU_DEP_2) | instskip(NEXT) | instid1(VALU_DEP_1)
	v_cmp_o_f32_e64 s0, v9, v9
	s_and_b32 s1, vcc_lo, s0
	s_delay_alu instid0(SALU_CYCLE_1)
	s_and_saveexec_b32 s0, s1
	s_cbranch_execz .LBB202_175
; %bb.172:
	s_mov_b32 s1, exec_lo
	s_waitcnt vmcnt(0)
	v_cmpx_o_f32_e32 v18, v18
; %bb.173:
	v_cmp_lt_f32_e32 vcc_lo, v18, v9
	v_cndmask_b32_e32 v18, v9, v18, vcc_lo
; %bb.174:
	s_or_b32 exec_lo, exec_lo, s1
	s_delay_alu instid0(VALU_DEP_1)
	v_mov_b32_e32 v9, v18
.LBB202_175:
	s_or_b32 exec_lo, exec_lo, s0
	v_cmp_gt_u32_e32 vcc_lo, s18, v31
	s_delay_alu instid0(VALU_DEP_2) | instskip(NEXT) | instid1(VALU_DEP_1)
	v_cmp_o_f32_e64 s0, v9, v9
	s_and_b32 s1, vcc_lo, s0
	s_delay_alu instid0(SALU_CYCLE_1)
	;; [unrolled: 20-line block ×15, first 2 shown]
	s_and_saveexec_b32 s0, s1
	s_cbranch_execz .LBB202_231
; %bb.228:
	s_mov_b32 s1, exec_lo
	s_waitcnt vmcnt(0)
	v_cmpx_o_f32_e32 v3, v3
; %bb.229:
	v_cmp_lt_f32_e32 vcc_lo, v3, v9
	v_cndmask_b32_e32 v3, v9, v3, vcc_lo
; %bb.230:
	s_or_b32 exec_lo, exec_lo, s1
	s_delay_alu instid0(VALU_DEP_1)
	v_mov_b32_e32 v9, v3
.LBB202_231:
	s_or_b32 exec_lo, exec_lo, s0
	s_delay_alu instid0(VALU_DEP_1) | instskip(SKIP_1) | instid1(VALU_DEP_1)
	v_mov_b32_dpp v1, v9 quad_perm:[1,0,3,2] row_mask:0xf bank_mask:0xf
	s_mov_b32 s0, exec_lo
	v_cmpx_o_f32_e32 v1, v1
	s_xor_b32 s0, exec_lo, s0
	s_cbranch_execz .LBB202_235
; %bb.232:
	s_mov_b32 s1, exec_lo
	v_cmpx_o_f32_e32 v9, v9
; %bb.233:
	v_cmp_lt_f32_e32 vcc_lo, v9, v1
	v_cndmask_b32_e32 v9, v1, v9, vcc_lo
; %bb.234:
	s_or_b32 exec_lo, exec_lo, s1
	s_delay_alu instid0(VALU_DEP_1)
	v_mov_b32_e32 v1, v9
.LBB202_235:
	s_or_b32 exec_lo, exec_lo, s0
	s_delay_alu instid0(VALU_DEP_1) | instskip(SKIP_1) | instid1(VALU_DEP_1)
	v_mov_b32_dpp v2, v1 quad_perm:[2,3,0,1] row_mask:0xf bank_mask:0xf
	s_mov_b32 s0, exec_lo
	v_cmpx_o_f32_e32 v2, v2
	s_cbranch_execz .LBB202_239
; %bb.236:
	s_mov_b32 s1, exec_lo
	v_cmpx_o_f32_e32 v1, v1
; %bb.237:
	v_cmp_lt_f32_e32 vcc_lo, v1, v2
	v_cndmask_b32_e32 v1, v2, v1, vcc_lo
; %bb.238:
	s_or_b32 exec_lo, exec_lo, s1
	s_delay_alu instid0(VALU_DEP_1)
	v_mov_b32_e32 v2, v1
.LBB202_239:
	s_or_b32 exec_lo, exec_lo, s0
	s_delay_alu instid0(VALU_DEP_1) | instskip(SKIP_1) | instid1(VALU_DEP_1)
	v_mov_b32_dpp v1, v2 row_ror:4 row_mask:0xf bank_mask:0xf
	s_mov_b32 s0, exec_lo
	v_cmpx_o_f32_e32 v1, v1
	s_cbranch_execz .LBB202_243
; %bb.240:
	s_mov_b32 s1, exec_lo
	v_cmpx_o_f32_e32 v2, v2
; %bb.241:
	v_cmp_lt_f32_e32 vcc_lo, v2, v1
	v_cndmask_b32_e32 v2, v1, v2, vcc_lo
; %bb.242:
	s_or_b32 exec_lo, exec_lo, s1
	s_delay_alu instid0(VALU_DEP_1)
	v_mov_b32_e32 v1, v2
.LBB202_243:
	s_or_b32 exec_lo, exec_lo, s0
	s_delay_alu instid0(VALU_DEP_1) | instskip(SKIP_1) | instid1(VALU_DEP_1)
	v_mov_b32_dpp v2, v1 row_ror:8 row_mask:0xf bank_mask:0xf
	s_mov_b32 s0, exec_lo
	v_cmpx_o_f32_e32 v2, v2
	s_cbranch_execz .LBB202_247
; %bb.244:
	s_mov_b32 s1, exec_lo
	v_cmpx_o_f32_e32 v1, v1
; %bb.245:
	v_cmp_lt_f32_e32 vcc_lo, v1, v2
	v_cndmask_b32_e32 v1, v2, v1, vcc_lo
; %bb.246:
	s_or_b32 exec_lo, exec_lo, s1
	s_delay_alu instid0(VALU_DEP_1)
	v_mov_b32_e32 v2, v1
.LBB202_247:
	s_or_b32 exec_lo, exec_lo, s0
	ds_swizzle_b32 v1, v2 offset:swizzle(BROADCAST,32,15)
	s_mov_b32 s0, exec_lo
	s_waitcnt lgkmcnt(0)
	v_cmpx_o_f32_e32 v1, v1
	s_cbranch_execz .LBB202_251
; %bb.248:
	s_mov_b32 s1, exec_lo
	v_cmpx_o_f32_e32 v2, v2
; %bb.249:
	v_cmp_lt_f32_e32 vcc_lo, v2, v1
	v_cndmask_b32_e32 v2, v1, v2, vcc_lo
; %bb.250:
	s_or_b32 exec_lo, exec_lo, s1
	s_delay_alu instid0(VALU_DEP_1)
	v_mov_b32_e32 v1, v2
.LBB202_251:
	s_or_b32 exec_lo, exec_lo, s0
	v_mov_b32_e32 v2, 0
	s_mov_b32 s0, exec_lo
	ds_bpermute_b32 v2, v2, v1 offset:124
	v_mbcnt_lo_u32_b32 v1, -1, 0
	s_delay_alu instid0(VALU_DEP_1)
	v_cmpx_eq_u32_e32 0, v1
	s_cbranch_execz .LBB202_253
; %bb.252:
	s_waitcnt vmcnt(0)
	v_lshrrev_b32_e32 v3, 3, v0
	s_delay_alu instid0(VALU_DEP_1)
	v_and_b32_e32 v3, 28, v3
	s_waitcnt lgkmcnt(0)
	ds_store_b32 v3, v2
.LBB202_253:
	s_or_b32 exec_lo, exec_lo, s0
	s_delay_alu instid0(SALU_CYCLE_1)
	s_mov_b32 s0, exec_lo
	s_waitcnt vmcnt(0) lgkmcnt(0)
	s_barrier
	buffer_gl0_inv
	v_cmpx_gt_u32_e32 32, v0
	s_cbranch_execz .LBB202_267
; %bb.254:
	v_and_b32_e32 v3, 7, v1
	s_mov_b32 s1, exec_lo
	s_delay_alu instid0(VALU_DEP_1) | instskip(SKIP_3) | instid1(VALU_DEP_1)
	v_lshlrev_b32_e32 v2, 2, v3
	v_cmp_ne_u32_e32 vcc_lo, 7, v3
	ds_load_b32 v2, v2
	v_add_co_ci_u32_e32 v4, vcc_lo, 0, v1, vcc_lo
	v_lshlrev_b32_e32 v4, 2, v4
	s_waitcnt lgkmcnt(0)
	ds_bpermute_b32 v4, v4, v2
	v_cmpx_o_f32_e32 v2, v2
	s_cbranch_execz .LBB202_258
; %bb.255:
	s_mov_b32 s14, exec_lo
	s_waitcnt lgkmcnt(0)
	v_cmpx_o_f32_e32 v4, v4
; %bb.256:
	v_cmp_gt_f32_e32 vcc_lo, v2, v4
	v_cndmask_b32_e32 v4, v2, v4, vcc_lo
; %bb.257:
	s_or_b32 exec_lo, exec_lo, s14
	s_delay_alu instid0(VALU_DEP_1)
	v_mov_b32_e32 v2, v4
.LBB202_258:
	s_or_b32 exec_lo, exec_lo, s1
	v_cmp_gt_u32_e32 vcc_lo, 6, v3
	s_mov_b32 s1, exec_lo
	s_waitcnt lgkmcnt(0)
	v_cndmask_b32_e64 v4, 0, 1, vcc_lo
	s_delay_alu instid0(VALU_DEP_1) | instskip(NEXT) | instid1(VALU_DEP_1)
	v_lshlrev_b32_e32 v4, 1, v4
	v_add_lshl_u32 v4, v4, v1, 2
	ds_bpermute_b32 v4, v4, v2
	v_cmpx_o_f32_e32 v2, v2
	s_cbranch_execz .LBB202_262
; %bb.259:
	s_mov_b32 s14, exec_lo
	s_waitcnt lgkmcnt(0)
	v_cmpx_o_f32_e32 v4, v4
; %bb.260:
	v_cmp_gt_f32_e32 vcc_lo, v2, v4
	v_cndmask_b32_e32 v4, v2, v4, vcc_lo
; %bb.261:
	s_or_b32 exec_lo, exec_lo, s14
	s_delay_alu instid0(VALU_DEP_1)
	v_mov_b32_e32 v2, v4
.LBB202_262:
	s_or_b32 exec_lo, exec_lo, s1
	v_cmp_gt_u32_e32 vcc_lo, 4, v3
	s_mov_b32 s1, exec_lo
	v_cndmask_b32_e64 v3, 0, 1, vcc_lo
	s_delay_alu instid0(VALU_DEP_1) | instskip(NEXT) | instid1(VALU_DEP_1)
	v_lshlrev_b32_e32 v3, 2, v3
	v_add_lshl_u32 v1, v3, v1, 2
	ds_bpermute_b32 v1, v1, v2
	v_cmpx_o_f32_e32 v2, v2
	s_cbranch_execz .LBB202_266
; %bb.263:
	s_mov_b32 s14, exec_lo
	s_waitcnt lgkmcnt(0)
	v_cmpx_o_f32_e32 v1, v1
; %bb.264:
	v_cmp_gt_f32_e32 vcc_lo, v2, v1
	v_cndmask_b32_e32 v1, v2, v1, vcc_lo
; %bb.265:
	s_or_b32 exec_lo, exec_lo, s14
	s_delay_alu instid0(VALU_DEP_1)
	v_mov_b32_e32 v2, v1
.LBB202_266:
	s_or_b32 exec_lo, exec_lo, s1
.LBB202_267:
	s_delay_alu instid0(SALU_CYCLE_1)
	s_or_b32 exec_lo, exec_lo, s0
	s_branch .LBB202_366
.LBB202_268:
	s_sub_i32 s1, s10, s12
	s_mov_b32 s14, exec_lo
                                        ; implicit-def: $vgpr5
	v_cmpx_gt_u32_e64 s1, v0
	s_cbranch_execz .LBB202_278
; %bb.269:
	s_waitcnt lgkmcnt(0)
	v_add_co_u32 v1, s0, s12, v0
	s_delay_alu instid0(VALU_DEP_1) | instskip(NEXT) | instid1(VALU_DEP_1)
	v_add_co_ci_u32_e64 v2, null, s13, 0, s0
	v_lshlrev_b64 v[3:4], 2, v[1:2]
	s_delay_alu instid0(VALU_DEP_1) | instskip(NEXT) | instid1(VALU_DEP_2)
	v_add_co_u32 v3, vcc_lo, s4, v3
	v_add_co_ci_u32_e32 v4, vcc_lo, s5, v4, vcc_lo
	v_add_co_u32 v1, vcc_lo, 0x100, v1
	v_add_co_ci_u32_e32 v2, vcc_lo, 0, v2, vcc_lo
	global_load_b32 v5, v[3:4], off
	s_mov_b32 s4, exec_lo
	v_cmpx_gt_i64_e64 s[10:11], v[1:2]
	s_cbranch_execz .LBB202_277
; %bb.270:
	v_add_co_u32 v3, vcc_lo, 0x400, v3
	v_add_co_ci_u32_e32 v4, vcc_lo, 0, v4, vcc_lo
	s_mov_b32 s5, 0
	s_set_inst_prefetch_distance 0x1
	s_branch .LBB202_273
	.p2align	6
.LBB202_271:                            ;   in Loop: Header=BB202_273 Depth=1
	s_or_b32 exec_lo, exec_lo, s12
	s_delay_alu instid0(VALU_DEP_1)
	v_mov_b32_e32 v5, v6
.LBB202_272:                            ;   in Loop: Header=BB202_273 Depth=1
	s_or_b32 exec_lo, exec_lo, s0
	v_add_co_u32 v1, vcc_lo, 0x100, v1
	v_add_co_ci_u32_e32 v2, vcc_lo, 0, v2, vcc_lo
	v_add_co_u32 v3, s0, 0x400, v3
	s_delay_alu instid0(VALU_DEP_1) | instskip(NEXT) | instid1(VALU_DEP_3)
	v_add_co_ci_u32_e64 v4, s0, 0, v4, s0
	v_cmp_le_i64_e32 vcc_lo, s[10:11], v[1:2]
	s_or_b32 s5, vcc_lo, s5
	s_delay_alu instid0(SALU_CYCLE_1)
	s_and_not1_b32 exec_lo, exec_lo, s5
	s_cbranch_execz .LBB202_276
.LBB202_273:                            ; =>This Inner Loop Header: Depth=1
	s_mov_b32 s0, exec_lo
	s_waitcnt vmcnt(0)
	v_cmpx_o_f32_e32 v5, v5
	s_cbranch_execz .LBB202_272
; %bb.274:                              ;   in Loop: Header=BB202_273 Depth=1
	global_load_b32 v6, v[3:4], off
	s_mov_b32 s12, exec_lo
	s_waitcnt vmcnt(0)
	v_cmpx_o_f32_e32 v6, v6
	s_cbranch_execz .LBB202_271
; %bb.275:                              ;   in Loop: Header=BB202_273 Depth=1
	v_cmp_lt_f32_e32 vcc_lo, v6, v5
	v_cndmask_b32_e32 v6, v5, v6, vcc_lo
	s_branch .LBB202_271
.LBB202_276:
	s_set_inst_prefetch_distance 0x2
	s_or_b32 exec_lo, exec_lo, s5
.LBB202_277:
	s_delay_alu instid0(SALU_CYCLE_1)
	s_or_b32 exec_lo, exec_lo, s4
.LBB202_278:
	s_delay_alu instid0(SALU_CYCLE_1)
	s_or_b32 exec_lo, exec_lo, s14
	v_lshrrev_b32_e32 v3, 5, v0
	s_waitcnt lgkmcnt(0)
	v_mbcnt_lo_u32_b32 v1, -1, 0
	s_cmpk_lt_u32 s1, 0x100
	s_mov_b32 s0, -1
	s_cbranch_scc0 .LBB202_328
; %bb.279:
	s_delay_alu instid0(VALU_DEP_1) | instskip(SKIP_1) | instid1(VALU_DEP_1)
	v_cmp_ne_u32_e32 vcc_lo, 31, v1
	v_add_co_ci_u32_e32 v2, vcc_lo, 0, v1, vcc_lo
	v_lshlrev_b32_e32 v2, 2, v2
	s_waitcnt vmcnt(0)
	ds_bpermute_b32 v6, v2, v5
	v_and_b32_e32 v2, 0xe0, v0
	s_delay_alu instid0(VALU_DEP_1) | instskip(SKIP_1) | instid1(VALU_DEP_1)
	v_sub_nc_u32_e64 v4, s1, v2 clamp
	v_add_nc_u32_e32 v2, 1, v1
	v_cmp_lt_u32_e32 vcc_lo, v2, v4
	v_mov_b32_e32 v2, v5
	s_and_saveexec_b32 s0, vcc_lo
	s_cbranch_execz .LBB202_285
; %bb.280:
	v_mov_b32_e32 v2, v5
	s_mov_b32 s4, exec_lo
	v_cmpx_o_f32_e32 v5, v5
	s_cbranch_execz .LBB202_284
; %bb.281:
	s_mov_b32 s5, exec_lo
	s_waitcnt lgkmcnt(0)
	v_cmpx_o_f32_e32 v6, v6
; %bb.282:
	v_cmp_gt_f32_e32 vcc_lo, v5, v6
	v_cndmask_b32_e32 v6, v5, v6, vcc_lo
; %bb.283:
	s_or_b32 exec_lo, exec_lo, s5
	s_delay_alu instid0(VALU_DEP_1)
	v_mov_b32_e32 v2, v6
.LBB202_284:
	s_or_b32 exec_lo, exec_lo, s4
.LBB202_285:
	s_delay_alu instid0(SALU_CYCLE_1)
	s_or_b32 exec_lo, exec_lo, s0
	v_cmp_gt_u32_e32 vcc_lo, 30, v1
	v_add_nc_u32_e32 v7, 2, v1
	s_mov_b32 s0, exec_lo
	s_waitcnt lgkmcnt(0)
	v_cndmask_b32_e64 v6, 0, 1, vcc_lo
	s_delay_alu instid0(VALU_DEP_1) | instskip(NEXT) | instid1(VALU_DEP_1)
	v_lshlrev_b32_e32 v6, 1, v6
	v_add_lshl_u32 v6, v6, v1, 2
	ds_bpermute_b32 v6, v6, v2
	v_cmpx_lt_u32_e64 v7, v4
	s_cbranch_execz .LBB202_291
; %bb.286:
	s_mov_b32 s4, exec_lo
	v_cmpx_o_f32_e32 v2, v2
	s_cbranch_execz .LBB202_290
; %bb.287:
	s_mov_b32 s5, exec_lo
	s_waitcnt lgkmcnt(0)
	v_cmpx_o_f32_e32 v6, v6
; %bb.288:
	v_cmp_gt_f32_e32 vcc_lo, v2, v6
	v_cndmask_b32_e32 v6, v2, v6, vcc_lo
; %bb.289:
	s_or_b32 exec_lo, exec_lo, s5
	s_delay_alu instid0(VALU_DEP_1)
	v_mov_b32_e32 v2, v6
.LBB202_290:
	s_or_b32 exec_lo, exec_lo, s4
.LBB202_291:
	s_delay_alu instid0(SALU_CYCLE_1)
	s_or_b32 exec_lo, exec_lo, s0
	v_cmp_gt_u32_e32 vcc_lo, 28, v1
	v_add_nc_u32_e32 v7, 4, v1
	s_mov_b32 s0, exec_lo
	s_waitcnt lgkmcnt(0)
	v_cndmask_b32_e64 v6, 0, 1, vcc_lo
	s_delay_alu instid0(VALU_DEP_1) | instskip(NEXT) | instid1(VALU_DEP_1)
	v_lshlrev_b32_e32 v6, 2, v6
	v_add_lshl_u32 v6, v6, v1, 2
	ds_bpermute_b32 v6, v6, v2
	v_cmpx_lt_u32_e64 v7, v4
	s_cbranch_execz .LBB202_297
; %bb.292:
	s_mov_b32 s4, exec_lo
	v_cmpx_o_f32_e32 v2, v2
	s_cbranch_execz .LBB202_296
; %bb.293:
	s_mov_b32 s5, exec_lo
	s_waitcnt lgkmcnt(0)
	v_cmpx_o_f32_e32 v6, v6
; %bb.294:
	v_cmp_gt_f32_e32 vcc_lo, v2, v6
	v_cndmask_b32_e32 v6, v2, v6, vcc_lo
; %bb.295:
	s_or_b32 exec_lo, exec_lo, s5
	s_delay_alu instid0(VALU_DEP_1)
	v_mov_b32_e32 v2, v6
.LBB202_296:
	s_or_b32 exec_lo, exec_lo, s4
.LBB202_297:
	;; [unrolled: 31-line block ×3, first 2 shown]
	s_delay_alu instid0(SALU_CYCLE_1)
	s_or_b32 exec_lo, exec_lo, s0
	v_cmp_gt_u32_e32 vcc_lo, 16, v1
	v_add_nc_u32_e32 v7, 16, v1
	v_cmp_o_f32_e64 s0, v2, v2
	s_waitcnt lgkmcnt(0)
	v_cndmask_b32_e64 v6, 0, 1, vcc_lo
	s_delay_alu instid0(VALU_DEP_3) | instskip(NEXT) | instid1(VALU_DEP_2)
	v_cmp_lt_u32_e32 vcc_lo, v7, v4
	v_lshlrev_b32_e32 v6, 4, v6
	s_and_b32 s4, vcc_lo, s0
	s_delay_alu instid0(VALU_DEP_1)
	v_add_lshl_u32 v6, v6, v1, 2
	ds_bpermute_b32 v6, v6, v2
	s_and_saveexec_b32 s0, s4
	s_cbranch_execz .LBB202_307
; %bb.304:
	s_mov_b32 s4, exec_lo
	s_waitcnt lgkmcnt(0)
	v_cmpx_o_f32_e32 v6, v6
; %bb.305:
	v_cmp_gt_f32_e32 vcc_lo, v2, v6
	v_cndmask_b32_e32 v6, v2, v6, vcc_lo
; %bb.306:
	s_or_b32 exec_lo, exec_lo, s4
	s_delay_alu instid0(VALU_DEP_1)
	v_mov_b32_e32 v2, v6
.LBB202_307:
	s_or_b32 exec_lo, exec_lo, s0
	s_delay_alu instid0(SALU_CYCLE_1)
	s_mov_b32 s0, exec_lo
	v_cmpx_eq_u32_e32 0, v1
	s_cbranch_execz .LBB202_309
; %bb.308:
	v_lshlrev_b32_e32 v4, 2, v3
	ds_store_b32 v4, v2
.LBB202_309:
	s_or_b32 exec_lo, exec_lo, s0
	s_delay_alu instid0(SALU_CYCLE_1)
	s_mov_b32 s4, exec_lo
	s_waitcnt lgkmcnt(0)
	s_barrier
	buffer_gl0_inv
	v_cmpx_gt_u32_e32 8, v0
	s_cbranch_execz .LBB202_327
; %bb.310:
	v_lshlrev_b32_e32 v2, 2, v1
	v_and_b32_e32 v4, 7, v1
	s_add_i32 s1, s1, 31
	s_delay_alu instid0(SALU_CYCLE_1)
	s_lshr_b32 s0, s1, 5
	ds_load_b32 v2, v2
	v_cmp_ne_u32_e32 vcc_lo, 7, v4
	v_add_nc_u32_e32 v7, 1, v4
	s_mov_b32 s1, exec_lo
	v_add_co_ci_u32_e32 v6, vcc_lo, 0, v1, vcc_lo
	s_delay_alu instid0(VALU_DEP_1)
	v_lshlrev_b32_e32 v6, 2, v6
	s_waitcnt lgkmcnt(0)
	ds_bpermute_b32 v6, v6, v2
	v_cmpx_gt_u32_e64 s0, v7
	s_cbranch_execz .LBB202_316
; %bb.311:
	s_mov_b32 s5, exec_lo
	v_cmpx_o_f32_e32 v2, v2
	s_cbranch_execz .LBB202_315
; %bb.312:
	s_mov_b32 s10, exec_lo
	s_waitcnt lgkmcnt(0)
	v_cmpx_o_f32_e32 v6, v6
; %bb.313:
	v_cmp_gt_f32_e32 vcc_lo, v2, v6
	v_cndmask_b32_e32 v6, v2, v6, vcc_lo
; %bb.314:
	s_or_b32 exec_lo, exec_lo, s10
	s_delay_alu instid0(VALU_DEP_1)
	v_mov_b32_e32 v2, v6
.LBB202_315:
	s_or_b32 exec_lo, exec_lo, s5
.LBB202_316:
	s_delay_alu instid0(SALU_CYCLE_1)
	s_or_b32 exec_lo, exec_lo, s1
	v_cmp_gt_u32_e32 vcc_lo, 6, v4
	v_add_nc_u32_e32 v7, 2, v4
	s_mov_b32 s1, exec_lo
	s_waitcnt lgkmcnt(0)
	v_cndmask_b32_e64 v6, 0, 1, vcc_lo
	s_delay_alu instid0(VALU_DEP_1) | instskip(NEXT) | instid1(VALU_DEP_1)
	v_lshlrev_b32_e32 v6, 1, v6
	v_add_lshl_u32 v6, v6, v1, 2
	ds_bpermute_b32 v6, v6, v2
	v_cmpx_gt_u32_e64 s0, v7
	s_cbranch_execz .LBB202_322
; %bb.317:
	s_mov_b32 s5, exec_lo
	v_cmpx_o_f32_e32 v2, v2
	s_cbranch_execz .LBB202_321
; %bb.318:
	s_mov_b32 s10, exec_lo
	s_waitcnt lgkmcnt(0)
	v_cmpx_o_f32_e32 v6, v6
; %bb.319:
	v_cmp_gt_f32_e32 vcc_lo, v2, v6
	v_cndmask_b32_e32 v6, v2, v6, vcc_lo
; %bb.320:
	s_or_b32 exec_lo, exec_lo, s10
	s_delay_alu instid0(VALU_DEP_1)
	v_mov_b32_e32 v2, v6
.LBB202_321:
	s_or_b32 exec_lo, exec_lo, s5
.LBB202_322:
	s_delay_alu instid0(SALU_CYCLE_1) | instskip(SKIP_4) | instid1(VALU_DEP_2)
	s_or_b32 exec_lo, exec_lo, s1
	v_cmp_gt_u32_e32 vcc_lo, 4, v4
	v_add_nc_u32_e32 v4, 4, v4
	s_waitcnt lgkmcnt(0)
	v_cndmask_b32_e64 v6, 0, 1, vcc_lo
	v_cmp_gt_u32_e32 vcc_lo, s0, v4
	v_cmp_o_f32_e64 s0, v2, v2
	s_delay_alu instid0(VALU_DEP_3) | instskip(NEXT) | instid1(VALU_DEP_2)
	v_lshlrev_b32_e32 v6, 2, v6
	s_and_b32 s1, vcc_lo, s0
	s_delay_alu instid0(VALU_DEP_1)
	v_add_lshl_u32 v6, v6, v1, 2
	ds_bpermute_b32 v6, v6, v2
	s_and_saveexec_b32 s0, s1
	s_cbranch_execz .LBB202_326
; %bb.323:
	s_mov_b32 s1, exec_lo
	s_waitcnt lgkmcnt(0)
	v_cmpx_o_f32_e32 v6, v6
; %bb.324:
	v_cmp_gt_f32_e32 vcc_lo, v2, v6
	v_cndmask_b32_e32 v6, v2, v6, vcc_lo
; %bb.325:
	s_or_b32 exec_lo, exec_lo, s1
	s_delay_alu instid0(VALU_DEP_1)
	v_mov_b32_e32 v2, v6
.LBB202_326:
	s_or_b32 exec_lo, exec_lo, s0
.LBB202_327:
	s_delay_alu instid0(SALU_CYCLE_1)
	s_or_b32 exec_lo, exec_lo, s4
	s_branch .LBB202_366
.LBB202_328:
                                        ; implicit-def: $vgpr2
	s_and_b32 vcc_lo, exec_lo, s0
	s_cbranch_vccz .LBB202_366
; %bb.329:
	s_waitcnt vmcnt(0)
	v_mov_b32_dpp v2, v5 quad_perm:[1,0,3,2] row_mask:0xf bank_mask:0xf
	s_mov_b32 s0, exec_lo
	s_delay_alu instid0(VALU_DEP_1)
	v_cmpx_o_f32_e32 v2, v2
	s_cbranch_execz .LBB202_333
; %bb.330:
	s_mov_b32 s1, exec_lo
	v_cmpx_o_f32_e32 v5, v5
; %bb.331:
	v_cmp_lt_f32_e32 vcc_lo, v5, v2
	v_cndmask_b32_e32 v5, v2, v5, vcc_lo
; %bb.332:
	s_or_b32 exec_lo, exec_lo, s1
	s_delay_alu instid0(VALU_DEP_1)
	v_mov_b32_e32 v2, v5
.LBB202_333:
	s_or_b32 exec_lo, exec_lo, s0
	s_delay_alu instid0(VALU_DEP_1) | instskip(SKIP_1) | instid1(VALU_DEP_1)
	v_mov_b32_dpp v4, v2 quad_perm:[2,3,0,1] row_mask:0xf bank_mask:0xf
	s_mov_b32 s0, exec_lo
	v_cmpx_o_f32_e32 v4, v4
	s_cbranch_execz .LBB202_337
; %bb.334:
	s_mov_b32 s1, exec_lo
	v_cmpx_o_f32_e32 v2, v2
; %bb.335:
	v_cmp_lt_f32_e32 vcc_lo, v2, v4
	v_cndmask_b32_e32 v2, v4, v2, vcc_lo
; %bb.336:
	s_or_b32 exec_lo, exec_lo, s1
	s_delay_alu instid0(VALU_DEP_1)
	v_mov_b32_e32 v4, v2
.LBB202_337:
	s_or_b32 exec_lo, exec_lo, s0
	s_delay_alu instid0(VALU_DEP_1) | instskip(SKIP_1) | instid1(VALU_DEP_1)
	v_mov_b32_dpp v2, v4 row_ror:4 row_mask:0xf bank_mask:0xf
	s_mov_b32 s0, exec_lo
	v_cmpx_o_f32_e32 v2, v2
	s_cbranch_execz .LBB202_341
; %bb.338:
	s_mov_b32 s1, exec_lo
	v_cmpx_o_f32_e32 v4, v4
; %bb.339:
	v_cmp_lt_f32_e32 vcc_lo, v4, v2
	v_cndmask_b32_e32 v4, v2, v4, vcc_lo
; %bb.340:
	s_or_b32 exec_lo, exec_lo, s1
	s_delay_alu instid0(VALU_DEP_1)
	v_mov_b32_e32 v2, v4
.LBB202_341:
	s_or_b32 exec_lo, exec_lo, s0
	s_delay_alu instid0(VALU_DEP_1) | instskip(SKIP_1) | instid1(VALU_DEP_1)
	v_mov_b32_dpp v4, v2 row_ror:8 row_mask:0xf bank_mask:0xf
	s_mov_b32 s0, exec_lo
	v_cmpx_o_f32_e32 v4, v4
	s_cbranch_execz .LBB202_345
; %bb.342:
	s_mov_b32 s1, exec_lo
	v_cmpx_o_f32_e32 v2, v2
; %bb.343:
	v_cmp_lt_f32_e32 vcc_lo, v2, v4
	v_cndmask_b32_e32 v2, v4, v2, vcc_lo
; %bb.344:
	s_or_b32 exec_lo, exec_lo, s1
	s_delay_alu instid0(VALU_DEP_1)
	v_mov_b32_e32 v4, v2
.LBB202_345:
	s_or_b32 exec_lo, exec_lo, s0
	ds_swizzle_b32 v2, v4 offset:swizzle(BROADCAST,32,15)
	s_mov_b32 s0, exec_lo
	s_waitcnt lgkmcnt(0)
	v_cmpx_o_f32_e32 v2, v2
	s_cbranch_execz .LBB202_349
; %bb.346:
	s_mov_b32 s1, exec_lo
	v_cmpx_o_f32_e32 v4, v4
; %bb.347:
	v_cmp_lt_f32_e32 vcc_lo, v4, v2
	v_cndmask_b32_e32 v4, v2, v4, vcc_lo
; %bb.348:
	s_or_b32 exec_lo, exec_lo, s1
	s_delay_alu instid0(VALU_DEP_1)
	v_mov_b32_e32 v2, v4
.LBB202_349:
	s_or_b32 exec_lo, exec_lo, s0
	v_mov_b32_e32 v4, 0
	s_mov_b32 s0, exec_lo
	ds_bpermute_b32 v2, v4, v2 offset:124
	v_cmpx_eq_u32_e32 0, v1
	s_cbranch_execz .LBB202_351
; %bb.350:
	v_lshlrev_b32_e32 v3, 2, v3
	s_waitcnt lgkmcnt(0)
	ds_store_b32 v3, v2
.LBB202_351:
	s_or_b32 exec_lo, exec_lo, s0
	s_delay_alu instid0(SALU_CYCLE_1)
	s_mov_b32 s0, exec_lo
	s_waitcnt lgkmcnt(0)
	s_barrier
	buffer_gl0_inv
	v_cmpx_gt_u32_e32 32, v0
	s_cbranch_execz .LBB202_365
; %bb.352:
	v_and_b32_e32 v3, 7, v1
	s_mov_b32 s1, exec_lo
	s_delay_alu instid0(VALU_DEP_1) | instskip(SKIP_3) | instid1(VALU_DEP_1)
	v_lshlrev_b32_e32 v2, 2, v3
	v_cmp_ne_u32_e32 vcc_lo, 7, v3
	ds_load_b32 v2, v2
	v_add_co_ci_u32_e32 v4, vcc_lo, 0, v1, vcc_lo
	v_lshlrev_b32_e32 v4, 2, v4
	s_waitcnt lgkmcnt(0)
	ds_bpermute_b32 v4, v4, v2
	v_cmpx_o_f32_e32 v2, v2
	s_cbranch_execz .LBB202_356
; %bb.353:
	s_mov_b32 s4, exec_lo
	s_waitcnt lgkmcnt(0)
	v_cmpx_o_f32_e32 v4, v4
; %bb.354:
	v_cmp_gt_f32_e32 vcc_lo, v2, v4
	v_cndmask_b32_e32 v4, v2, v4, vcc_lo
; %bb.355:
	s_or_b32 exec_lo, exec_lo, s4
	s_delay_alu instid0(VALU_DEP_1)
	v_mov_b32_e32 v2, v4
.LBB202_356:
	s_or_b32 exec_lo, exec_lo, s1
	v_cmp_gt_u32_e32 vcc_lo, 6, v3
	s_mov_b32 s1, exec_lo
	s_waitcnt lgkmcnt(0)
	v_cndmask_b32_e64 v4, 0, 1, vcc_lo
	s_delay_alu instid0(VALU_DEP_1) | instskip(NEXT) | instid1(VALU_DEP_1)
	v_lshlrev_b32_e32 v4, 1, v4
	v_add_lshl_u32 v4, v4, v1, 2
	ds_bpermute_b32 v4, v4, v2
	v_cmpx_o_f32_e32 v2, v2
	s_cbranch_execz .LBB202_360
; %bb.357:
	s_mov_b32 s4, exec_lo
	s_waitcnt lgkmcnt(0)
	v_cmpx_o_f32_e32 v4, v4
; %bb.358:
	v_cmp_gt_f32_e32 vcc_lo, v2, v4
	v_cndmask_b32_e32 v4, v2, v4, vcc_lo
; %bb.359:
	s_or_b32 exec_lo, exec_lo, s4
	s_delay_alu instid0(VALU_DEP_1)
	v_mov_b32_e32 v2, v4
.LBB202_360:
	s_or_b32 exec_lo, exec_lo, s1
	v_cmp_gt_u32_e32 vcc_lo, 4, v3
	s_mov_b32 s1, exec_lo
	v_cndmask_b32_e64 v3, 0, 1, vcc_lo
	s_delay_alu instid0(VALU_DEP_1) | instskip(NEXT) | instid1(VALU_DEP_1)
	v_lshlrev_b32_e32 v3, 2, v3
	v_add_lshl_u32 v1, v3, v1, 2
	ds_bpermute_b32 v1, v1, v2
	v_cmpx_o_f32_e32 v2, v2
	s_cbranch_execz .LBB202_364
; %bb.361:
	s_mov_b32 s4, exec_lo
	s_waitcnt lgkmcnt(0)
	v_cmpx_o_f32_e32 v1, v1
; %bb.362:
	v_cmp_gt_f32_e32 vcc_lo, v2, v1
	v_cndmask_b32_e32 v1, v2, v1, vcc_lo
; %bb.363:
	s_or_b32 exec_lo, exec_lo, s4
	s_delay_alu instid0(VALU_DEP_1)
	v_mov_b32_e32 v2, v1
.LBB202_364:
	s_or_b32 exec_lo, exec_lo, s1
.LBB202_365:
	s_delay_alu instid0(SALU_CYCLE_1)
	s_or_b32 exec_lo, exec_lo, s0
.LBB202_366:
	s_delay_alu instid0(SALU_CYCLE_1)
	s_mov_b32 s0, exec_lo
                                        ; implicit-def: $vgpr1
	v_cmpx_eq_u32_e32 0, v0
	s_cbranch_execz .LBB202_372
; %bb.367:
	v_cmp_u_f32_e64 s1, s16, s16
	s_waitcnt lgkmcnt(0)
	v_mov_b32_e32 v1, s16
	s_delay_alu instid0(VALU_DEP_2)
	s_and_b32 vcc_lo, exec_lo, s1
	s_cbranch_vccnz .LBB202_371
; %bb.368:
	s_mov_b32 s1, exec_lo
	v_cmpx_o_f32_e32 v2, v2
; %bb.369:
	v_cmp_gt_f32_e32 vcc_lo, s16, v2
	v_cndmask_b32_e32 v2, s16, v2, vcc_lo
; %bb.370:
	s_or_b32 exec_lo, exec_lo, s1
	s_delay_alu instid0(VALU_DEP_1)
	v_mov_b32_e32 v1, v2
.LBB202_371:
	s_or_b32 s17, s17, exec_lo
.LBB202_372:
	s_or_b32 exec_lo, exec_lo, s0
	s_and_saveexec_b32 s0, s17
	s_cbranch_execz .LBB202_374
.LBB202_373:
	s_lshl_b64 s[0:1], s[8:9], 2
	v_mov_b32_e32 v0, 0
	s_add_u32 s4, s6, s0
	s_addc_u32 s5, s7, s1
	s_lshl_b64 s[0:1], s[2:3], 2
	s_delay_alu instid0(SALU_CYCLE_1)
	s_add_u32 s0, s4, s0
	s_addc_u32 s1, s5, s1
	s_waitcnt lgkmcnt(0)
	global_store_b32 v0, v1, s[0:1]
.LBB202_374:
	s_nop 0
	s_sendmsg sendmsg(MSG_DEALLOC_VGPRS)
	s_endpgm
	.section	.rodata,"a",@progbits
	.p2align	6, 0x0
	.amdhsa_kernel _ZN7rocprim17ROCPRIM_400000_NS6detail17trampoline_kernelINS0_14default_configENS1_32segmented_reduce_config_selectorIfEEZNS1_21segmented_reduce_implIS3_PKfPfPKlfN6hipcub16HIPCUB_304000_NS6detail27convert_result_type_wrapperIS8_S9_N2at6native12_GLOBAL__N_19CustomMinEEEEE10hipError_tPvRmT0_T1_jT2_SQ_T4_T3_P12ihipStream_tbEUlT_E_NS1_11comp_targetILNS1_3genE9ELNS1_11target_archE1100ELNS1_3gpuE3ELNS1_3repE0EEENS1_30default_config_static_selectorELNS0_4arch9wavefront6targetE0EEEvSP_
		.amdhsa_group_segment_fixed_size 32
		.amdhsa_private_segment_fixed_size 0
		.amdhsa_kernarg_size 48
		.amdhsa_user_sgpr_count 15
		.amdhsa_user_sgpr_dispatch_ptr 0
		.amdhsa_user_sgpr_queue_ptr 0
		.amdhsa_user_sgpr_kernarg_segment_ptr 1
		.amdhsa_user_sgpr_dispatch_id 0
		.amdhsa_user_sgpr_private_segment_size 0
		.amdhsa_wavefront_size32 1
		.amdhsa_uses_dynamic_stack 0
		.amdhsa_enable_private_segment 0
		.amdhsa_system_sgpr_workgroup_id_x 1
		.amdhsa_system_sgpr_workgroup_id_y 0
		.amdhsa_system_sgpr_workgroup_id_z 0
		.amdhsa_system_sgpr_workgroup_info 0
		.amdhsa_system_vgpr_workitem_id 0
		.amdhsa_next_free_vgpr 33
		.amdhsa_next_free_sgpr 21
		.amdhsa_reserve_vcc 1
		.amdhsa_float_round_mode_32 0
		.amdhsa_float_round_mode_16_64 0
		.amdhsa_float_denorm_mode_32 3
		.amdhsa_float_denorm_mode_16_64 3
		.amdhsa_dx10_clamp 1
		.amdhsa_ieee_mode 1
		.amdhsa_fp16_overflow 0
		.amdhsa_workgroup_processor_mode 1
		.amdhsa_memory_ordered 1
		.amdhsa_forward_progress 0
		.amdhsa_shared_vgpr_count 0
		.amdhsa_exception_fp_ieee_invalid_op 0
		.amdhsa_exception_fp_denorm_src 0
		.amdhsa_exception_fp_ieee_div_zero 0
		.amdhsa_exception_fp_ieee_overflow 0
		.amdhsa_exception_fp_ieee_underflow 0
		.amdhsa_exception_fp_ieee_inexact 0
		.amdhsa_exception_int_div_zero 0
	.end_amdhsa_kernel
	.section	.text._ZN7rocprim17ROCPRIM_400000_NS6detail17trampoline_kernelINS0_14default_configENS1_32segmented_reduce_config_selectorIfEEZNS1_21segmented_reduce_implIS3_PKfPfPKlfN6hipcub16HIPCUB_304000_NS6detail27convert_result_type_wrapperIS8_S9_N2at6native12_GLOBAL__N_19CustomMinEEEEE10hipError_tPvRmT0_T1_jT2_SQ_T4_T3_P12ihipStream_tbEUlT_E_NS1_11comp_targetILNS1_3genE9ELNS1_11target_archE1100ELNS1_3gpuE3ELNS1_3repE0EEENS1_30default_config_static_selectorELNS0_4arch9wavefront6targetE0EEEvSP_,"axG",@progbits,_ZN7rocprim17ROCPRIM_400000_NS6detail17trampoline_kernelINS0_14default_configENS1_32segmented_reduce_config_selectorIfEEZNS1_21segmented_reduce_implIS3_PKfPfPKlfN6hipcub16HIPCUB_304000_NS6detail27convert_result_type_wrapperIS8_S9_N2at6native12_GLOBAL__N_19CustomMinEEEEE10hipError_tPvRmT0_T1_jT2_SQ_T4_T3_P12ihipStream_tbEUlT_E_NS1_11comp_targetILNS1_3genE9ELNS1_11target_archE1100ELNS1_3gpuE3ELNS1_3repE0EEENS1_30default_config_static_selectorELNS0_4arch9wavefront6targetE0EEEvSP_,comdat
.Lfunc_end202:
	.size	_ZN7rocprim17ROCPRIM_400000_NS6detail17trampoline_kernelINS0_14default_configENS1_32segmented_reduce_config_selectorIfEEZNS1_21segmented_reduce_implIS3_PKfPfPKlfN6hipcub16HIPCUB_304000_NS6detail27convert_result_type_wrapperIS8_S9_N2at6native12_GLOBAL__N_19CustomMinEEEEE10hipError_tPvRmT0_T1_jT2_SQ_T4_T3_P12ihipStream_tbEUlT_E_NS1_11comp_targetILNS1_3genE9ELNS1_11target_archE1100ELNS1_3gpuE3ELNS1_3repE0EEENS1_30default_config_static_selectorELNS0_4arch9wavefront6targetE0EEEvSP_, .Lfunc_end202-_ZN7rocprim17ROCPRIM_400000_NS6detail17trampoline_kernelINS0_14default_configENS1_32segmented_reduce_config_selectorIfEEZNS1_21segmented_reduce_implIS3_PKfPfPKlfN6hipcub16HIPCUB_304000_NS6detail27convert_result_type_wrapperIS8_S9_N2at6native12_GLOBAL__N_19CustomMinEEEEE10hipError_tPvRmT0_T1_jT2_SQ_T4_T3_P12ihipStream_tbEUlT_E_NS1_11comp_targetILNS1_3genE9ELNS1_11target_archE1100ELNS1_3gpuE3ELNS1_3repE0EEENS1_30default_config_static_selectorELNS0_4arch9wavefront6targetE0EEEvSP_
                                        ; -- End function
	.section	.AMDGPU.csdata,"",@progbits
; Kernel info:
; codeLenInByte = 7092
; NumSgprs: 23
; NumVgprs: 33
; ScratchSize: 0
; MemoryBound: 0
; FloatMode: 240
; IeeeMode: 1
; LDSByteSize: 32 bytes/workgroup (compile time only)
; SGPRBlocks: 2
; VGPRBlocks: 4
; NumSGPRsForWavesPerEU: 23
; NumVGPRsForWavesPerEU: 33
; Occupancy: 16
; WaveLimiterHint : 1
; COMPUTE_PGM_RSRC2:SCRATCH_EN: 0
; COMPUTE_PGM_RSRC2:USER_SGPR: 15
; COMPUTE_PGM_RSRC2:TRAP_HANDLER: 0
; COMPUTE_PGM_RSRC2:TGID_X_EN: 1
; COMPUTE_PGM_RSRC2:TGID_Y_EN: 0
; COMPUTE_PGM_RSRC2:TGID_Z_EN: 0
; COMPUTE_PGM_RSRC2:TIDIG_COMP_CNT: 0
	.section	.text._ZN7rocprim17ROCPRIM_400000_NS6detail17trampoline_kernelINS0_14default_configENS1_32segmented_reduce_config_selectorIfEEZNS1_21segmented_reduce_implIS3_PKfPfPKlfN6hipcub16HIPCUB_304000_NS6detail27convert_result_type_wrapperIS8_S9_N2at6native12_GLOBAL__N_19CustomMinEEEEE10hipError_tPvRmT0_T1_jT2_SQ_T4_T3_P12ihipStream_tbEUlT_E_NS1_11comp_targetILNS1_3genE8ELNS1_11target_archE1030ELNS1_3gpuE2ELNS1_3repE0EEENS1_30default_config_static_selectorELNS0_4arch9wavefront6targetE0EEEvSP_,"axG",@progbits,_ZN7rocprim17ROCPRIM_400000_NS6detail17trampoline_kernelINS0_14default_configENS1_32segmented_reduce_config_selectorIfEEZNS1_21segmented_reduce_implIS3_PKfPfPKlfN6hipcub16HIPCUB_304000_NS6detail27convert_result_type_wrapperIS8_S9_N2at6native12_GLOBAL__N_19CustomMinEEEEE10hipError_tPvRmT0_T1_jT2_SQ_T4_T3_P12ihipStream_tbEUlT_E_NS1_11comp_targetILNS1_3genE8ELNS1_11target_archE1030ELNS1_3gpuE2ELNS1_3repE0EEENS1_30default_config_static_selectorELNS0_4arch9wavefront6targetE0EEEvSP_,comdat
	.globl	_ZN7rocprim17ROCPRIM_400000_NS6detail17trampoline_kernelINS0_14default_configENS1_32segmented_reduce_config_selectorIfEEZNS1_21segmented_reduce_implIS3_PKfPfPKlfN6hipcub16HIPCUB_304000_NS6detail27convert_result_type_wrapperIS8_S9_N2at6native12_GLOBAL__N_19CustomMinEEEEE10hipError_tPvRmT0_T1_jT2_SQ_T4_T3_P12ihipStream_tbEUlT_E_NS1_11comp_targetILNS1_3genE8ELNS1_11target_archE1030ELNS1_3gpuE2ELNS1_3repE0EEENS1_30default_config_static_selectorELNS0_4arch9wavefront6targetE0EEEvSP_ ; -- Begin function _ZN7rocprim17ROCPRIM_400000_NS6detail17trampoline_kernelINS0_14default_configENS1_32segmented_reduce_config_selectorIfEEZNS1_21segmented_reduce_implIS3_PKfPfPKlfN6hipcub16HIPCUB_304000_NS6detail27convert_result_type_wrapperIS8_S9_N2at6native12_GLOBAL__N_19CustomMinEEEEE10hipError_tPvRmT0_T1_jT2_SQ_T4_T3_P12ihipStream_tbEUlT_E_NS1_11comp_targetILNS1_3genE8ELNS1_11target_archE1030ELNS1_3gpuE2ELNS1_3repE0EEENS1_30default_config_static_selectorELNS0_4arch9wavefront6targetE0EEEvSP_
	.p2align	8
	.type	_ZN7rocprim17ROCPRIM_400000_NS6detail17trampoline_kernelINS0_14default_configENS1_32segmented_reduce_config_selectorIfEEZNS1_21segmented_reduce_implIS3_PKfPfPKlfN6hipcub16HIPCUB_304000_NS6detail27convert_result_type_wrapperIS8_S9_N2at6native12_GLOBAL__N_19CustomMinEEEEE10hipError_tPvRmT0_T1_jT2_SQ_T4_T3_P12ihipStream_tbEUlT_E_NS1_11comp_targetILNS1_3genE8ELNS1_11target_archE1030ELNS1_3gpuE2ELNS1_3repE0EEENS1_30default_config_static_selectorELNS0_4arch9wavefront6targetE0EEEvSP_,@function
_ZN7rocprim17ROCPRIM_400000_NS6detail17trampoline_kernelINS0_14default_configENS1_32segmented_reduce_config_selectorIfEEZNS1_21segmented_reduce_implIS3_PKfPfPKlfN6hipcub16HIPCUB_304000_NS6detail27convert_result_type_wrapperIS8_S9_N2at6native12_GLOBAL__N_19CustomMinEEEEE10hipError_tPvRmT0_T1_jT2_SQ_T4_T3_P12ihipStream_tbEUlT_E_NS1_11comp_targetILNS1_3genE8ELNS1_11target_archE1030ELNS1_3gpuE2ELNS1_3repE0EEENS1_30default_config_static_selectorELNS0_4arch9wavefront6targetE0EEEvSP_: ; @_ZN7rocprim17ROCPRIM_400000_NS6detail17trampoline_kernelINS0_14default_configENS1_32segmented_reduce_config_selectorIfEEZNS1_21segmented_reduce_implIS3_PKfPfPKlfN6hipcub16HIPCUB_304000_NS6detail27convert_result_type_wrapperIS8_S9_N2at6native12_GLOBAL__N_19CustomMinEEEEE10hipError_tPvRmT0_T1_jT2_SQ_T4_T3_P12ihipStream_tbEUlT_E_NS1_11comp_targetILNS1_3genE8ELNS1_11target_archE1030ELNS1_3gpuE2ELNS1_3repE0EEENS1_30default_config_static_selectorELNS0_4arch9wavefront6targetE0EEEvSP_
; %bb.0:
	.section	.rodata,"a",@progbits
	.p2align	6, 0x0
	.amdhsa_kernel _ZN7rocprim17ROCPRIM_400000_NS6detail17trampoline_kernelINS0_14default_configENS1_32segmented_reduce_config_selectorIfEEZNS1_21segmented_reduce_implIS3_PKfPfPKlfN6hipcub16HIPCUB_304000_NS6detail27convert_result_type_wrapperIS8_S9_N2at6native12_GLOBAL__N_19CustomMinEEEEE10hipError_tPvRmT0_T1_jT2_SQ_T4_T3_P12ihipStream_tbEUlT_E_NS1_11comp_targetILNS1_3genE8ELNS1_11target_archE1030ELNS1_3gpuE2ELNS1_3repE0EEENS1_30default_config_static_selectorELNS0_4arch9wavefront6targetE0EEEvSP_
		.amdhsa_group_segment_fixed_size 0
		.amdhsa_private_segment_fixed_size 0
		.amdhsa_kernarg_size 48
		.amdhsa_user_sgpr_count 15
		.amdhsa_user_sgpr_dispatch_ptr 0
		.amdhsa_user_sgpr_queue_ptr 0
		.amdhsa_user_sgpr_kernarg_segment_ptr 1
		.amdhsa_user_sgpr_dispatch_id 0
		.amdhsa_user_sgpr_private_segment_size 0
		.amdhsa_wavefront_size32 1
		.amdhsa_uses_dynamic_stack 0
		.amdhsa_enable_private_segment 0
		.amdhsa_system_sgpr_workgroup_id_x 1
		.amdhsa_system_sgpr_workgroup_id_y 0
		.amdhsa_system_sgpr_workgroup_id_z 0
		.amdhsa_system_sgpr_workgroup_info 0
		.amdhsa_system_vgpr_workitem_id 0
		.amdhsa_next_free_vgpr 1
		.amdhsa_next_free_sgpr 1
		.amdhsa_reserve_vcc 0
		.amdhsa_float_round_mode_32 0
		.amdhsa_float_round_mode_16_64 0
		.amdhsa_float_denorm_mode_32 3
		.amdhsa_float_denorm_mode_16_64 3
		.amdhsa_dx10_clamp 1
		.amdhsa_ieee_mode 1
		.amdhsa_fp16_overflow 0
		.amdhsa_workgroup_processor_mode 1
		.amdhsa_memory_ordered 1
		.amdhsa_forward_progress 0
		.amdhsa_shared_vgpr_count 0
		.amdhsa_exception_fp_ieee_invalid_op 0
		.amdhsa_exception_fp_denorm_src 0
		.amdhsa_exception_fp_ieee_div_zero 0
		.amdhsa_exception_fp_ieee_overflow 0
		.amdhsa_exception_fp_ieee_underflow 0
		.amdhsa_exception_fp_ieee_inexact 0
		.amdhsa_exception_int_div_zero 0
	.end_amdhsa_kernel
	.section	.text._ZN7rocprim17ROCPRIM_400000_NS6detail17trampoline_kernelINS0_14default_configENS1_32segmented_reduce_config_selectorIfEEZNS1_21segmented_reduce_implIS3_PKfPfPKlfN6hipcub16HIPCUB_304000_NS6detail27convert_result_type_wrapperIS8_S9_N2at6native12_GLOBAL__N_19CustomMinEEEEE10hipError_tPvRmT0_T1_jT2_SQ_T4_T3_P12ihipStream_tbEUlT_E_NS1_11comp_targetILNS1_3genE8ELNS1_11target_archE1030ELNS1_3gpuE2ELNS1_3repE0EEENS1_30default_config_static_selectorELNS0_4arch9wavefront6targetE0EEEvSP_,"axG",@progbits,_ZN7rocprim17ROCPRIM_400000_NS6detail17trampoline_kernelINS0_14default_configENS1_32segmented_reduce_config_selectorIfEEZNS1_21segmented_reduce_implIS3_PKfPfPKlfN6hipcub16HIPCUB_304000_NS6detail27convert_result_type_wrapperIS8_S9_N2at6native12_GLOBAL__N_19CustomMinEEEEE10hipError_tPvRmT0_T1_jT2_SQ_T4_T3_P12ihipStream_tbEUlT_E_NS1_11comp_targetILNS1_3genE8ELNS1_11target_archE1030ELNS1_3gpuE2ELNS1_3repE0EEENS1_30default_config_static_selectorELNS0_4arch9wavefront6targetE0EEEvSP_,comdat
.Lfunc_end203:
	.size	_ZN7rocprim17ROCPRIM_400000_NS6detail17trampoline_kernelINS0_14default_configENS1_32segmented_reduce_config_selectorIfEEZNS1_21segmented_reduce_implIS3_PKfPfPKlfN6hipcub16HIPCUB_304000_NS6detail27convert_result_type_wrapperIS8_S9_N2at6native12_GLOBAL__N_19CustomMinEEEEE10hipError_tPvRmT0_T1_jT2_SQ_T4_T3_P12ihipStream_tbEUlT_E_NS1_11comp_targetILNS1_3genE8ELNS1_11target_archE1030ELNS1_3gpuE2ELNS1_3repE0EEENS1_30default_config_static_selectorELNS0_4arch9wavefront6targetE0EEEvSP_, .Lfunc_end203-_ZN7rocprim17ROCPRIM_400000_NS6detail17trampoline_kernelINS0_14default_configENS1_32segmented_reduce_config_selectorIfEEZNS1_21segmented_reduce_implIS3_PKfPfPKlfN6hipcub16HIPCUB_304000_NS6detail27convert_result_type_wrapperIS8_S9_N2at6native12_GLOBAL__N_19CustomMinEEEEE10hipError_tPvRmT0_T1_jT2_SQ_T4_T3_P12ihipStream_tbEUlT_E_NS1_11comp_targetILNS1_3genE8ELNS1_11target_archE1030ELNS1_3gpuE2ELNS1_3repE0EEENS1_30default_config_static_selectorELNS0_4arch9wavefront6targetE0EEEvSP_
                                        ; -- End function
	.section	.AMDGPU.csdata,"",@progbits
; Kernel info:
; codeLenInByte = 0
; NumSgprs: 0
; NumVgprs: 0
; ScratchSize: 0
; MemoryBound: 0
; FloatMode: 240
; IeeeMode: 1
; LDSByteSize: 0 bytes/workgroup (compile time only)
; SGPRBlocks: 0
; VGPRBlocks: 0
; NumSGPRsForWavesPerEU: 1
; NumVGPRsForWavesPerEU: 1
; Occupancy: 16
; WaveLimiterHint : 0
; COMPUTE_PGM_RSRC2:SCRATCH_EN: 0
; COMPUTE_PGM_RSRC2:USER_SGPR: 15
; COMPUTE_PGM_RSRC2:TRAP_HANDLER: 0
; COMPUTE_PGM_RSRC2:TGID_X_EN: 1
; COMPUTE_PGM_RSRC2:TGID_Y_EN: 0
; COMPUTE_PGM_RSRC2:TGID_Z_EN: 0
; COMPUTE_PGM_RSRC2:TIDIG_COMP_CNT: 0
	.section	.text._ZN7rocprim17ROCPRIM_400000_NS6detail17trampoline_kernelINS0_14default_configENS1_32segmented_reduce_config_selectorIfEEZNS1_21segmented_reduce_implIS3_PKfPfPKlfN6hipcub16HIPCUB_304000_NS6detail27convert_result_type_wrapperIS8_S9_N2at6native12_GLOBAL__N_110CustomProdEEEEE10hipError_tPvRmT0_T1_jT2_SQ_T4_T3_P12ihipStream_tbEUlT_E_NS1_11comp_targetILNS1_3genE0ELNS1_11target_archE4294967295ELNS1_3gpuE0ELNS1_3repE0EEENS1_30default_config_static_selectorELNS0_4arch9wavefront6targetE0EEEvSP_,"axG",@progbits,_ZN7rocprim17ROCPRIM_400000_NS6detail17trampoline_kernelINS0_14default_configENS1_32segmented_reduce_config_selectorIfEEZNS1_21segmented_reduce_implIS3_PKfPfPKlfN6hipcub16HIPCUB_304000_NS6detail27convert_result_type_wrapperIS8_S9_N2at6native12_GLOBAL__N_110CustomProdEEEEE10hipError_tPvRmT0_T1_jT2_SQ_T4_T3_P12ihipStream_tbEUlT_E_NS1_11comp_targetILNS1_3genE0ELNS1_11target_archE4294967295ELNS1_3gpuE0ELNS1_3repE0EEENS1_30default_config_static_selectorELNS0_4arch9wavefront6targetE0EEEvSP_,comdat
	.globl	_ZN7rocprim17ROCPRIM_400000_NS6detail17trampoline_kernelINS0_14default_configENS1_32segmented_reduce_config_selectorIfEEZNS1_21segmented_reduce_implIS3_PKfPfPKlfN6hipcub16HIPCUB_304000_NS6detail27convert_result_type_wrapperIS8_S9_N2at6native12_GLOBAL__N_110CustomProdEEEEE10hipError_tPvRmT0_T1_jT2_SQ_T4_T3_P12ihipStream_tbEUlT_E_NS1_11comp_targetILNS1_3genE0ELNS1_11target_archE4294967295ELNS1_3gpuE0ELNS1_3repE0EEENS1_30default_config_static_selectorELNS0_4arch9wavefront6targetE0EEEvSP_ ; -- Begin function _ZN7rocprim17ROCPRIM_400000_NS6detail17trampoline_kernelINS0_14default_configENS1_32segmented_reduce_config_selectorIfEEZNS1_21segmented_reduce_implIS3_PKfPfPKlfN6hipcub16HIPCUB_304000_NS6detail27convert_result_type_wrapperIS8_S9_N2at6native12_GLOBAL__N_110CustomProdEEEEE10hipError_tPvRmT0_T1_jT2_SQ_T4_T3_P12ihipStream_tbEUlT_E_NS1_11comp_targetILNS1_3genE0ELNS1_11target_archE4294967295ELNS1_3gpuE0ELNS1_3repE0EEENS1_30default_config_static_selectorELNS0_4arch9wavefront6targetE0EEEvSP_
	.p2align	8
	.type	_ZN7rocprim17ROCPRIM_400000_NS6detail17trampoline_kernelINS0_14default_configENS1_32segmented_reduce_config_selectorIfEEZNS1_21segmented_reduce_implIS3_PKfPfPKlfN6hipcub16HIPCUB_304000_NS6detail27convert_result_type_wrapperIS8_S9_N2at6native12_GLOBAL__N_110CustomProdEEEEE10hipError_tPvRmT0_T1_jT2_SQ_T4_T3_P12ihipStream_tbEUlT_E_NS1_11comp_targetILNS1_3genE0ELNS1_11target_archE4294967295ELNS1_3gpuE0ELNS1_3repE0EEENS1_30default_config_static_selectorELNS0_4arch9wavefront6targetE0EEEvSP_,@function
_ZN7rocprim17ROCPRIM_400000_NS6detail17trampoline_kernelINS0_14default_configENS1_32segmented_reduce_config_selectorIfEEZNS1_21segmented_reduce_implIS3_PKfPfPKlfN6hipcub16HIPCUB_304000_NS6detail27convert_result_type_wrapperIS8_S9_N2at6native12_GLOBAL__N_110CustomProdEEEEE10hipError_tPvRmT0_T1_jT2_SQ_T4_T3_P12ihipStream_tbEUlT_E_NS1_11comp_targetILNS1_3genE0ELNS1_11target_archE4294967295ELNS1_3gpuE0ELNS1_3repE0EEENS1_30default_config_static_selectorELNS0_4arch9wavefront6targetE0EEEvSP_: ; @_ZN7rocprim17ROCPRIM_400000_NS6detail17trampoline_kernelINS0_14default_configENS1_32segmented_reduce_config_selectorIfEEZNS1_21segmented_reduce_implIS3_PKfPfPKlfN6hipcub16HIPCUB_304000_NS6detail27convert_result_type_wrapperIS8_S9_N2at6native12_GLOBAL__N_110CustomProdEEEEE10hipError_tPvRmT0_T1_jT2_SQ_T4_T3_P12ihipStream_tbEUlT_E_NS1_11comp_targetILNS1_3genE0ELNS1_11target_archE4294967295ELNS1_3gpuE0ELNS1_3repE0EEENS1_30default_config_static_selectorELNS0_4arch9wavefront6targetE0EEEvSP_
; %bb.0:
	.section	.rodata,"a",@progbits
	.p2align	6, 0x0
	.amdhsa_kernel _ZN7rocprim17ROCPRIM_400000_NS6detail17trampoline_kernelINS0_14default_configENS1_32segmented_reduce_config_selectorIfEEZNS1_21segmented_reduce_implIS3_PKfPfPKlfN6hipcub16HIPCUB_304000_NS6detail27convert_result_type_wrapperIS8_S9_N2at6native12_GLOBAL__N_110CustomProdEEEEE10hipError_tPvRmT0_T1_jT2_SQ_T4_T3_P12ihipStream_tbEUlT_E_NS1_11comp_targetILNS1_3genE0ELNS1_11target_archE4294967295ELNS1_3gpuE0ELNS1_3repE0EEENS1_30default_config_static_selectorELNS0_4arch9wavefront6targetE0EEEvSP_
		.amdhsa_group_segment_fixed_size 0
		.amdhsa_private_segment_fixed_size 0
		.amdhsa_kernarg_size 48
		.amdhsa_user_sgpr_count 15
		.amdhsa_user_sgpr_dispatch_ptr 0
		.amdhsa_user_sgpr_queue_ptr 0
		.amdhsa_user_sgpr_kernarg_segment_ptr 1
		.amdhsa_user_sgpr_dispatch_id 0
		.amdhsa_user_sgpr_private_segment_size 0
		.amdhsa_wavefront_size32 1
		.amdhsa_uses_dynamic_stack 0
		.amdhsa_enable_private_segment 0
		.amdhsa_system_sgpr_workgroup_id_x 1
		.amdhsa_system_sgpr_workgroup_id_y 0
		.amdhsa_system_sgpr_workgroup_id_z 0
		.amdhsa_system_sgpr_workgroup_info 0
		.amdhsa_system_vgpr_workitem_id 0
		.amdhsa_next_free_vgpr 1
		.amdhsa_next_free_sgpr 1
		.amdhsa_reserve_vcc 0
		.amdhsa_float_round_mode_32 0
		.amdhsa_float_round_mode_16_64 0
		.amdhsa_float_denorm_mode_32 3
		.amdhsa_float_denorm_mode_16_64 3
		.amdhsa_dx10_clamp 1
		.amdhsa_ieee_mode 1
		.amdhsa_fp16_overflow 0
		.amdhsa_workgroup_processor_mode 1
		.amdhsa_memory_ordered 1
		.amdhsa_forward_progress 0
		.amdhsa_shared_vgpr_count 0
		.amdhsa_exception_fp_ieee_invalid_op 0
		.amdhsa_exception_fp_denorm_src 0
		.amdhsa_exception_fp_ieee_div_zero 0
		.amdhsa_exception_fp_ieee_overflow 0
		.amdhsa_exception_fp_ieee_underflow 0
		.amdhsa_exception_fp_ieee_inexact 0
		.amdhsa_exception_int_div_zero 0
	.end_amdhsa_kernel
	.section	.text._ZN7rocprim17ROCPRIM_400000_NS6detail17trampoline_kernelINS0_14default_configENS1_32segmented_reduce_config_selectorIfEEZNS1_21segmented_reduce_implIS3_PKfPfPKlfN6hipcub16HIPCUB_304000_NS6detail27convert_result_type_wrapperIS8_S9_N2at6native12_GLOBAL__N_110CustomProdEEEEE10hipError_tPvRmT0_T1_jT2_SQ_T4_T3_P12ihipStream_tbEUlT_E_NS1_11comp_targetILNS1_3genE0ELNS1_11target_archE4294967295ELNS1_3gpuE0ELNS1_3repE0EEENS1_30default_config_static_selectorELNS0_4arch9wavefront6targetE0EEEvSP_,"axG",@progbits,_ZN7rocprim17ROCPRIM_400000_NS6detail17trampoline_kernelINS0_14default_configENS1_32segmented_reduce_config_selectorIfEEZNS1_21segmented_reduce_implIS3_PKfPfPKlfN6hipcub16HIPCUB_304000_NS6detail27convert_result_type_wrapperIS8_S9_N2at6native12_GLOBAL__N_110CustomProdEEEEE10hipError_tPvRmT0_T1_jT2_SQ_T4_T3_P12ihipStream_tbEUlT_E_NS1_11comp_targetILNS1_3genE0ELNS1_11target_archE4294967295ELNS1_3gpuE0ELNS1_3repE0EEENS1_30default_config_static_selectorELNS0_4arch9wavefront6targetE0EEEvSP_,comdat
.Lfunc_end204:
	.size	_ZN7rocprim17ROCPRIM_400000_NS6detail17trampoline_kernelINS0_14default_configENS1_32segmented_reduce_config_selectorIfEEZNS1_21segmented_reduce_implIS3_PKfPfPKlfN6hipcub16HIPCUB_304000_NS6detail27convert_result_type_wrapperIS8_S9_N2at6native12_GLOBAL__N_110CustomProdEEEEE10hipError_tPvRmT0_T1_jT2_SQ_T4_T3_P12ihipStream_tbEUlT_E_NS1_11comp_targetILNS1_3genE0ELNS1_11target_archE4294967295ELNS1_3gpuE0ELNS1_3repE0EEENS1_30default_config_static_selectorELNS0_4arch9wavefront6targetE0EEEvSP_, .Lfunc_end204-_ZN7rocprim17ROCPRIM_400000_NS6detail17trampoline_kernelINS0_14default_configENS1_32segmented_reduce_config_selectorIfEEZNS1_21segmented_reduce_implIS3_PKfPfPKlfN6hipcub16HIPCUB_304000_NS6detail27convert_result_type_wrapperIS8_S9_N2at6native12_GLOBAL__N_110CustomProdEEEEE10hipError_tPvRmT0_T1_jT2_SQ_T4_T3_P12ihipStream_tbEUlT_E_NS1_11comp_targetILNS1_3genE0ELNS1_11target_archE4294967295ELNS1_3gpuE0ELNS1_3repE0EEENS1_30default_config_static_selectorELNS0_4arch9wavefront6targetE0EEEvSP_
                                        ; -- End function
	.section	.AMDGPU.csdata,"",@progbits
; Kernel info:
; codeLenInByte = 0
; NumSgprs: 0
; NumVgprs: 0
; ScratchSize: 0
; MemoryBound: 0
; FloatMode: 240
; IeeeMode: 1
; LDSByteSize: 0 bytes/workgroup (compile time only)
; SGPRBlocks: 0
; VGPRBlocks: 0
; NumSGPRsForWavesPerEU: 1
; NumVGPRsForWavesPerEU: 1
; Occupancy: 16
; WaveLimiterHint : 0
; COMPUTE_PGM_RSRC2:SCRATCH_EN: 0
; COMPUTE_PGM_RSRC2:USER_SGPR: 15
; COMPUTE_PGM_RSRC2:TRAP_HANDLER: 0
; COMPUTE_PGM_RSRC2:TGID_X_EN: 1
; COMPUTE_PGM_RSRC2:TGID_Y_EN: 0
; COMPUTE_PGM_RSRC2:TGID_Z_EN: 0
; COMPUTE_PGM_RSRC2:TIDIG_COMP_CNT: 0
	.section	.text._ZN7rocprim17ROCPRIM_400000_NS6detail17trampoline_kernelINS0_14default_configENS1_32segmented_reduce_config_selectorIfEEZNS1_21segmented_reduce_implIS3_PKfPfPKlfN6hipcub16HIPCUB_304000_NS6detail27convert_result_type_wrapperIS8_S9_N2at6native12_GLOBAL__N_110CustomProdEEEEE10hipError_tPvRmT0_T1_jT2_SQ_T4_T3_P12ihipStream_tbEUlT_E_NS1_11comp_targetILNS1_3genE5ELNS1_11target_archE942ELNS1_3gpuE9ELNS1_3repE0EEENS1_30default_config_static_selectorELNS0_4arch9wavefront6targetE0EEEvSP_,"axG",@progbits,_ZN7rocprim17ROCPRIM_400000_NS6detail17trampoline_kernelINS0_14default_configENS1_32segmented_reduce_config_selectorIfEEZNS1_21segmented_reduce_implIS3_PKfPfPKlfN6hipcub16HIPCUB_304000_NS6detail27convert_result_type_wrapperIS8_S9_N2at6native12_GLOBAL__N_110CustomProdEEEEE10hipError_tPvRmT0_T1_jT2_SQ_T4_T3_P12ihipStream_tbEUlT_E_NS1_11comp_targetILNS1_3genE5ELNS1_11target_archE942ELNS1_3gpuE9ELNS1_3repE0EEENS1_30default_config_static_selectorELNS0_4arch9wavefront6targetE0EEEvSP_,comdat
	.globl	_ZN7rocprim17ROCPRIM_400000_NS6detail17trampoline_kernelINS0_14default_configENS1_32segmented_reduce_config_selectorIfEEZNS1_21segmented_reduce_implIS3_PKfPfPKlfN6hipcub16HIPCUB_304000_NS6detail27convert_result_type_wrapperIS8_S9_N2at6native12_GLOBAL__N_110CustomProdEEEEE10hipError_tPvRmT0_T1_jT2_SQ_T4_T3_P12ihipStream_tbEUlT_E_NS1_11comp_targetILNS1_3genE5ELNS1_11target_archE942ELNS1_3gpuE9ELNS1_3repE0EEENS1_30default_config_static_selectorELNS0_4arch9wavefront6targetE0EEEvSP_ ; -- Begin function _ZN7rocprim17ROCPRIM_400000_NS6detail17trampoline_kernelINS0_14default_configENS1_32segmented_reduce_config_selectorIfEEZNS1_21segmented_reduce_implIS3_PKfPfPKlfN6hipcub16HIPCUB_304000_NS6detail27convert_result_type_wrapperIS8_S9_N2at6native12_GLOBAL__N_110CustomProdEEEEE10hipError_tPvRmT0_T1_jT2_SQ_T4_T3_P12ihipStream_tbEUlT_E_NS1_11comp_targetILNS1_3genE5ELNS1_11target_archE942ELNS1_3gpuE9ELNS1_3repE0EEENS1_30default_config_static_selectorELNS0_4arch9wavefront6targetE0EEEvSP_
	.p2align	8
	.type	_ZN7rocprim17ROCPRIM_400000_NS6detail17trampoline_kernelINS0_14default_configENS1_32segmented_reduce_config_selectorIfEEZNS1_21segmented_reduce_implIS3_PKfPfPKlfN6hipcub16HIPCUB_304000_NS6detail27convert_result_type_wrapperIS8_S9_N2at6native12_GLOBAL__N_110CustomProdEEEEE10hipError_tPvRmT0_T1_jT2_SQ_T4_T3_P12ihipStream_tbEUlT_E_NS1_11comp_targetILNS1_3genE5ELNS1_11target_archE942ELNS1_3gpuE9ELNS1_3repE0EEENS1_30default_config_static_selectorELNS0_4arch9wavefront6targetE0EEEvSP_,@function
_ZN7rocprim17ROCPRIM_400000_NS6detail17trampoline_kernelINS0_14default_configENS1_32segmented_reduce_config_selectorIfEEZNS1_21segmented_reduce_implIS3_PKfPfPKlfN6hipcub16HIPCUB_304000_NS6detail27convert_result_type_wrapperIS8_S9_N2at6native12_GLOBAL__N_110CustomProdEEEEE10hipError_tPvRmT0_T1_jT2_SQ_T4_T3_P12ihipStream_tbEUlT_E_NS1_11comp_targetILNS1_3genE5ELNS1_11target_archE942ELNS1_3gpuE9ELNS1_3repE0EEENS1_30default_config_static_selectorELNS0_4arch9wavefront6targetE0EEEvSP_: ; @_ZN7rocprim17ROCPRIM_400000_NS6detail17trampoline_kernelINS0_14default_configENS1_32segmented_reduce_config_selectorIfEEZNS1_21segmented_reduce_implIS3_PKfPfPKlfN6hipcub16HIPCUB_304000_NS6detail27convert_result_type_wrapperIS8_S9_N2at6native12_GLOBAL__N_110CustomProdEEEEE10hipError_tPvRmT0_T1_jT2_SQ_T4_T3_P12ihipStream_tbEUlT_E_NS1_11comp_targetILNS1_3genE5ELNS1_11target_archE942ELNS1_3gpuE9ELNS1_3repE0EEENS1_30default_config_static_selectorELNS0_4arch9wavefront6targetE0EEEvSP_
; %bb.0:
	.section	.rodata,"a",@progbits
	.p2align	6, 0x0
	.amdhsa_kernel _ZN7rocprim17ROCPRIM_400000_NS6detail17trampoline_kernelINS0_14default_configENS1_32segmented_reduce_config_selectorIfEEZNS1_21segmented_reduce_implIS3_PKfPfPKlfN6hipcub16HIPCUB_304000_NS6detail27convert_result_type_wrapperIS8_S9_N2at6native12_GLOBAL__N_110CustomProdEEEEE10hipError_tPvRmT0_T1_jT2_SQ_T4_T3_P12ihipStream_tbEUlT_E_NS1_11comp_targetILNS1_3genE5ELNS1_11target_archE942ELNS1_3gpuE9ELNS1_3repE0EEENS1_30default_config_static_selectorELNS0_4arch9wavefront6targetE0EEEvSP_
		.amdhsa_group_segment_fixed_size 0
		.amdhsa_private_segment_fixed_size 0
		.amdhsa_kernarg_size 48
		.amdhsa_user_sgpr_count 15
		.amdhsa_user_sgpr_dispatch_ptr 0
		.amdhsa_user_sgpr_queue_ptr 0
		.amdhsa_user_sgpr_kernarg_segment_ptr 1
		.amdhsa_user_sgpr_dispatch_id 0
		.amdhsa_user_sgpr_private_segment_size 0
		.amdhsa_wavefront_size32 1
		.amdhsa_uses_dynamic_stack 0
		.amdhsa_enable_private_segment 0
		.amdhsa_system_sgpr_workgroup_id_x 1
		.amdhsa_system_sgpr_workgroup_id_y 0
		.amdhsa_system_sgpr_workgroup_id_z 0
		.amdhsa_system_sgpr_workgroup_info 0
		.amdhsa_system_vgpr_workitem_id 0
		.amdhsa_next_free_vgpr 1
		.amdhsa_next_free_sgpr 1
		.amdhsa_reserve_vcc 0
		.amdhsa_float_round_mode_32 0
		.amdhsa_float_round_mode_16_64 0
		.amdhsa_float_denorm_mode_32 3
		.amdhsa_float_denorm_mode_16_64 3
		.amdhsa_dx10_clamp 1
		.amdhsa_ieee_mode 1
		.amdhsa_fp16_overflow 0
		.amdhsa_workgroup_processor_mode 1
		.amdhsa_memory_ordered 1
		.amdhsa_forward_progress 0
		.amdhsa_shared_vgpr_count 0
		.amdhsa_exception_fp_ieee_invalid_op 0
		.amdhsa_exception_fp_denorm_src 0
		.amdhsa_exception_fp_ieee_div_zero 0
		.amdhsa_exception_fp_ieee_overflow 0
		.amdhsa_exception_fp_ieee_underflow 0
		.amdhsa_exception_fp_ieee_inexact 0
		.amdhsa_exception_int_div_zero 0
	.end_amdhsa_kernel
	.section	.text._ZN7rocprim17ROCPRIM_400000_NS6detail17trampoline_kernelINS0_14default_configENS1_32segmented_reduce_config_selectorIfEEZNS1_21segmented_reduce_implIS3_PKfPfPKlfN6hipcub16HIPCUB_304000_NS6detail27convert_result_type_wrapperIS8_S9_N2at6native12_GLOBAL__N_110CustomProdEEEEE10hipError_tPvRmT0_T1_jT2_SQ_T4_T3_P12ihipStream_tbEUlT_E_NS1_11comp_targetILNS1_3genE5ELNS1_11target_archE942ELNS1_3gpuE9ELNS1_3repE0EEENS1_30default_config_static_selectorELNS0_4arch9wavefront6targetE0EEEvSP_,"axG",@progbits,_ZN7rocprim17ROCPRIM_400000_NS6detail17trampoline_kernelINS0_14default_configENS1_32segmented_reduce_config_selectorIfEEZNS1_21segmented_reduce_implIS3_PKfPfPKlfN6hipcub16HIPCUB_304000_NS6detail27convert_result_type_wrapperIS8_S9_N2at6native12_GLOBAL__N_110CustomProdEEEEE10hipError_tPvRmT0_T1_jT2_SQ_T4_T3_P12ihipStream_tbEUlT_E_NS1_11comp_targetILNS1_3genE5ELNS1_11target_archE942ELNS1_3gpuE9ELNS1_3repE0EEENS1_30default_config_static_selectorELNS0_4arch9wavefront6targetE0EEEvSP_,comdat
.Lfunc_end205:
	.size	_ZN7rocprim17ROCPRIM_400000_NS6detail17trampoline_kernelINS0_14default_configENS1_32segmented_reduce_config_selectorIfEEZNS1_21segmented_reduce_implIS3_PKfPfPKlfN6hipcub16HIPCUB_304000_NS6detail27convert_result_type_wrapperIS8_S9_N2at6native12_GLOBAL__N_110CustomProdEEEEE10hipError_tPvRmT0_T1_jT2_SQ_T4_T3_P12ihipStream_tbEUlT_E_NS1_11comp_targetILNS1_3genE5ELNS1_11target_archE942ELNS1_3gpuE9ELNS1_3repE0EEENS1_30default_config_static_selectorELNS0_4arch9wavefront6targetE0EEEvSP_, .Lfunc_end205-_ZN7rocprim17ROCPRIM_400000_NS6detail17trampoline_kernelINS0_14default_configENS1_32segmented_reduce_config_selectorIfEEZNS1_21segmented_reduce_implIS3_PKfPfPKlfN6hipcub16HIPCUB_304000_NS6detail27convert_result_type_wrapperIS8_S9_N2at6native12_GLOBAL__N_110CustomProdEEEEE10hipError_tPvRmT0_T1_jT2_SQ_T4_T3_P12ihipStream_tbEUlT_E_NS1_11comp_targetILNS1_3genE5ELNS1_11target_archE942ELNS1_3gpuE9ELNS1_3repE0EEENS1_30default_config_static_selectorELNS0_4arch9wavefront6targetE0EEEvSP_
                                        ; -- End function
	.section	.AMDGPU.csdata,"",@progbits
; Kernel info:
; codeLenInByte = 0
; NumSgprs: 0
; NumVgprs: 0
; ScratchSize: 0
; MemoryBound: 0
; FloatMode: 240
; IeeeMode: 1
; LDSByteSize: 0 bytes/workgroup (compile time only)
; SGPRBlocks: 0
; VGPRBlocks: 0
; NumSGPRsForWavesPerEU: 1
; NumVGPRsForWavesPerEU: 1
; Occupancy: 16
; WaveLimiterHint : 0
; COMPUTE_PGM_RSRC2:SCRATCH_EN: 0
; COMPUTE_PGM_RSRC2:USER_SGPR: 15
; COMPUTE_PGM_RSRC2:TRAP_HANDLER: 0
; COMPUTE_PGM_RSRC2:TGID_X_EN: 1
; COMPUTE_PGM_RSRC2:TGID_Y_EN: 0
; COMPUTE_PGM_RSRC2:TGID_Z_EN: 0
; COMPUTE_PGM_RSRC2:TIDIG_COMP_CNT: 0
	.section	.text._ZN7rocprim17ROCPRIM_400000_NS6detail17trampoline_kernelINS0_14default_configENS1_32segmented_reduce_config_selectorIfEEZNS1_21segmented_reduce_implIS3_PKfPfPKlfN6hipcub16HIPCUB_304000_NS6detail27convert_result_type_wrapperIS8_S9_N2at6native12_GLOBAL__N_110CustomProdEEEEE10hipError_tPvRmT0_T1_jT2_SQ_T4_T3_P12ihipStream_tbEUlT_E_NS1_11comp_targetILNS1_3genE10ELNS1_11target_archE1201ELNS1_3gpuE5ELNS1_3repE0EEENS1_30default_config_static_selectorELNS0_4arch9wavefront6targetE0EEEvSP_,"axG",@progbits,_ZN7rocprim17ROCPRIM_400000_NS6detail17trampoline_kernelINS0_14default_configENS1_32segmented_reduce_config_selectorIfEEZNS1_21segmented_reduce_implIS3_PKfPfPKlfN6hipcub16HIPCUB_304000_NS6detail27convert_result_type_wrapperIS8_S9_N2at6native12_GLOBAL__N_110CustomProdEEEEE10hipError_tPvRmT0_T1_jT2_SQ_T4_T3_P12ihipStream_tbEUlT_E_NS1_11comp_targetILNS1_3genE10ELNS1_11target_archE1201ELNS1_3gpuE5ELNS1_3repE0EEENS1_30default_config_static_selectorELNS0_4arch9wavefront6targetE0EEEvSP_,comdat
	.globl	_ZN7rocprim17ROCPRIM_400000_NS6detail17trampoline_kernelINS0_14default_configENS1_32segmented_reduce_config_selectorIfEEZNS1_21segmented_reduce_implIS3_PKfPfPKlfN6hipcub16HIPCUB_304000_NS6detail27convert_result_type_wrapperIS8_S9_N2at6native12_GLOBAL__N_110CustomProdEEEEE10hipError_tPvRmT0_T1_jT2_SQ_T4_T3_P12ihipStream_tbEUlT_E_NS1_11comp_targetILNS1_3genE10ELNS1_11target_archE1201ELNS1_3gpuE5ELNS1_3repE0EEENS1_30default_config_static_selectorELNS0_4arch9wavefront6targetE0EEEvSP_ ; -- Begin function _ZN7rocprim17ROCPRIM_400000_NS6detail17trampoline_kernelINS0_14default_configENS1_32segmented_reduce_config_selectorIfEEZNS1_21segmented_reduce_implIS3_PKfPfPKlfN6hipcub16HIPCUB_304000_NS6detail27convert_result_type_wrapperIS8_S9_N2at6native12_GLOBAL__N_110CustomProdEEEEE10hipError_tPvRmT0_T1_jT2_SQ_T4_T3_P12ihipStream_tbEUlT_E_NS1_11comp_targetILNS1_3genE10ELNS1_11target_archE1201ELNS1_3gpuE5ELNS1_3repE0EEENS1_30default_config_static_selectorELNS0_4arch9wavefront6targetE0EEEvSP_
	.p2align	8
	.type	_ZN7rocprim17ROCPRIM_400000_NS6detail17trampoline_kernelINS0_14default_configENS1_32segmented_reduce_config_selectorIfEEZNS1_21segmented_reduce_implIS3_PKfPfPKlfN6hipcub16HIPCUB_304000_NS6detail27convert_result_type_wrapperIS8_S9_N2at6native12_GLOBAL__N_110CustomProdEEEEE10hipError_tPvRmT0_T1_jT2_SQ_T4_T3_P12ihipStream_tbEUlT_E_NS1_11comp_targetILNS1_3genE10ELNS1_11target_archE1201ELNS1_3gpuE5ELNS1_3repE0EEENS1_30default_config_static_selectorELNS0_4arch9wavefront6targetE0EEEvSP_,@function
_ZN7rocprim17ROCPRIM_400000_NS6detail17trampoline_kernelINS0_14default_configENS1_32segmented_reduce_config_selectorIfEEZNS1_21segmented_reduce_implIS3_PKfPfPKlfN6hipcub16HIPCUB_304000_NS6detail27convert_result_type_wrapperIS8_S9_N2at6native12_GLOBAL__N_110CustomProdEEEEE10hipError_tPvRmT0_T1_jT2_SQ_T4_T3_P12ihipStream_tbEUlT_E_NS1_11comp_targetILNS1_3genE10ELNS1_11target_archE1201ELNS1_3gpuE5ELNS1_3repE0EEENS1_30default_config_static_selectorELNS0_4arch9wavefront6targetE0EEEvSP_: ; @_ZN7rocprim17ROCPRIM_400000_NS6detail17trampoline_kernelINS0_14default_configENS1_32segmented_reduce_config_selectorIfEEZNS1_21segmented_reduce_implIS3_PKfPfPKlfN6hipcub16HIPCUB_304000_NS6detail27convert_result_type_wrapperIS8_S9_N2at6native12_GLOBAL__N_110CustomProdEEEEE10hipError_tPvRmT0_T1_jT2_SQ_T4_T3_P12ihipStream_tbEUlT_E_NS1_11comp_targetILNS1_3genE10ELNS1_11target_archE1201ELNS1_3gpuE5ELNS1_3repE0EEENS1_30default_config_static_selectorELNS0_4arch9wavefront6targetE0EEEvSP_
; %bb.0:
	.section	.rodata,"a",@progbits
	.p2align	6, 0x0
	.amdhsa_kernel _ZN7rocprim17ROCPRIM_400000_NS6detail17trampoline_kernelINS0_14default_configENS1_32segmented_reduce_config_selectorIfEEZNS1_21segmented_reduce_implIS3_PKfPfPKlfN6hipcub16HIPCUB_304000_NS6detail27convert_result_type_wrapperIS8_S9_N2at6native12_GLOBAL__N_110CustomProdEEEEE10hipError_tPvRmT0_T1_jT2_SQ_T4_T3_P12ihipStream_tbEUlT_E_NS1_11comp_targetILNS1_3genE10ELNS1_11target_archE1201ELNS1_3gpuE5ELNS1_3repE0EEENS1_30default_config_static_selectorELNS0_4arch9wavefront6targetE0EEEvSP_
		.amdhsa_group_segment_fixed_size 0
		.amdhsa_private_segment_fixed_size 0
		.amdhsa_kernarg_size 48
		.amdhsa_user_sgpr_count 15
		.amdhsa_user_sgpr_dispatch_ptr 0
		.amdhsa_user_sgpr_queue_ptr 0
		.amdhsa_user_sgpr_kernarg_segment_ptr 1
		.amdhsa_user_sgpr_dispatch_id 0
		.amdhsa_user_sgpr_private_segment_size 0
		.amdhsa_wavefront_size32 1
		.amdhsa_uses_dynamic_stack 0
		.amdhsa_enable_private_segment 0
		.amdhsa_system_sgpr_workgroup_id_x 1
		.amdhsa_system_sgpr_workgroup_id_y 0
		.amdhsa_system_sgpr_workgroup_id_z 0
		.amdhsa_system_sgpr_workgroup_info 0
		.amdhsa_system_vgpr_workitem_id 0
		.amdhsa_next_free_vgpr 1
		.amdhsa_next_free_sgpr 1
		.amdhsa_reserve_vcc 0
		.amdhsa_float_round_mode_32 0
		.amdhsa_float_round_mode_16_64 0
		.amdhsa_float_denorm_mode_32 3
		.amdhsa_float_denorm_mode_16_64 3
		.amdhsa_dx10_clamp 1
		.amdhsa_ieee_mode 1
		.amdhsa_fp16_overflow 0
		.amdhsa_workgroup_processor_mode 1
		.amdhsa_memory_ordered 1
		.amdhsa_forward_progress 0
		.amdhsa_shared_vgpr_count 0
		.amdhsa_exception_fp_ieee_invalid_op 0
		.amdhsa_exception_fp_denorm_src 0
		.amdhsa_exception_fp_ieee_div_zero 0
		.amdhsa_exception_fp_ieee_overflow 0
		.amdhsa_exception_fp_ieee_underflow 0
		.amdhsa_exception_fp_ieee_inexact 0
		.amdhsa_exception_int_div_zero 0
	.end_amdhsa_kernel
	.section	.text._ZN7rocprim17ROCPRIM_400000_NS6detail17trampoline_kernelINS0_14default_configENS1_32segmented_reduce_config_selectorIfEEZNS1_21segmented_reduce_implIS3_PKfPfPKlfN6hipcub16HIPCUB_304000_NS6detail27convert_result_type_wrapperIS8_S9_N2at6native12_GLOBAL__N_110CustomProdEEEEE10hipError_tPvRmT0_T1_jT2_SQ_T4_T3_P12ihipStream_tbEUlT_E_NS1_11comp_targetILNS1_3genE10ELNS1_11target_archE1201ELNS1_3gpuE5ELNS1_3repE0EEENS1_30default_config_static_selectorELNS0_4arch9wavefront6targetE0EEEvSP_,"axG",@progbits,_ZN7rocprim17ROCPRIM_400000_NS6detail17trampoline_kernelINS0_14default_configENS1_32segmented_reduce_config_selectorIfEEZNS1_21segmented_reduce_implIS3_PKfPfPKlfN6hipcub16HIPCUB_304000_NS6detail27convert_result_type_wrapperIS8_S9_N2at6native12_GLOBAL__N_110CustomProdEEEEE10hipError_tPvRmT0_T1_jT2_SQ_T4_T3_P12ihipStream_tbEUlT_E_NS1_11comp_targetILNS1_3genE10ELNS1_11target_archE1201ELNS1_3gpuE5ELNS1_3repE0EEENS1_30default_config_static_selectorELNS0_4arch9wavefront6targetE0EEEvSP_,comdat
.Lfunc_end206:
	.size	_ZN7rocprim17ROCPRIM_400000_NS6detail17trampoline_kernelINS0_14default_configENS1_32segmented_reduce_config_selectorIfEEZNS1_21segmented_reduce_implIS3_PKfPfPKlfN6hipcub16HIPCUB_304000_NS6detail27convert_result_type_wrapperIS8_S9_N2at6native12_GLOBAL__N_110CustomProdEEEEE10hipError_tPvRmT0_T1_jT2_SQ_T4_T3_P12ihipStream_tbEUlT_E_NS1_11comp_targetILNS1_3genE10ELNS1_11target_archE1201ELNS1_3gpuE5ELNS1_3repE0EEENS1_30default_config_static_selectorELNS0_4arch9wavefront6targetE0EEEvSP_, .Lfunc_end206-_ZN7rocprim17ROCPRIM_400000_NS6detail17trampoline_kernelINS0_14default_configENS1_32segmented_reduce_config_selectorIfEEZNS1_21segmented_reduce_implIS3_PKfPfPKlfN6hipcub16HIPCUB_304000_NS6detail27convert_result_type_wrapperIS8_S9_N2at6native12_GLOBAL__N_110CustomProdEEEEE10hipError_tPvRmT0_T1_jT2_SQ_T4_T3_P12ihipStream_tbEUlT_E_NS1_11comp_targetILNS1_3genE10ELNS1_11target_archE1201ELNS1_3gpuE5ELNS1_3repE0EEENS1_30default_config_static_selectorELNS0_4arch9wavefront6targetE0EEEvSP_
                                        ; -- End function
	.section	.AMDGPU.csdata,"",@progbits
; Kernel info:
; codeLenInByte = 0
; NumSgprs: 0
; NumVgprs: 0
; ScratchSize: 0
; MemoryBound: 0
; FloatMode: 240
; IeeeMode: 1
; LDSByteSize: 0 bytes/workgroup (compile time only)
; SGPRBlocks: 0
; VGPRBlocks: 0
; NumSGPRsForWavesPerEU: 1
; NumVGPRsForWavesPerEU: 1
; Occupancy: 16
; WaveLimiterHint : 0
; COMPUTE_PGM_RSRC2:SCRATCH_EN: 0
; COMPUTE_PGM_RSRC2:USER_SGPR: 15
; COMPUTE_PGM_RSRC2:TRAP_HANDLER: 0
; COMPUTE_PGM_RSRC2:TGID_X_EN: 1
; COMPUTE_PGM_RSRC2:TGID_Y_EN: 0
; COMPUTE_PGM_RSRC2:TGID_Z_EN: 0
; COMPUTE_PGM_RSRC2:TIDIG_COMP_CNT: 0
	.section	.text._ZN7rocprim17ROCPRIM_400000_NS6detail17trampoline_kernelINS0_14default_configENS1_32segmented_reduce_config_selectorIfEEZNS1_21segmented_reduce_implIS3_PKfPfPKlfN6hipcub16HIPCUB_304000_NS6detail27convert_result_type_wrapperIS8_S9_N2at6native12_GLOBAL__N_110CustomProdEEEEE10hipError_tPvRmT0_T1_jT2_SQ_T4_T3_P12ihipStream_tbEUlT_E_NS1_11comp_targetILNS1_3genE4ELNS1_11target_archE910ELNS1_3gpuE8ELNS1_3repE0EEENS1_30default_config_static_selectorELNS0_4arch9wavefront6targetE0EEEvSP_,"axG",@progbits,_ZN7rocprim17ROCPRIM_400000_NS6detail17trampoline_kernelINS0_14default_configENS1_32segmented_reduce_config_selectorIfEEZNS1_21segmented_reduce_implIS3_PKfPfPKlfN6hipcub16HIPCUB_304000_NS6detail27convert_result_type_wrapperIS8_S9_N2at6native12_GLOBAL__N_110CustomProdEEEEE10hipError_tPvRmT0_T1_jT2_SQ_T4_T3_P12ihipStream_tbEUlT_E_NS1_11comp_targetILNS1_3genE4ELNS1_11target_archE910ELNS1_3gpuE8ELNS1_3repE0EEENS1_30default_config_static_selectorELNS0_4arch9wavefront6targetE0EEEvSP_,comdat
	.globl	_ZN7rocprim17ROCPRIM_400000_NS6detail17trampoline_kernelINS0_14default_configENS1_32segmented_reduce_config_selectorIfEEZNS1_21segmented_reduce_implIS3_PKfPfPKlfN6hipcub16HIPCUB_304000_NS6detail27convert_result_type_wrapperIS8_S9_N2at6native12_GLOBAL__N_110CustomProdEEEEE10hipError_tPvRmT0_T1_jT2_SQ_T4_T3_P12ihipStream_tbEUlT_E_NS1_11comp_targetILNS1_3genE4ELNS1_11target_archE910ELNS1_3gpuE8ELNS1_3repE0EEENS1_30default_config_static_selectorELNS0_4arch9wavefront6targetE0EEEvSP_ ; -- Begin function _ZN7rocprim17ROCPRIM_400000_NS6detail17trampoline_kernelINS0_14default_configENS1_32segmented_reduce_config_selectorIfEEZNS1_21segmented_reduce_implIS3_PKfPfPKlfN6hipcub16HIPCUB_304000_NS6detail27convert_result_type_wrapperIS8_S9_N2at6native12_GLOBAL__N_110CustomProdEEEEE10hipError_tPvRmT0_T1_jT2_SQ_T4_T3_P12ihipStream_tbEUlT_E_NS1_11comp_targetILNS1_3genE4ELNS1_11target_archE910ELNS1_3gpuE8ELNS1_3repE0EEENS1_30default_config_static_selectorELNS0_4arch9wavefront6targetE0EEEvSP_
	.p2align	8
	.type	_ZN7rocprim17ROCPRIM_400000_NS6detail17trampoline_kernelINS0_14default_configENS1_32segmented_reduce_config_selectorIfEEZNS1_21segmented_reduce_implIS3_PKfPfPKlfN6hipcub16HIPCUB_304000_NS6detail27convert_result_type_wrapperIS8_S9_N2at6native12_GLOBAL__N_110CustomProdEEEEE10hipError_tPvRmT0_T1_jT2_SQ_T4_T3_P12ihipStream_tbEUlT_E_NS1_11comp_targetILNS1_3genE4ELNS1_11target_archE910ELNS1_3gpuE8ELNS1_3repE0EEENS1_30default_config_static_selectorELNS0_4arch9wavefront6targetE0EEEvSP_,@function
_ZN7rocprim17ROCPRIM_400000_NS6detail17trampoline_kernelINS0_14default_configENS1_32segmented_reduce_config_selectorIfEEZNS1_21segmented_reduce_implIS3_PKfPfPKlfN6hipcub16HIPCUB_304000_NS6detail27convert_result_type_wrapperIS8_S9_N2at6native12_GLOBAL__N_110CustomProdEEEEE10hipError_tPvRmT0_T1_jT2_SQ_T4_T3_P12ihipStream_tbEUlT_E_NS1_11comp_targetILNS1_3genE4ELNS1_11target_archE910ELNS1_3gpuE8ELNS1_3repE0EEENS1_30default_config_static_selectorELNS0_4arch9wavefront6targetE0EEEvSP_: ; @_ZN7rocprim17ROCPRIM_400000_NS6detail17trampoline_kernelINS0_14default_configENS1_32segmented_reduce_config_selectorIfEEZNS1_21segmented_reduce_implIS3_PKfPfPKlfN6hipcub16HIPCUB_304000_NS6detail27convert_result_type_wrapperIS8_S9_N2at6native12_GLOBAL__N_110CustomProdEEEEE10hipError_tPvRmT0_T1_jT2_SQ_T4_T3_P12ihipStream_tbEUlT_E_NS1_11comp_targetILNS1_3genE4ELNS1_11target_archE910ELNS1_3gpuE8ELNS1_3repE0EEENS1_30default_config_static_selectorELNS0_4arch9wavefront6targetE0EEEvSP_
; %bb.0:
	.section	.rodata,"a",@progbits
	.p2align	6, 0x0
	.amdhsa_kernel _ZN7rocprim17ROCPRIM_400000_NS6detail17trampoline_kernelINS0_14default_configENS1_32segmented_reduce_config_selectorIfEEZNS1_21segmented_reduce_implIS3_PKfPfPKlfN6hipcub16HIPCUB_304000_NS6detail27convert_result_type_wrapperIS8_S9_N2at6native12_GLOBAL__N_110CustomProdEEEEE10hipError_tPvRmT0_T1_jT2_SQ_T4_T3_P12ihipStream_tbEUlT_E_NS1_11comp_targetILNS1_3genE4ELNS1_11target_archE910ELNS1_3gpuE8ELNS1_3repE0EEENS1_30default_config_static_selectorELNS0_4arch9wavefront6targetE0EEEvSP_
		.amdhsa_group_segment_fixed_size 0
		.amdhsa_private_segment_fixed_size 0
		.amdhsa_kernarg_size 48
		.amdhsa_user_sgpr_count 15
		.amdhsa_user_sgpr_dispatch_ptr 0
		.amdhsa_user_sgpr_queue_ptr 0
		.amdhsa_user_sgpr_kernarg_segment_ptr 1
		.amdhsa_user_sgpr_dispatch_id 0
		.amdhsa_user_sgpr_private_segment_size 0
		.amdhsa_wavefront_size32 1
		.amdhsa_uses_dynamic_stack 0
		.amdhsa_enable_private_segment 0
		.amdhsa_system_sgpr_workgroup_id_x 1
		.amdhsa_system_sgpr_workgroup_id_y 0
		.amdhsa_system_sgpr_workgroup_id_z 0
		.amdhsa_system_sgpr_workgroup_info 0
		.amdhsa_system_vgpr_workitem_id 0
		.amdhsa_next_free_vgpr 1
		.amdhsa_next_free_sgpr 1
		.amdhsa_reserve_vcc 0
		.amdhsa_float_round_mode_32 0
		.amdhsa_float_round_mode_16_64 0
		.amdhsa_float_denorm_mode_32 3
		.amdhsa_float_denorm_mode_16_64 3
		.amdhsa_dx10_clamp 1
		.amdhsa_ieee_mode 1
		.amdhsa_fp16_overflow 0
		.amdhsa_workgroup_processor_mode 1
		.amdhsa_memory_ordered 1
		.amdhsa_forward_progress 0
		.amdhsa_shared_vgpr_count 0
		.amdhsa_exception_fp_ieee_invalid_op 0
		.amdhsa_exception_fp_denorm_src 0
		.amdhsa_exception_fp_ieee_div_zero 0
		.amdhsa_exception_fp_ieee_overflow 0
		.amdhsa_exception_fp_ieee_underflow 0
		.amdhsa_exception_fp_ieee_inexact 0
		.amdhsa_exception_int_div_zero 0
	.end_amdhsa_kernel
	.section	.text._ZN7rocprim17ROCPRIM_400000_NS6detail17trampoline_kernelINS0_14default_configENS1_32segmented_reduce_config_selectorIfEEZNS1_21segmented_reduce_implIS3_PKfPfPKlfN6hipcub16HIPCUB_304000_NS6detail27convert_result_type_wrapperIS8_S9_N2at6native12_GLOBAL__N_110CustomProdEEEEE10hipError_tPvRmT0_T1_jT2_SQ_T4_T3_P12ihipStream_tbEUlT_E_NS1_11comp_targetILNS1_3genE4ELNS1_11target_archE910ELNS1_3gpuE8ELNS1_3repE0EEENS1_30default_config_static_selectorELNS0_4arch9wavefront6targetE0EEEvSP_,"axG",@progbits,_ZN7rocprim17ROCPRIM_400000_NS6detail17trampoline_kernelINS0_14default_configENS1_32segmented_reduce_config_selectorIfEEZNS1_21segmented_reduce_implIS3_PKfPfPKlfN6hipcub16HIPCUB_304000_NS6detail27convert_result_type_wrapperIS8_S9_N2at6native12_GLOBAL__N_110CustomProdEEEEE10hipError_tPvRmT0_T1_jT2_SQ_T4_T3_P12ihipStream_tbEUlT_E_NS1_11comp_targetILNS1_3genE4ELNS1_11target_archE910ELNS1_3gpuE8ELNS1_3repE0EEENS1_30default_config_static_selectorELNS0_4arch9wavefront6targetE0EEEvSP_,comdat
.Lfunc_end207:
	.size	_ZN7rocprim17ROCPRIM_400000_NS6detail17trampoline_kernelINS0_14default_configENS1_32segmented_reduce_config_selectorIfEEZNS1_21segmented_reduce_implIS3_PKfPfPKlfN6hipcub16HIPCUB_304000_NS6detail27convert_result_type_wrapperIS8_S9_N2at6native12_GLOBAL__N_110CustomProdEEEEE10hipError_tPvRmT0_T1_jT2_SQ_T4_T3_P12ihipStream_tbEUlT_E_NS1_11comp_targetILNS1_3genE4ELNS1_11target_archE910ELNS1_3gpuE8ELNS1_3repE0EEENS1_30default_config_static_selectorELNS0_4arch9wavefront6targetE0EEEvSP_, .Lfunc_end207-_ZN7rocprim17ROCPRIM_400000_NS6detail17trampoline_kernelINS0_14default_configENS1_32segmented_reduce_config_selectorIfEEZNS1_21segmented_reduce_implIS3_PKfPfPKlfN6hipcub16HIPCUB_304000_NS6detail27convert_result_type_wrapperIS8_S9_N2at6native12_GLOBAL__N_110CustomProdEEEEE10hipError_tPvRmT0_T1_jT2_SQ_T4_T3_P12ihipStream_tbEUlT_E_NS1_11comp_targetILNS1_3genE4ELNS1_11target_archE910ELNS1_3gpuE8ELNS1_3repE0EEENS1_30default_config_static_selectorELNS0_4arch9wavefront6targetE0EEEvSP_
                                        ; -- End function
	.section	.AMDGPU.csdata,"",@progbits
; Kernel info:
; codeLenInByte = 0
; NumSgprs: 0
; NumVgprs: 0
; ScratchSize: 0
; MemoryBound: 0
; FloatMode: 240
; IeeeMode: 1
; LDSByteSize: 0 bytes/workgroup (compile time only)
; SGPRBlocks: 0
; VGPRBlocks: 0
; NumSGPRsForWavesPerEU: 1
; NumVGPRsForWavesPerEU: 1
; Occupancy: 16
; WaveLimiterHint : 0
; COMPUTE_PGM_RSRC2:SCRATCH_EN: 0
; COMPUTE_PGM_RSRC2:USER_SGPR: 15
; COMPUTE_PGM_RSRC2:TRAP_HANDLER: 0
; COMPUTE_PGM_RSRC2:TGID_X_EN: 1
; COMPUTE_PGM_RSRC2:TGID_Y_EN: 0
; COMPUTE_PGM_RSRC2:TGID_Z_EN: 0
; COMPUTE_PGM_RSRC2:TIDIG_COMP_CNT: 0
	.section	.text._ZN7rocprim17ROCPRIM_400000_NS6detail17trampoline_kernelINS0_14default_configENS1_32segmented_reduce_config_selectorIfEEZNS1_21segmented_reduce_implIS3_PKfPfPKlfN6hipcub16HIPCUB_304000_NS6detail27convert_result_type_wrapperIS8_S9_N2at6native12_GLOBAL__N_110CustomProdEEEEE10hipError_tPvRmT0_T1_jT2_SQ_T4_T3_P12ihipStream_tbEUlT_E_NS1_11comp_targetILNS1_3genE3ELNS1_11target_archE908ELNS1_3gpuE7ELNS1_3repE0EEENS1_30default_config_static_selectorELNS0_4arch9wavefront6targetE0EEEvSP_,"axG",@progbits,_ZN7rocprim17ROCPRIM_400000_NS6detail17trampoline_kernelINS0_14default_configENS1_32segmented_reduce_config_selectorIfEEZNS1_21segmented_reduce_implIS3_PKfPfPKlfN6hipcub16HIPCUB_304000_NS6detail27convert_result_type_wrapperIS8_S9_N2at6native12_GLOBAL__N_110CustomProdEEEEE10hipError_tPvRmT0_T1_jT2_SQ_T4_T3_P12ihipStream_tbEUlT_E_NS1_11comp_targetILNS1_3genE3ELNS1_11target_archE908ELNS1_3gpuE7ELNS1_3repE0EEENS1_30default_config_static_selectorELNS0_4arch9wavefront6targetE0EEEvSP_,comdat
	.globl	_ZN7rocprim17ROCPRIM_400000_NS6detail17trampoline_kernelINS0_14default_configENS1_32segmented_reduce_config_selectorIfEEZNS1_21segmented_reduce_implIS3_PKfPfPKlfN6hipcub16HIPCUB_304000_NS6detail27convert_result_type_wrapperIS8_S9_N2at6native12_GLOBAL__N_110CustomProdEEEEE10hipError_tPvRmT0_T1_jT2_SQ_T4_T3_P12ihipStream_tbEUlT_E_NS1_11comp_targetILNS1_3genE3ELNS1_11target_archE908ELNS1_3gpuE7ELNS1_3repE0EEENS1_30default_config_static_selectorELNS0_4arch9wavefront6targetE0EEEvSP_ ; -- Begin function _ZN7rocprim17ROCPRIM_400000_NS6detail17trampoline_kernelINS0_14default_configENS1_32segmented_reduce_config_selectorIfEEZNS1_21segmented_reduce_implIS3_PKfPfPKlfN6hipcub16HIPCUB_304000_NS6detail27convert_result_type_wrapperIS8_S9_N2at6native12_GLOBAL__N_110CustomProdEEEEE10hipError_tPvRmT0_T1_jT2_SQ_T4_T3_P12ihipStream_tbEUlT_E_NS1_11comp_targetILNS1_3genE3ELNS1_11target_archE908ELNS1_3gpuE7ELNS1_3repE0EEENS1_30default_config_static_selectorELNS0_4arch9wavefront6targetE0EEEvSP_
	.p2align	8
	.type	_ZN7rocprim17ROCPRIM_400000_NS6detail17trampoline_kernelINS0_14default_configENS1_32segmented_reduce_config_selectorIfEEZNS1_21segmented_reduce_implIS3_PKfPfPKlfN6hipcub16HIPCUB_304000_NS6detail27convert_result_type_wrapperIS8_S9_N2at6native12_GLOBAL__N_110CustomProdEEEEE10hipError_tPvRmT0_T1_jT2_SQ_T4_T3_P12ihipStream_tbEUlT_E_NS1_11comp_targetILNS1_3genE3ELNS1_11target_archE908ELNS1_3gpuE7ELNS1_3repE0EEENS1_30default_config_static_selectorELNS0_4arch9wavefront6targetE0EEEvSP_,@function
_ZN7rocprim17ROCPRIM_400000_NS6detail17trampoline_kernelINS0_14default_configENS1_32segmented_reduce_config_selectorIfEEZNS1_21segmented_reduce_implIS3_PKfPfPKlfN6hipcub16HIPCUB_304000_NS6detail27convert_result_type_wrapperIS8_S9_N2at6native12_GLOBAL__N_110CustomProdEEEEE10hipError_tPvRmT0_T1_jT2_SQ_T4_T3_P12ihipStream_tbEUlT_E_NS1_11comp_targetILNS1_3genE3ELNS1_11target_archE908ELNS1_3gpuE7ELNS1_3repE0EEENS1_30default_config_static_selectorELNS0_4arch9wavefront6targetE0EEEvSP_: ; @_ZN7rocprim17ROCPRIM_400000_NS6detail17trampoline_kernelINS0_14default_configENS1_32segmented_reduce_config_selectorIfEEZNS1_21segmented_reduce_implIS3_PKfPfPKlfN6hipcub16HIPCUB_304000_NS6detail27convert_result_type_wrapperIS8_S9_N2at6native12_GLOBAL__N_110CustomProdEEEEE10hipError_tPvRmT0_T1_jT2_SQ_T4_T3_P12ihipStream_tbEUlT_E_NS1_11comp_targetILNS1_3genE3ELNS1_11target_archE908ELNS1_3gpuE7ELNS1_3repE0EEENS1_30default_config_static_selectorELNS0_4arch9wavefront6targetE0EEEvSP_
; %bb.0:
	.section	.rodata,"a",@progbits
	.p2align	6, 0x0
	.amdhsa_kernel _ZN7rocprim17ROCPRIM_400000_NS6detail17trampoline_kernelINS0_14default_configENS1_32segmented_reduce_config_selectorIfEEZNS1_21segmented_reduce_implIS3_PKfPfPKlfN6hipcub16HIPCUB_304000_NS6detail27convert_result_type_wrapperIS8_S9_N2at6native12_GLOBAL__N_110CustomProdEEEEE10hipError_tPvRmT0_T1_jT2_SQ_T4_T3_P12ihipStream_tbEUlT_E_NS1_11comp_targetILNS1_3genE3ELNS1_11target_archE908ELNS1_3gpuE7ELNS1_3repE0EEENS1_30default_config_static_selectorELNS0_4arch9wavefront6targetE0EEEvSP_
		.amdhsa_group_segment_fixed_size 0
		.amdhsa_private_segment_fixed_size 0
		.amdhsa_kernarg_size 48
		.amdhsa_user_sgpr_count 15
		.amdhsa_user_sgpr_dispatch_ptr 0
		.amdhsa_user_sgpr_queue_ptr 0
		.amdhsa_user_sgpr_kernarg_segment_ptr 1
		.amdhsa_user_sgpr_dispatch_id 0
		.amdhsa_user_sgpr_private_segment_size 0
		.amdhsa_wavefront_size32 1
		.amdhsa_uses_dynamic_stack 0
		.amdhsa_enable_private_segment 0
		.amdhsa_system_sgpr_workgroup_id_x 1
		.amdhsa_system_sgpr_workgroup_id_y 0
		.amdhsa_system_sgpr_workgroup_id_z 0
		.amdhsa_system_sgpr_workgroup_info 0
		.amdhsa_system_vgpr_workitem_id 0
		.amdhsa_next_free_vgpr 1
		.amdhsa_next_free_sgpr 1
		.amdhsa_reserve_vcc 0
		.amdhsa_float_round_mode_32 0
		.amdhsa_float_round_mode_16_64 0
		.amdhsa_float_denorm_mode_32 3
		.amdhsa_float_denorm_mode_16_64 3
		.amdhsa_dx10_clamp 1
		.amdhsa_ieee_mode 1
		.amdhsa_fp16_overflow 0
		.amdhsa_workgroup_processor_mode 1
		.amdhsa_memory_ordered 1
		.amdhsa_forward_progress 0
		.amdhsa_shared_vgpr_count 0
		.amdhsa_exception_fp_ieee_invalid_op 0
		.amdhsa_exception_fp_denorm_src 0
		.amdhsa_exception_fp_ieee_div_zero 0
		.amdhsa_exception_fp_ieee_overflow 0
		.amdhsa_exception_fp_ieee_underflow 0
		.amdhsa_exception_fp_ieee_inexact 0
		.amdhsa_exception_int_div_zero 0
	.end_amdhsa_kernel
	.section	.text._ZN7rocprim17ROCPRIM_400000_NS6detail17trampoline_kernelINS0_14default_configENS1_32segmented_reduce_config_selectorIfEEZNS1_21segmented_reduce_implIS3_PKfPfPKlfN6hipcub16HIPCUB_304000_NS6detail27convert_result_type_wrapperIS8_S9_N2at6native12_GLOBAL__N_110CustomProdEEEEE10hipError_tPvRmT0_T1_jT2_SQ_T4_T3_P12ihipStream_tbEUlT_E_NS1_11comp_targetILNS1_3genE3ELNS1_11target_archE908ELNS1_3gpuE7ELNS1_3repE0EEENS1_30default_config_static_selectorELNS0_4arch9wavefront6targetE0EEEvSP_,"axG",@progbits,_ZN7rocprim17ROCPRIM_400000_NS6detail17trampoline_kernelINS0_14default_configENS1_32segmented_reduce_config_selectorIfEEZNS1_21segmented_reduce_implIS3_PKfPfPKlfN6hipcub16HIPCUB_304000_NS6detail27convert_result_type_wrapperIS8_S9_N2at6native12_GLOBAL__N_110CustomProdEEEEE10hipError_tPvRmT0_T1_jT2_SQ_T4_T3_P12ihipStream_tbEUlT_E_NS1_11comp_targetILNS1_3genE3ELNS1_11target_archE908ELNS1_3gpuE7ELNS1_3repE0EEENS1_30default_config_static_selectorELNS0_4arch9wavefront6targetE0EEEvSP_,comdat
.Lfunc_end208:
	.size	_ZN7rocprim17ROCPRIM_400000_NS6detail17trampoline_kernelINS0_14default_configENS1_32segmented_reduce_config_selectorIfEEZNS1_21segmented_reduce_implIS3_PKfPfPKlfN6hipcub16HIPCUB_304000_NS6detail27convert_result_type_wrapperIS8_S9_N2at6native12_GLOBAL__N_110CustomProdEEEEE10hipError_tPvRmT0_T1_jT2_SQ_T4_T3_P12ihipStream_tbEUlT_E_NS1_11comp_targetILNS1_3genE3ELNS1_11target_archE908ELNS1_3gpuE7ELNS1_3repE0EEENS1_30default_config_static_selectorELNS0_4arch9wavefront6targetE0EEEvSP_, .Lfunc_end208-_ZN7rocprim17ROCPRIM_400000_NS6detail17trampoline_kernelINS0_14default_configENS1_32segmented_reduce_config_selectorIfEEZNS1_21segmented_reduce_implIS3_PKfPfPKlfN6hipcub16HIPCUB_304000_NS6detail27convert_result_type_wrapperIS8_S9_N2at6native12_GLOBAL__N_110CustomProdEEEEE10hipError_tPvRmT0_T1_jT2_SQ_T4_T3_P12ihipStream_tbEUlT_E_NS1_11comp_targetILNS1_3genE3ELNS1_11target_archE908ELNS1_3gpuE7ELNS1_3repE0EEENS1_30default_config_static_selectorELNS0_4arch9wavefront6targetE0EEEvSP_
                                        ; -- End function
	.section	.AMDGPU.csdata,"",@progbits
; Kernel info:
; codeLenInByte = 0
; NumSgprs: 0
; NumVgprs: 0
; ScratchSize: 0
; MemoryBound: 0
; FloatMode: 240
; IeeeMode: 1
; LDSByteSize: 0 bytes/workgroup (compile time only)
; SGPRBlocks: 0
; VGPRBlocks: 0
; NumSGPRsForWavesPerEU: 1
; NumVGPRsForWavesPerEU: 1
; Occupancy: 16
; WaveLimiterHint : 0
; COMPUTE_PGM_RSRC2:SCRATCH_EN: 0
; COMPUTE_PGM_RSRC2:USER_SGPR: 15
; COMPUTE_PGM_RSRC2:TRAP_HANDLER: 0
; COMPUTE_PGM_RSRC2:TGID_X_EN: 1
; COMPUTE_PGM_RSRC2:TGID_Y_EN: 0
; COMPUTE_PGM_RSRC2:TGID_Z_EN: 0
; COMPUTE_PGM_RSRC2:TIDIG_COMP_CNT: 0
	.section	.text._ZN7rocprim17ROCPRIM_400000_NS6detail17trampoline_kernelINS0_14default_configENS1_32segmented_reduce_config_selectorIfEEZNS1_21segmented_reduce_implIS3_PKfPfPKlfN6hipcub16HIPCUB_304000_NS6detail27convert_result_type_wrapperIS8_S9_N2at6native12_GLOBAL__N_110CustomProdEEEEE10hipError_tPvRmT0_T1_jT2_SQ_T4_T3_P12ihipStream_tbEUlT_E_NS1_11comp_targetILNS1_3genE2ELNS1_11target_archE906ELNS1_3gpuE6ELNS1_3repE0EEENS1_30default_config_static_selectorELNS0_4arch9wavefront6targetE0EEEvSP_,"axG",@progbits,_ZN7rocprim17ROCPRIM_400000_NS6detail17trampoline_kernelINS0_14default_configENS1_32segmented_reduce_config_selectorIfEEZNS1_21segmented_reduce_implIS3_PKfPfPKlfN6hipcub16HIPCUB_304000_NS6detail27convert_result_type_wrapperIS8_S9_N2at6native12_GLOBAL__N_110CustomProdEEEEE10hipError_tPvRmT0_T1_jT2_SQ_T4_T3_P12ihipStream_tbEUlT_E_NS1_11comp_targetILNS1_3genE2ELNS1_11target_archE906ELNS1_3gpuE6ELNS1_3repE0EEENS1_30default_config_static_selectorELNS0_4arch9wavefront6targetE0EEEvSP_,comdat
	.globl	_ZN7rocprim17ROCPRIM_400000_NS6detail17trampoline_kernelINS0_14default_configENS1_32segmented_reduce_config_selectorIfEEZNS1_21segmented_reduce_implIS3_PKfPfPKlfN6hipcub16HIPCUB_304000_NS6detail27convert_result_type_wrapperIS8_S9_N2at6native12_GLOBAL__N_110CustomProdEEEEE10hipError_tPvRmT0_T1_jT2_SQ_T4_T3_P12ihipStream_tbEUlT_E_NS1_11comp_targetILNS1_3genE2ELNS1_11target_archE906ELNS1_3gpuE6ELNS1_3repE0EEENS1_30default_config_static_selectorELNS0_4arch9wavefront6targetE0EEEvSP_ ; -- Begin function _ZN7rocprim17ROCPRIM_400000_NS6detail17trampoline_kernelINS0_14default_configENS1_32segmented_reduce_config_selectorIfEEZNS1_21segmented_reduce_implIS3_PKfPfPKlfN6hipcub16HIPCUB_304000_NS6detail27convert_result_type_wrapperIS8_S9_N2at6native12_GLOBAL__N_110CustomProdEEEEE10hipError_tPvRmT0_T1_jT2_SQ_T4_T3_P12ihipStream_tbEUlT_E_NS1_11comp_targetILNS1_3genE2ELNS1_11target_archE906ELNS1_3gpuE6ELNS1_3repE0EEENS1_30default_config_static_selectorELNS0_4arch9wavefront6targetE0EEEvSP_
	.p2align	8
	.type	_ZN7rocprim17ROCPRIM_400000_NS6detail17trampoline_kernelINS0_14default_configENS1_32segmented_reduce_config_selectorIfEEZNS1_21segmented_reduce_implIS3_PKfPfPKlfN6hipcub16HIPCUB_304000_NS6detail27convert_result_type_wrapperIS8_S9_N2at6native12_GLOBAL__N_110CustomProdEEEEE10hipError_tPvRmT0_T1_jT2_SQ_T4_T3_P12ihipStream_tbEUlT_E_NS1_11comp_targetILNS1_3genE2ELNS1_11target_archE906ELNS1_3gpuE6ELNS1_3repE0EEENS1_30default_config_static_selectorELNS0_4arch9wavefront6targetE0EEEvSP_,@function
_ZN7rocprim17ROCPRIM_400000_NS6detail17trampoline_kernelINS0_14default_configENS1_32segmented_reduce_config_selectorIfEEZNS1_21segmented_reduce_implIS3_PKfPfPKlfN6hipcub16HIPCUB_304000_NS6detail27convert_result_type_wrapperIS8_S9_N2at6native12_GLOBAL__N_110CustomProdEEEEE10hipError_tPvRmT0_T1_jT2_SQ_T4_T3_P12ihipStream_tbEUlT_E_NS1_11comp_targetILNS1_3genE2ELNS1_11target_archE906ELNS1_3gpuE6ELNS1_3repE0EEENS1_30default_config_static_selectorELNS0_4arch9wavefront6targetE0EEEvSP_: ; @_ZN7rocprim17ROCPRIM_400000_NS6detail17trampoline_kernelINS0_14default_configENS1_32segmented_reduce_config_selectorIfEEZNS1_21segmented_reduce_implIS3_PKfPfPKlfN6hipcub16HIPCUB_304000_NS6detail27convert_result_type_wrapperIS8_S9_N2at6native12_GLOBAL__N_110CustomProdEEEEE10hipError_tPvRmT0_T1_jT2_SQ_T4_T3_P12ihipStream_tbEUlT_E_NS1_11comp_targetILNS1_3genE2ELNS1_11target_archE906ELNS1_3gpuE6ELNS1_3repE0EEENS1_30default_config_static_selectorELNS0_4arch9wavefront6targetE0EEEvSP_
; %bb.0:
	.section	.rodata,"a",@progbits
	.p2align	6, 0x0
	.amdhsa_kernel _ZN7rocprim17ROCPRIM_400000_NS6detail17trampoline_kernelINS0_14default_configENS1_32segmented_reduce_config_selectorIfEEZNS1_21segmented_reduce_implIS3_PKfPfPKlfN6hipcub16HIPCUB_304000_NS6detail27convert_result_type_wrapperIS8_S9_N2at6native12_GLOBAL__N_110CustomProdEEEEE10hipError_tPvRmT0_T1_jT2_SQ_T4_T3_P12ihipStream_tbEUlT_E_NS1_11comp_targetILNS1_3genE2ELNS1_11target_archE906ELNS1_3gpuE6ELNS1_3repE0EEENS1_30default_config_static_selectorELNS0_4arch9wavefront6targetE0EEEvSP_
		.amdhsa_group_segment_fixed_size 0
		.amdhsa_private_segment_fixed_size 0
		.amdhsa_kernarg_size 48
		.amdhsa_user_sgpr_count 15
		.amdhsa_user_sgpr_dispatch_ptr 0
		.amdhsa_user_sgpr_queue_ptr 0
		.amdhsa_user_sgpr_kernarg_segment_ptr 1
		.amdhsa_user_sgpr_dispatch_id 0
		.amdhsa_user_sgpr_private_segment_size 0
		.amdhsa_wavefront_size32 1
		.amdhsa_uses_dynamic_stack 0
		.amdhsa_enable_private_segment 0
		.amdhsa_system_sgpr_workgroup_id_x 1
		.amdhsa_system_sgpr_workgroup_id_y 0
		.amdhsa_system_sgpr_workgroup_id_z 0
		.amdhsa_system_sgpr_workgroup_info 0
		.amdhsa_system_vgpr_workitem_id 0
		.amdhsa_next_free_vgpr 1
		.amdhsa_next_free_sgpr 1
		.amdhsa_reserve_vcc 0
		.amdhsa_float_round_mode_32 0
		.amdhsa_float_round_mode_16_64 0
		.amdhsa_float_denorm_mode_32 3
		.amdhsa_float_denorm_mode_16_64 3
		.amdhsa_dx10_clamp 1
		.amdhsa_ieee_mode 1
		.amdhsa_fp16_overflow 0
		.amdhsa_workgroup_processor_mode 1
		.amdhsa_memory_ordered 1
		.amdhsa_forward_progress 0
		.amdhsa_shared_vgpr_count 0
		.amdhsa_exception_fp_ieee_invalid_op 0
		.amdhsa_exception_fp_denorm_src 0
		.amdhsa_exception_fp_ieee_div_zero 0
		.amdhsa_exception_fp_ieee_overflow 0
		.amdhsa_exception_fp_ieee_underflow 0
		.amdhsa_exception_fp_ieee_inexact 0
		.amdhsa_exception_int_div_zero 0
	.end_amdhsa_kernel
	.section	.text._ZN7rocprim17ROCPRIM_400000_NS6detail17trampoline_kernelINS0_14default_configENS1_32segmented_reduce_config_selectorIfEEZNS1_21segmented_reduce_implIS3_PKfPfPKlfN6hipcub16HIPCUB_304000_NS6detail27convert_result_type_wrapperIS8_S9_N2at6native12_GLOBAL__N_110CustomProdEEEEE10hipError_tPvRmT0_T1_jT2_SQ_T4_T3_P12ihipStream_tbEUlT_E_NS1_11comp_targetILNS1_3genE2ELNS1_11target_archE906ELNS1_3gpuE6ELNS1_3repE0EEENS1_30default_config_static_selectorELNS0_4arch9wavefront6targetE0EEEvSP_,"axG",@progbits,_ZN7rocprim17ROCPRIM_400000_NS6detail17trampoline_kernelINS0_14default_configENS1_32segmented_reduce_config_selectorIfEEZNS1_21segmented_reduce_implIS3_PKfPfPKlfN6hipcub16HIPCUB_304000_NS6detail27convert_result_type_wrapperIS8_S9_N2at6native12_GLOBAL__N_110CustomProdEEEEE10hipError_tPvRmT0_T1_jT2_SQ_T4_T3_P12ihipStream_tbEUlT_E_NS1_11comp_targetILNS1_3genE2ELNS1_11target_archE906ELNS1_3gpuE6ELNS1_3repE0EEENS1_30default_config_static_selectorELNS0_4arch9wavefront6targetE0EEEvSP_,comdat
.Lfunc_end209:
	.size	_ZN7rocprim17ROCPRIM_400000_NS6detail17trampoline_kernelINS0_14default_configENS1_32segmented_reduce_config_selectorIfEEZNS1_21segmented_reduce_implIS3_PKfPfPKlfN6hipcub16HIPCUB_304000_NS6detail27convert_result_type_wrapperIS8_S9_N2at6native12_GLOBAL__N_110CustomProdEEEEE10hipError_tPvRmT0_T1_jT2_SQ_T4_T3_P12ihipStream_tbEUlT_E_NS1_11comp_targetILNS1_3genE2ELNS1_11target_archE906ELNS1_3gpuE6ELNS1_3repE0EEENS1_30default_config_static_selectorELNS0_4arch9wavefront6targetE0EEEvSP_, .Lfunc_end209-_ZN7rocprim17ROCPRIM_400000_NS6detail17trampoline_kernelINS0_14default_configENS1_32segmented_reduce_config_selectorIfEEZNS1_21segmented_reduce_implIS3_PKfPfPKlfN6hipcub16HIPCUB_304000_NS6detail27convert_result_type_wrapperIS8_S9_N2at6native12_GLOBAL__N_110CustomProdEEEEE10hipError_tPvRmT0_T1_jT2_SQ_T4_T3_P12ihipStream_tbEUlT_E_NS1_11comp_targetILNS1_3genE2ELNS1_11target_archE906ELNS1_3gpuE6ELNS1_3repE0EEENS1_30default_config_static_selectorELNS0_4arch9wavefront6targetE0EEEvSP_
                                        ; -- End function
	.section	.AMDGPU.csdata,"",@progbits
; Kernel info:
; codeLenInByte = 0
; NumSgprs: 0
; NumVgprs: 0
; ScratchSize: 0
; MemoryBound: 0
; FloatMode: 240
; IeeeMode: 1
; LDSByteSize: 0 bytes/workgroup (compile time only)
; SGPRBlocks: 0
; VGPRBlocks: 0
; NumSGPRsForWavesPerEU: 1
; NumVGPRsForWavesPerEU: 1
; Occupancy: 16
; WaveLimiterHint : 0
; COMPUTE_PGM_RSRC2:SCRATCH_EN: 0
; COMPUTE_PGM_RSRC2:USER_SGPR: 15
; COMPUTE_PGM_RSRC2:TRAP_HANDLER: 0
; COMPUTE_PGM_RSRC2:TGID_X_EN: 1
; COMPUTE_PGM_RSRC2:TGID_Y_EN: 0
; COMPUTE_PGM_RSRC2:TGID_Z_EN: 0
; COMPUTE_PGM_RSRC2:TIDIG_COMP_CNT: 0
	.section	.text._ZN7rocprim17ROCPRIM_400000_NS6detail17trampoline_kernelINS0_14default_configENS1_32segmented_reduce_config_selectorIfEEZNS1_21segmented_reduce_implIS3_PKfPfPKlfN6hipcub16HIPCUB_304000_NS6detail27convert_result_type_wrapperIS8_S9_N2at6native12_GLOBAL__N_110CustomProdEEEEE10hipError_tPvRmT0_T1_jT2_SQ_T4_T3_P12ihipStream_tbEUlT_E_NS1_11comp_targetILNS1_3genE9ELNS1_11target_archE1100ELNS1_3gpuE3ELNS1_3repE0EEENS1_30default_config_static_selectorELNS0_4arch9wavefront6targetE0EEEvSP_,"axG",@progbits,_ZN7rocprim17ROCPRIM_400000_NS6detail17trampoline_kernelINS0_14default_configENS1_32segmented_reduce_config_selectorIfEEZNS1_21segmented_reduce_implIS3_PKfPfPKlfN6hipcub16HIPCUB_304000_NS6detail27convert_result_type_wrapperIS8_S9_N2at6native12_GLOBAL__N_110CustomProdEEEEE10hipError_tPvRmT0_T1_jT2_SQ_T4_T3_P12ihipStream_tbEUlT_E_NS1_11comp_targetILNS1_3genE9ELNS1_11target_archE1100ELNS1_3gpuE3ELNS1_3repE0EEENS1_30default_config_static_selectorELNS0_4arch9wavefront6targetE0EEEvSP_,comdat
	.globl	_ZN7rocprim17ROCPRIM_400000_NS6detail17trampoline_kernelINS0_14default_configENS1_32segmented_reduce_config_selectorIfEEZNS1_21segmented_reduce_implIS3_PKfPfPKlfN6hipcub16HIPCUB_304000_NS6detail27convert_result_type_wrapperIS8_S9_N2at6native12_GLOBAL__N_110CustomProdEEEEE10hipError_tPvRmT0_T1_jT2_SQ_T4_T3_P12ihipStream_tbEUlT_E_NS1_11comp_targetILNS1_3genE9ELNS1_11target_archE1100ELNS1_3gpuE3ELNS1_3repE0EEENS1_30default_config_static_selectorELNS0_4arch9wavefront6targetE0EEEvSP_ ; -- Begin function _ZN7rocprim17ROCPRIM_400000_NS6detail17trampoline_kernelINS0_14default_configENS1_32segmented_reduce_config_selectorIfEEZNS1_21segmented_reduce_implIS3_PKfPfPKlfN6hipcub16HIPCUB_304000_NS6detail27convert_result_type_wrapperIS8_S9_N2at6native12_GLOBAL__N_110CustomProdEEEEE10hipError_tPvRmT0_T1_jT2_SQ_T4_T3_P12ihipStream_tbEUlT_E_NS1_11comp_targetILNS1_3genE9ELNS1_11target_archE1100ELNS1_3gpuE3ELNS1_3repE0EEENS1_30default_config_static_selectorELNS0_4arch9wavefront6targetE0EEEvSP_
	.p2align	8
	.type	_ZN7rocprim17ROCPRIM_400000_NS6detail17trampoline_kernelINS0_14default_configENS1_32segmented_reduce_config_selectorIfEEZNS1_21segmented_reduce_implIS3_PKfPfPKlfN6hipcub16HIPCUB_304000_NS6detail27convert_result_type_wrapperIS8_S9_N2at6native12_GLOBAL__N_110CustomProdEEEEE10hipError_tPvRmT0_T1_jT2_SQ_T4_T3_P12ihipStream_tbEUlT_E_NS1_11comp_targetILNS1_3genE9ELNS1_11target_archE1100ELNS1_3gpuE3ELNS1_3repE0EEENS1_30default_config_static_selectorELNS0_4arch9wavefront6targetE0EEEvSP_,@function
_ZN7rocprim17ROCPRIM_400000_NS6detail17trampoline_kernelINS0_14default_configENS1_32segmented_reduce_config_selectorIfEEZNS1_21segmented_reduce_implIS3_PKfPfPKlfN6hipcub16HIPCUB_304000_NS6detail27convert_result_type_wrapperIS8_S9_N2at6native12_GLOBAL__N_110CustomProdEEEEE10hipError_tPvRmT0_T1_jT2_SQ_T4_T3_P12ihipStream_tbEUlT_E_NS1_11comp_targetILNS1_3genE9ELNS1_11target_archE1100ELNS1_3gpuE3ELNS1_3repE0EEENS1_30default_config_static_selectorELNS0_4arch9wavefront6targetE0EEEvSP_: ; @_ZN7rocprim17ROCPRIM_400000_NS6detail17trampoline_kernelINS0_14default_configENS1_32segmented_reduce_config_selectorIfEEZNS1_21segmented_reduce_implIS3_PKfPfPKlfN6hipcub16HIPCUB_304000_NS6detail27convert_result_type_wrapperIS8_S9_N2at6native12_GLOBAL__N_110CustomProdEEEEE10hipError_tPvRmT0_T1_jT2_SQ_T4_T3_P12ihipStream_tbEUlT_E_NS1_11comp_targetILNS1_3genE9ELNS1_11target_archE1100ELNS1_3gpuE3ELNS1_3repE0EEENS1_30default_config_static_selectorELNS0_4arch9wavefront6targetE0EEEvSP_
; %bb.0:
	s_clause 0x1
	s_load_b256 s[16:23], s[0:1], 0x0
	s_load_b64 s[2:3], s[0:1], 0x20
	s_mov_b32 s24, s15
	s_mov_b32 s25, 0
	s_load_b32 s15, s[0:1], 0x2c
	s_waitcnt lgkmcnt(0)
	s_lshl_b64 s[4:5], s[20:21], 3
	s_delay_alu instid0(SALU_CYCLE_1) | instskip(SKIP_4) | instid1(SALU_CYCLE_1)
	s_add_u32 s6, s22, s4
	s_addc_u32 s7, s23, s5
	s_add_u32 s4, s2, s4
	s_addc_u32 s5, s3, s5
	s_lshl_b64 s[0:1], s[24:25], 3
	s_add_u32 s2, s6, s0
	s_addc_u32 s3, s7, s1
	s_add_u32 s0, s4, s0
	s_addc_u32 s1, s5, s1
	s_load_b64 s[26:27], s[2:3], 0x0
	s_load_b64 s[22:23], s[0:1], 0x0
	s_waitcnt lgkmcnt(0)
	v_cmp_gt_i64_e64 s0, s[22:23], s[26:27]
	s_delay_alu instid0(VALU_DEP_1)
	s_and_b32 vcc_lo, exec_lo, s0
	v_cmp_eq_u32_e64 s0, 0, v0
	s_cbranch_vccnz .LBB210_3
; %bb.1:
	s_delay_alu instid0(VALU_DEP_1)
	s_and_b32 s30, s0, exec_lo
	s_cbranch_execz .LBB210_4
; %bb.2:
	v_mov_b32_e32 v1, s15
	s_and_saveexec_b32 s0, s30
	s_cbranch_execnz .LBB210_67
	s_branch .LBB210_68
.LBB210_3:
	s_mov_b32 s30, s25
.LBB210_4:
	s_add_u32 s0, s26, 0x1000
	s_addc_u32 s1, s27, 0
	s_delay_alu instid0(SALU_CYCLE_1) | instskip(NEXT) | instid1(VALU_DEP_1)
	v_cmp_le_i64_e64 s2, s[0:1], s[22:23]
	s_and_b32 vcc_lo, exec_lo, s2
	s_cbranch_vccz .LBB210_45
; %bb.5:
	s_lshl_b64 s[2:3], s[26:27], 2
	v_lshlrev_b32_e32 v20, 2, v0
	s_add_u32 s4, s16, s2
	s_addc_u32 s5, s17, s3
	s_clause 0x1
	global_load_b32 v4, v20, s[4:5]
	global_load_b32 v3, v20, s[4:5] offset:1024
	v_add_co_u32 v16, s6, s4, v20
	s_delay_alu instid0(VALU_DEP_1)
	v_add_co_ci_u32_e64 v17, null, s5, 0, s6
	s_clause 0x1
	global_load_b32 v6, v20, s[4:5] offset:2048
	global_load_b32 v5, v20, s[4:5] offset:3072
	v_add_co_u32 v1, vcc_lo, v16, 0x2000
	v_add_co_ci_u32_e32 v2, vcc_lo, 0, v17, vcc_lo
	v_add_co_u32 v11, vcc_lo, 0x1000, v16
	v_add_co_ci_u32_e32 v12, vcc_lo, 0, v17, vcc_lo
	s_clause 0x3
	global_load_b32 v10, v[1:2], off offset:-4096
	global_load_b32 v9, v[11:12], off offset:1024
	global_load_b32 v8, v[11:12], off offset:2048
	;; [unrolled: 1-line block ×3, first 2 shown]
	v_add_co_u32 v14, vcc_lo, 0x2000, v16
	v_add_co_ci_u32_e32 v15, vcc_lo, 0, v17, vcc_lo
	s_clause 0x2
	global_load_b32 v13, v[1:2], off
	global_load_b32 v12, v[14:15], off offset:1024
	global_load_b32 v11, v[14:15], off offset:2048
	v_add_co_u32 v1, vcc_lo, 0x3000, v16
	v_add_co_ci_u32_e32 v2, vcc_lo, 0, v17, vcc_lo
	s_clause 0x4
	global_load_b32 v14, v[14:15], off offset:3072
	global_load_b32 v17, v[1:2], off
	global_load_b32 v16, v[1:2], off offset:1024
	global_load_b32 v15, v[1:2], off offset:2048
	;; [unrolled: 1-line block ×3, first 2 shown]
	s_add_u32 s4, s26, 0x2000
	s_addc_u32 s5, s27, 0
	s_delay_alu instid0(SALU_CYCLE_1) | instskip(NEXT) | instid1(VALU_DEP_1)
	v_cmp_ge_i64_e64 s4, s[4:5], s[22:23]
	s_and_b32 vcc_lo, exec_lo, s4
	s_waitcnt vmcnt(14)
	v_mul_f32_e32 v1, v4, v3
	s_waitcnt vmcnt(13)
	s_delay_alu instid0(VALU_DEP_1) | instskip(SKIP_1) | instid1(VALU_DEP_1)
	v_mul_f32_e32 v1, v1, v6
	s_waitcnt vmcnt(12)
	v_mul_f32_e32 v1, v1, v5
	s_waitcnt vmcnt(11)
	s_delay_alu instid0(VALU_DEP_1) | instskip(SKIP_1) | instid1(VALU_DEP_1)
	v_mul_f32_e32 v1, v1, v10
	;; [unrolled: 5-line block ×7, first 2 shown]
	s_waitcnt vmcnt(0)
	v_mul_f32_e32 v19, v1, v18
	s_cbranch_vccnz .LBB210_8
; %bb.6:
	s_add_u32 s2, s16, s2
	s_addc_u32 s3, s17, s3
	v_add_co_u32 v1, s2, s2, v20
	s_delay_alu instid0(VALU_DEP_1) | instskip(NEXT) | instid1(VALU_DEP_2)
	v_add_co_ci_u32_e64 v2, null, s3, 0, s2
	v_add_co_u32 v1, vcc_lo, 0x4000, v1
	s_delay_alu instid0(VALU_DEP_2)
	v_add_co_ci_u32_e32 v2, vcc_lo, 0, v2, vcc_lo
.LBB210_7:                              ; =>This Inner Loop Header: Depth=1
	s_clause 0x3
	global_load_b32 v4, v[1:2], off
	global_load_b32 v3, v[1:2], off offset:1024
	global_load_b32 v6, v[1:2], off offset:2048
	;; [unrolled: 1-line block ×3, first 2 shown]
	v_add_co_u32 v11, vcc_lo, v1, 0x2000
	v_add_co_ci_u32_e32 v12, vcc_lo, 0, v2, vcc_lo
	v_add_co_u32 v13, vcc_lo, 0x1000, v1
	v_add_co_ci_u32_e32 v14, vcc_lo, 0, v2, vcc_lo
	s_clause 0x3
	global_load_b32 v10, v[11:12], off offset:-4096
	global_load_b32 v9, v[13:14], off offset:1024
	global_load_b32 v8, v[13:14], off offset:2048
	;; [unrolled: 1-line block ×3, first 2 shown]
	v_add_co_u32 v14, vcc_lo, 0x2000, v1
	v_add_co_ci_u32_e32 v15, vcc_lo, 0, v2, vcc_lo
	s_clause 0x2
	global_load_b32 v13, v[11:12], off
	global_load_b32 v12, v[14:15], off offset:1024
	global_load_b32 v11, v[14:15], off offset:2048
	v_add_co_u32 v21, vcc_lo, 0x3000, v1
	v_add_co_ci_u32_e32 v22, vcc_lo, 0, v2, vcc_lo
	s_clause 0x4
	global_load_b32 v14, v[14:15], off offset:3072
	global_load_b32 v17, v[21:22], off
	global_load_b32 v16, v[21:22], off offset:1024
	global_load_b32 v15, v[21:22], off offset:2048
	;; [unrolled: 1-line block ×3, first 2 shown]
	s_mov_b64 s[2:3], s[0:1]
	v_add_co_u32 v1, vcc_lo, 0x4000, v1
	s_add_u32 s0, s2, 0x1000
	s_addc_u32 s1, s3, 0
	s_add_u32 s2, s2, 0x2000
	s_addc_u32 s3, s3, 0
	v_add_co_ci_u32_e32 v2, vcc_lo, 0, v2, vcc_lo
	v_cmp_lt_i64_e64 s2, s[2:3], s[22:23]
	s_delay_alu instid0(VALU_DEP_1) | instskip(SKIP_3) | instid1(VALU_DEP_1)
	s_and_b32 vcc_lo, exec_lo, s2
	s_waitcnt vmcnt(15)
	v_mul_f32_e32 v19, v19, v4
	s_waitcnt vmcnt(14)
	v_mul_f32_e32 v19, v19, v3
	s_waitcnt vmcnt(13)
	s_delay_alu instid0(VALU_DEP_1) | instskip(SKIP_1) | instid1(VALU_DEP_1)
	v_mul_f32_e32 v19, v19, v6
	s_waitcnt vmcnt(12)
	v_mul_f32_e32 v19, v19, v5
	s_waitcnt vmcnt(11)
	s_delay_alu instid0(VALU_DEP_1) | instskip(SKIP_1) | instid1(VALU_DEP_1)
	;; [unrolled: 5-line block ×7, first 2 shown]
	v_mul_f32_e32 v19, v19, v15
	s_waitcnt vmcnt(0)
	v_mul_f32_e32 v19, v19, v18
	s_cbranch_vccnz .LBB210_7
.LBB210_8:
	s_sub_i32 s14, s22, s0
	s_lshl_b64 s[0:1], s[0:1], 2
	v_cmp_gt_u32_e32 vcc_lo, s14, v0
	s_add_u32 s28, s16, s0
	s_addc_u32 s29, s17, s1
	s_and_saveexec_b32 s0, vcc_lo
	s_cbranch_execz .LBB210_10
; %bb.9:
	global_load_b32 v4, v20, s[28:29]
.LBB210_10:
	s_or_b32 exec_lo, exec_lo, s0
	v_or_b32_e32 v1, 0x100, v0
	s_delay_alu instid0(VALU_DEP_1) | instskip(NEXT) | instid1(VALU_DEP_1)
	v_cmp_gt_u32_e64 s0, s14, v1
	s_and_saveexec_b32 s1, s0
	s_cbranch_execz .LBB210_12
; %bb.11:
	global_load_b32 v3, v20, s[28:29] offset:1024
.LBB210_12:
	s_or_b32 exec_lo, exec_lo, s1
	v_or_b32_e32 v1, 0x200, v0
	s_delay_alu instid0(VALU_DEP_1) | instskip(NEXT) | instid1(VALU_DEP_1)
	v_cmp_gt_u32_e64 s1, s14, v1
	s_and_saveexec_b32 s2, s1
	s_cbranch_execz .LBB210_14
; %bb.13:
	global_load_b32 v6, v20, s[28:29] offset:2048
.LBB210_14:
	;; [unrolled: 9-line block ×3, first 2 shown]
	s_or_b32 exec_lo, exec_lo, s3
	v_or_b32_e32 v1, 0x400, v0
	s_delay_alu instid0(VALU_DEP_1) | instskip(NEXT) | instid1(VALU_DEP_1)
	v_cmp_gt_u32_e64 s3, s14, v1
	s_and_saveexec_b32 s4, s3
	s_cbranch_execz .LBB210_18
; %bb.17:
	v_lshlrev_b32_e32 v1, 2, v1
	global_load_b32 v10, v1, s[28:29]
.LBB210_18:
	s_or_b32 exec_lo, exec_lo, s4
	v_or_b32_e32 v1, 0x500, v0
	s_delay_alu instid0(VALU_DEP_1) | instskip(NEXT) | instid1(VALU_DEP_1)
	v_cmp_gt_u32_e64 s4, s14, v1
	s_and_saveexec_b32 s5, s4
	s_cbranch_execz .LBB210_20
; %bb.19:
	v_lshlrev_b32_e32 v1, 2, v1
	global_load_b32 v9, v1, s[28:29]
.LBB210_20:
	;; [unrolled: 10-line block ×12, first 2 shown]
	s_or_b32 exec_lo, exec_lo, s31
	s_waitcnt vmcnt(0)
	v_mul_f32_e32 v1, v19, v4
	s_delay_alu instid0(VALU_DEP_1) | instskip(NEXT) | instid1(VALU_DEP_1)
	v_cndmask_b32_e32 v1, v19, v1, vcc_lo
	v_mul_f32_e32 v2, v3, v1
	s_delay_alu instid0(VALU_DEP_1) | instskip(SKIP_1) | instid1(VALU_DEP_1)
	v_cndmask_b32_e64 v1, v1, v2, s0
	s_mov_b32 s0, exec_lo
	v_mul_f32_e32 v2, v6, v1
	s_delay_alu instid0(VALU_DEP_1) | instskip(NEXT) | instid1(VALU_DEP_1)
	v_cndmask_b32_e64 v1, v1, v2, s1
	v_mul_f32_e32 v2, v5, v1
	s_delay_alu instid0(VALU_DEP_1) | instskip(NEXT) | instid1(VALU_DEP_1)
	v_cndmask_b32_e64 v1, v1, v2, s2
	v_mul_f32_e32 v2, v10, v1
	s_delay_alu instid0(VALU_DEP_1) | instskip(NEXT) | instid1(VALU_DEP_1)
	v_cndmask_b32_e64 v1, v1, v2, s3
	v_mul_f32_e32 v2, v9, v1
	s_delay_alu instid0(VALU_DEP_1) | instskip(NEXT) | instid1(VALU_DEP_1)
	v_cndmask_b32_e64 v1, v1, v2, s4
	v_mul_f32_e32 v2, v8, v1
	s_delay_alu instid0(VALU_DEP_1) | instskip(NEXT) | instid1(VALU_DEP_1)
	v_cndmask_b32_e64 v1, v1, v2, s5
	v_mul_f32_e32 v2, v7, v1
	s_delay_alu instid0(VALU_DEP_1) | instskip(NEXT) | instid1(VALU_DEP_1)
	v_cndmask_b32_e64 v1, v1, v2, s6
	v_mul_f32_e32 v2, v13, v1
	s_delay_alu instid0(VALU_DEP_1) | instskip(NEXT) | instid1(VALU_DEP_1)
	v_cndmask_b32_e64 v1, v1, v2, s7
	v_mul_f32_e32 v2, v12, v1
	s_delay_alu instid0(VALU_DEP_1) | instskip(NEXT) | instid1(VALU_DEP_1)
	v_cndmask_b32_e64 v1, v1, v2, s8
	v_mul_f32_e32 v2, v11, v1
	s_delay_alu instid0(VALU_DEP_1) | instskip(NEXT) | instid1(VALU_DEP_1)
	v_cndmask_b32_e64 v1, v1, v2, s9
	v_mul_f32_e32 v2, v14, v1
	s_delay_alu instid0(VALU_DEP_1) | instskip(NEXT) | instid1(VALU_DEP_1)
	v_cndmask_b32_e64 v1, v1, v2, s10
	v_mul_f32_e32 v2, v17, v1
	s_delay_alu instid0(VALU_DEP_1) | instskip(NEXT) | instid1(VALU_DEP_1)
	v_cndmask_b32_e64 v1, v1, v2, s11
	v_mul_f32_e32 v2, v16, v1
	s_delay_alu instid0(VALU_DEP_1) | instskip(NEXT) | instid1(VALU_DEP_1)
	v_cndmask_b32_e64 v1, v1, v2, s12
	v_mul_f32_e32 v2, v15, v1
	s_delay_alu instid0(VALU_DEP_1) | instskip(NEXT) | instid1(VALU_DEP_1)
	v_cndmask_b32_e64 v1, v1, v2, s13
	v_mul_f32_e32 v2, v18, v1
	s_delay_alu instid0(VALU_DEP_1) | instskip(NEXT) | instid1(VALU_DEP_1)
	v_cndmask_b32_e64 v1, v1, v2, s14
	v_mov_b32_dpp v2, v1 quad_perm:[1,0,3,2] row_mask:0xf bank_mask:0xf
	s_delay_alu instid0(VALU_DEP_1) | instskip(NEXT) | instid1(VALU_DEP_1)
	v_mul_f32_e32 v1, v1, v2
	v_mov_b32_dpp v2, v1 quad_perm:[2,3,0,1] row_mask:0xf bank_mask:0xf
	s_delay_alu instid0(VALU_DEP_1) | instskip(NEXT) | instid1(VALU_DEP_1)
	v_mul_f32_e32 v1, v1, v2
	v_mov_b32_dpp v2, v1 row_ror:4 row_mask:0xf bank_mask:0xf
	s_delay_alu instid0(VALU_DEP_1) | instskip(NEXT) | instid1(VALU_DEP_1)
	v_mul_f32_e32 v1, v1, v2
	v_mov_b32_dpp v2, v1 row_ror:8 row_mask:0xf bank_mask:0xf
	s_delay_alu instid0(VALU_DEP_1)
	v_mul_f32_e32 v1, v1, v2
	ds_swizzle_b32 v2, v1 offset:swizzle(BROADCAST,32,15)
	s_waitcnt lgkmcnt(0)
	v_dual_mul_f32 v1, v1, v2 :: v_dual_mov_b32 v2, 0
	ds_bpermute_b32 v2, v2, v1 offset:124
	v_mbcnt_lo_u32_b32 v1, -1, 0
	s_delay_alu instid0(VALU_DEP_1)
	v_cmpx_eq_u32_e32 0, v1
	s_cbranch_execz .LBB210_42
; %bb.41:
	v_lshrrev_b32_e32 v3, 3, v0
	s_delay_alu instid0(VALU_DEP_1)
	v_and_b32_e32 v3, 28, v3
	s_waitcnt lgkmcnt(0)
	ds_store_b32 v3, v2
.LBB210_42:
	s_or_b32 exec_lo, exec_lo, s0
	s_delay_alu instid0(SALU_CYCLE_1)
	s_mov_b32 s0, exec_lo
	s_waitcnt lgkmcnt(0)
	s_barrier
	buffer_gl0_inv
	v_cmpx_gt_u32_e32 32, v0
	s_cbranch_execz .LBB210_44
; %bb.43:
	v_and_b32_e32 v2, 7, v1
	s_delay_alu instid0(VALU_DEP_1) | instskip(SKIP_3) | instid1(VALU_DEP_1)
	v_lshlrev_b32_e32 v3, 2, v2
	v_cmp_ne_u32_e32 vcc_lo, 7, v2
	ds_load_b32 v3, v3
	v_add_co_ci_u32_e32 v4, vcc_lo, 0, v1, vcc_lo
	v_lshlrev_b32_e32 v4, 2, v4
	s_waitcnt lgkmcnt(0)
	ds_bpermute_b32 v4, v4, v3
	s_waitcnt lgkmcnt(0)
	v_mul_f32_e32 v3, v3, v4
	v_cmp_gt_u32_e32 vcc_lo, 6, v2
	v_cndmask_b32_e64 v5, 0, 1, vcc_lo
	v_cmp_gt_u32_e32 vcc_lo, 4, v2
	s_delay_alu instid0(VALU_DEP_2) | instskip(SKIP_1) | instid1(VALU_DEP_2)
	v_lshlrev_b32_e32 v5, 1, v5
	v_cndmask_b32_e64 v2, 0, 1, vcc_lo
	v_add_lshl_u32 v5, v5, v1, 2
	ds_bpermute_b32 v4, v5, v3
	s_waitcnt lgkmcnt(0)
	v_dual_mul_f32 v3, v3, v4 :: v_dual_lshlrev_b32 v2, 2, v2
	s_delay_alu instid0(VALU_DEP_1)
	v_add_lshl_u32 v1, v2, v1, 2
	ds_bpermute_b32 v1, v1, v3
	s_waitcnt lgkmcnt(0)
	v_mul_f32_e32 v2, v3, v1
.LBB210_44:
	s_or_b32 exec_lo, exec_lo, s0
	s_branch .LBB210_64
.LBB210_45:
                                        ; implicit-def: $vgpr2
	s_cbranch_execz .LBB210_64
; %bb.46:
	s_sub_i32 s2, s22, s26
	s_mov_b32 s1, exec_lo
                                        ; implicit-def: $vgpr5
	v_cmpx_gt_u32_e64 s2, v0
	s_cbranch_execz .LBB210_52
; %bb.47:
	v_add_co_u32 v1, s0, s26, v0
	s_delay_alu instid0(VALU_DEP_1) | instskip(SKIP_1) | instid1(VALU_DEP_1)
	v_add_co_ci_u32_e64 v2, null, s27, 0, s0
	s_mov_b32 s3, exec_lo
	v_lshlrev_b64 v[3:4], 2, v[1:2]
	s_delay_alu instid0(VALU_DEP_1) | instskip(NEXT) | instid1(VALU_DEP_2)
	v_add_co_u32 v3, vcc_lo, s16, v3
	v_add_co_ci_u32_e32 v4, vcc_lo, s17, v4, vcc_lo
	v_add_co_u32 v1, vcc_lo, 0x100, v1
	v_add_co_ci_u32_e32 v2, vcc_lo, 0, v2, vcc_lo
	global_load_b32 v5, v[3:4], off
	v_cmpx_gt_i64_e64 s[22:23], v[1:2]
	s_cbranch_execz .LBB210_51
; %bb.48:
	v_add_co_u32 v3, vcc_lo, 0x400, v3
	v_add_co_ci_u32_e32 v4, vcc_lo, 0, v4, vcc_lo
	s_mov_b32 s4, 0
.LBB210_49:                             ; =>This Inner Loop Header: Depth=1
	global_load_b32 v6, v[3:4], off
	v_add_co_u32 v1, vcc_lo, 0x100, v1
	v_add_co_ci_u32_e32 v2, vcc_lo, 0, v2, vcc_lo
	v_add_co_u32 v3, s0, 0x400, v3
	s_delay_alu instid0(VALU_DEP_1) | instskip(NEXT) | instid1(VALU_DEP_3)
	v_add_co_ci_u32_e64 v4, s0, 0, v4, s0
	v_cmp_le_i64_e32 vcc_lo, s[22:23], v[1:2]
	s_or_b32 s4, vcc_lo, s4
	s_waitcnt vmcnt(0)
	v_mul_f32_e32 v5, v5, v6
	s_and_not1_b32 exec_lo, exec_lo, s4
	s_cbranch_execnz .LBB210_49
; %bb.50:
	s_or_b32 exec_lo, exec_lo, s4
.LBB210_51:
	s_delay_alu instid0(SALU_CYCLE_1)
	s_or_b32 exec_lo, exec_lo, s3
.LBB210_52:
	s_delay_alu instid0(SALU_CYCLE_1) | instskip(SKIP_3) | instid1(VALU_DEP_1)
	s_or_b32 exec_lo, exec_lo, s1
	v_mbcnt_lo_u32_b32 v1, -1, 0
	s_cmpk_lt_u32 s2, 0x100
	s_mov_b32 s0, -1
	v_cmp_eq_u32_e32 vcc_lo, 0, v1
	s_cbranch_scc0 .LBB210_58
; %bb.53:
	v_cmp_ne_u32_e64 s0, 31, v1
	v_and_b32_e32 v4, 0xe0, v0
	v_add_nc_u32_e32 v6, 1, v1
	v_cmp_gt_u32_e64 s1, 28, v1
	v_add_nc_u32_e32 v7, 2, v1
	v_add_co_ci_u32_e64 v2, s0, 0, v1, s0
	v_cmp_gt_u32_e64 s0, 30, v1
	v_sub_nc_u32_e64 v4, s2, v4 clamp
	s_delay_alu instid0(VALU_DEP_3) | instskip(NEXT) | instid1(VALU_DEP_3)
	v_lshlrev_b32_e32 v2, 2, v2
	v_cndmask_b32_e64 v3, 0, 1, s0
	s_delay_alu instid0(VALU_DEP_3)
	v_cmp_lt_u32_e64 s0, v6, v4
	v_cndmask_b32_e64 v6, 0, 1, s1
	s_waitcnt vmcnt(0)
	ds_bpermute_b32 v2, v2, v5
	v_cmp_lt_u32_e64 s1, v7, v4
	v_lshlrev_b32_e32 v3, 1, v3
	v_add_nc_u32_e32 v7, 4, v1
	v_lshlrev_b32_e32 v6, 2, v6
	s_delay_alu instid0(VALU_DEP_1) | instskip(SKIP_3) | instid1(VALU_DEP_2)
	v_add_lshl_u32 v6, v6, v1, 2
	s_waitcnt lgkmcnt(0)
	v_mul_f32_e32 v2, v5, v2
	v_add_lshl_u32 v3, v3, v1, 2
	v_cndmask_b32_e64 v2, v5, v2, s0
	ds_bpermute_b32 v3, v3, v2
	s_waitcnt lgkmcnt(0)
	v_mul_f32_e32 v3, v2, v3
	s_delay_alu instid0(VALU_DEP_1)
	v_cndmask_b32_e64 v2, v2, v3, s1
	v_cmp_gt_u32_e64 s1, 24, v1
	ds_bpermute_b32 v3, v6, v2
	v_cndmask_b32_e64 v6, 0, 1, s1
	v_cmp_lt_u32_e64 s1, v7, v4
	v_add_nc_u32_e32 v7, 8, v1
	s_delay_alu instid0(VALU_DEP_3) | instskip(NEXT) | instid1(VALU_DEP_1)
	v_lshlrev_b32_e32 v6, 3, v6
	v_add_lshl_u32 v6, v6, v1, 2
	s_waitcnt lgkmcnt(0)
	v_mul_f32_e32 v3, v2, v3
	s_delay_alu instid0(VALU_DEP_1)
	v_cndmask_b32_e64 v2, v2, v3, s1
	v_cmp_gt_u32_e64 s1, 16, v1
	ds_bpermute_b32 v3, v6, v2
	v_cndmask_b32_e64 v6, 0, 1, s1
	v_cmp_lt_u32_e64 s1, v7, v4
	s_waitcnt lgkmcnt(0)
	s_delay_alu instid0(VALU_DEP_2) | instskip(NEXT) | instid1(VALU_DEP_1)
	v_dual_mul_f32 v3, v2, v3 :: v_dual_lshlrev_b32 v6, 4, v6
	v_cndmask_b32_e64 v2, v2, v3, s1
	s_delay_alu instid0(VALU_DEP_2)
	v_add_lshl_u32 v3, v6, v1, 2
	v_add_nc_u32_e32 v6, 16, v1
	ds_bpermute_b32 v3, v3, v2
	v_cmp_lt_u32_e64 s1, v6, v4
	s_waitcnt lgkmcnt(0)
	v_mul_f32_e32 v3, v2, v3
	s_delay_alu instid0(VALU_DEP_1) | instskip(NEXT) | instid1(VALU_DEP_1)
	v_cndmask_b32_e64 v2, v2, v3, s1
	v_cndmask_b32_e64 v2, v5, v2, s0
	s_and_saveexec_b32 s0, vcc_lo
	s_cbranch_execz .LBB210_55
; %bb.54:
	v_lshrrev_b32_e32 v3, 3, v0
	s_delay_alu instid0(VALU_DEP_1)
	v_and_b32_e32 v3, 28, v3
	ds_store_b32 v3, v2
.LBB210_55:
	s_or_b32 exec_lo, exec_lo, s0
	s_delay_alu instid0(SALU_CYCLE_1)
	s_mov_b32 s1, exec_lo
	s_waitcnt lgkmcnt(0)
	s_barrier
	buffer_gl0_inv
	v_cmpx_gt_u32_e32 8, v0
	s_cbranch_execz .LBB210_57
; %bb.56:
	v_lshlrev_b32_e32 v2, 2, v1
	s_add_i32 s2, s2, 31
	s_delay_alu instid0(SALU_CYCLE_1) | instskip(SKIP_2) | instid1(VALU_DEP_1)
	s_lshr_b32 s2, s2, 5
	ds_load_b32 v2, v2
	v_and_b32_e32 v3, 7, v1
	v_cmp_ne_u32_e32 vcc_lo, 7, v3
	v_add_co_ci_u32_e32 v4, vcc_lo, 0, v1, vcc_lo
	s_delay_alu instid0(VALU_DEP_1)
	v_lshlrev_b32_e32 v4, 2, v4
	s_waitcnt lgkmcnt(0)
	ds_bpermute_b32 v4, v4, v2
	s_waitcnt lgkmcnt(0)
	v_mul_f32_e32 v4, v2, v4
	v_cmp_gt_u32_e32 vcc_lo, 6, v3
	v_add_nc_u32_e32 v7, 1, v3
	v_cmp_gt_u32_e64 s0, 4, v3
	v_add_nc_u32_e32 v8, 2, v3
	v_cndmask_b32_e64 v6, 0, 1, vcc_lo
	s_delay_alu instid0(VALU_DEP_4) | instskip(NEXT) | instid1(VALU_DEP_4)
	v_cmp_gt_u32_e32 vcc_lo, s2, v7
	v_cndmask_b32_e64 v7, 0, 1, s0
	s_delay_alu instid0(VALU_DEP_4) | instskip(NEXT) | instid1(VALU_DEP_4)
	v_cmp_gt_u32_e64 s0, s2, v8
	v_lshlrev_b32_e32 v6, 1, v6
	s_delay_alu instid0(VALU_DEP_3) | instskip(NEXT) | instid1(VALU_DEP_2)
	v_dual_cndmask_b32 v4, v2, v4 :: v_dual_lshlrev_b32 v7, 2, v7
	v_add_lshl_u32 v6, v6, v1, 2
	ds_bpermute_b32 v6, v6, v4
	s_waitcnt lgkmcnt(0)
	v_mul_f32_e32 v6, v4, v6
	s_delay_alu instid0(VALU_DEP_1) | instskip(SKIP_4) | instid1(VALU_DEP_1)
	v_cndmask_b32_e64 v4, v4, v6, s0
	v_add_lshl_u32 v6, v7, v1, 2
	ds_bpermute_b32 v6, v6, v4
	s_waitcnt lgkmcnt(0)
	v_dual_mul_f32 v6, v4, v6 :: v_dual_add_nc_u32 v3, 4, v3
	v_cmp_gt_u32_e64 s0, s2, v3
	s_delay_alu instid0(VALU_DEP_1) | instskip(NEXT) | instid1(VALU_DEP_1)
	v_cndmask_b32_e64 v3, v4, v6, s0
	v_cndmask_b32_e32 v2, v2, v3, vcc_lo
.LBB210_57:
	s_or_b32 exec_lo, exec_lo, s1
	s_branch .LBB210_64
.LBB210_58:
                                        ; implicit-def: $vgpr2
	s_and_b32 vcc_lo, exec_lo, s0
	s_cbranch_vccz .LBB210_64
; %bb.59:
	s_waitcnt vmcnt(0)
	v_mov_b32_dpp v2, v5 quad_perm:[1,0,3,2] row_mask:0xf bank_mask:0xf
	s_mov_b32 s0, exec_lo
	s_delay_alu instid0(VALU_DEP_1) | instskip(NEXT) | instid1(VALU_DEP_1)
	v_mul_f32_e32 v2, v5, v2
	v_mov_b32_dpp v3, v2 quad_perm:[2,3,0,1] row_mask:0xf bank_mask:0xf
	s_delay_alu instid0(VALU_DEP_1) | instskip(NEXT) | instid1(VALU_DEP_1)
	v_mul_f32_e32 v2, v2, v3
	v_mov_b32_dpp v3, v2 row_ror:4 row_mask:0xf bank_mask:0xf
	s_delay_alu instid0(VALU_DEP_1) | instskip(NEXT) | instid1(VALU_DEP_1)
	v_mul_f32_e32 v2, v2, v3
	v_mov_b32_dpp v3, v2 row_ror:8 row_mask:0xf bank_mask:0xf
	s_delay_alu instid0(VALU_DEP_1)
	v_mul_f32_e32 v2, v2, v3
	ds_swizzle_b32 v3, v2 offset:swizzle(BROADCAST,32,15)
	s_waitcnt lgkmcnt(0)
	v_dual_mul_f32 v2, v2, v3 :: v_dual_mov_b32 v3, 0
	ds_bpermute_b32 v2, v3, v2 offset:124
	v_cmpx_eq_u32_e32 0, v1
	s_cbranch_execz .LBB210_61
; %bb.60:
	v_lshrrev_b32_e32 v3, 3, v0
	s_delay_alu instid0(VALU_DEP_1)
	v_and_b32_e32 v3, 28, v3
	s_waitcnt lgkmcnt(0)
	ds_store_b32 v3, v2
.LBB210_61:
	s_or_b32 exec_lo, exec_lo, s0
	s_delay_alu instid0(SALU_CYCLE_1)
	s_mov_b32 s0, exec_lo
	s_waitcnt lgkmcnt(0)
	s_barrier
	buffer_gl0_inv
	v_cmpx_gt_u32_e32 32, v0
	s_cbranch_execz .LBB210_63
; %bb.62:
	v_and_b32_e32 v2, 7, v1
	s_delay_alu instid0(VALU_DEP_1) | instskip(SKIP_3) | instid1(VALU_DEP_1)
	v_lshlrev_b32_e32 v3, 2, v2
	v_cmp_ne_u32_e32 vcc_lo, 7, v2
	ds_load_b32 v3, v3
	v_add_co_ci_u32_e32 v4, vcc_lo, 0, v1, vcc_lo
	v_lshlrev_b32_e32 v4, 2, v4
	s_waitcnt lgkmcnt(0)
	ds_bpermute_b32 v4, v4, v3
	s_waitcnt lgkmcnt(0)
	v_mul_f32_e32 v3, v3, v4
	v_cmp_gt_u32_e32 vcc_lo, 6, v2
	v_cndmask_b32_e64 v5, 0, 1, vcc_lo
	v_cmp_gt_u32_e32 vcc_lo, 4, v2
	s_delay_alu instid0(VALU_DEP_2) | instskip(SKIP_1) | instid1(VALU_DEP_2)
	v_lshlrev_b32_e32 v5, 1, v5
	v_cndmask_b32_e64 v2, 0, 1, vcc_lo
	v_add_lshl_u32 v5, v5, v1, 2
	ds_bpermute_b32 v4, v5, v3
	s_waitcnt lgkmcnt(0)
	v_dual_mul_f32 v3, v3, v4 :: v_dual_lshlrev_b32 v2, 2, v2
	s_delay_alu instid0(VALU_DEP_1)
	v_add_lshl_u32 v1, v2, v1, 2
	ds_bpermute_b32 v1, v1, v3
	s_waitcnt lgkmcnt(0)
	v_mul_f32_e32 v2, v3, v1
.LBB210_63:
	s_or_b32 exec_lo, exec_lo, s0
.LBB210_64:
	s_delay_alu instid0(SALU_CYCLE_1)
	s_mov_b32 s0, exec_lo
                                        ; implicit-def: $vgpr1
	v_cmpx_eq_u32_e32 0, v0
; %bb.65:
	s_delay_alu instid0(VALU_DEP_2)
	v_mul_f32_e32 v1, s15, v2
	s_or_b32 s30, s30, exec_lo
; %bb.66:
	s_or_b32 exec_lo, exec_lo, s0
	s_and_saveexec_b32 s0, s30
	s_cbranch_execz .LBB210_68
.LBB210_67:
	s_lshl_b64 s[0:1], s[20:21], 2
	v_mov_b32_e32 v0, 0
	s_add_u32 s2, s18, s0
	s_addc_u32 s3, s19, s1
	s_lshl_b64 s[0:1], s[24:25], 2
	s_delay_alu instid0(SALU_CYCLE_1)
	s_add_u32 s0, s2, s0
	s_addc_u32 s1, s3, s1
	global_store_b32 v0, v1, s[0:1]
.LBB210_68:
	s_nop 0
	s_sendmsg sendmsg(MSG_DEALLOC_VGPRS)
	s_endpgm
	.section	.rodata,"a",@progbits
	.p2align	6, 0x0
	.amdhsa_kernel _ZN7rocprim17ROCPRIM_400000_NS6detail17trampoline_kernelINS0_14default_configENS1_32segmented_reduce_config_selectorIfEEZNS1_21segmented_reduce_implIS3_PKfPfPKlfN6hipcub16HIPCUB_304000_NS6detail27convert_result_type_wrapperIS8_S9_N2at6native12_GLOBAL__N_110CustomProdEEEEE10hipError_tPvRmT0_T1_jT2_SQ_T4_T3_P12ihipStream_tbEUlT_E_NS1_11comp_targetILNS1_3genE9ELNS1_11target_archE1100ELNS1_3gpuE3ELNS1_3repE0EEENS1_30default_config_static_selectorELNS0_4arch9wavefront6targetE0EEEvSP_
		.amdhsa_group_segment_fixed_size 32
		.amdhsa_private_segment_fixed_size 0
		.amdhsa_kernarg_size 48
		.amdhsa_user_sgpr_count 15
		.amdhsa_user_sgpr_dispatch_ptr 0
		.amdhsa_user_sgpr_queue_ptr 0
		.amdhsa_user_sgpr_kernarg_segment_ptr 1
		.amdhsa_user_sgpr_dispatch_id 0
		.amdhsa_user_sgpr_private_segment_size 0
		.amdhsa_wavefront_size32 1
		.amdhsa_uses_dynamic_stack 0
		.amdhsa_enable_private_segment 0
		.amdhsa_system_sgpr_workgroup_id_x 1
		.amdhsa_system_sgpr_workgroup_id_y 0
		.amdhsa_system_sgpr_workgroup_id_z 0
		.amdhsa_system_sgpr_workgroup_info 0
		.amdhsa_system_vgpr_workitem_id 0
		.amdhsa_next_free_vgpr 23
		.amdhsa_next_free_sgpr 32
		.amdhsa_reserve_vcc 1
		.amdhsa_float_round_mode_32 0
		.amdhsa_float_round_mode_16_64 0
		.amdhsa_float_denorm_mode_32 3
		.amdhsa_float_denorm_mode_16_64 3
		.amdhsa_dx10_clamp 1
		.amdhsa_ieee_mode 1
		.amdhsa_fp16_overflow 0
		.amdhsa_workgroup_processor_mode 1
		.amdhsa_memory_ordered 1
		.amdhsa_forward_progress 0
		.amdhsa_shared_vgpr_count 0
		.amdhsa_exception_fp_ieee_invalid_op 0
		.amdhsa_exception_fp_denorm_src 0
		.amdhsa_exception_fp_ieee_div_zero 0
		.amdhsa_exception_fp_ieee_overflow 0
		.amdhsa_exception_fp_ieee_underflow 0
		.amdhsa_exception_fp_ieee_inexact 0
		.amdhsa_exception_int_div_zero 0
	.end_amdhsa_kernel
	.section	.text._ZN7rocprim17ROCPRIM_400000_NS6detail17trampoline_kernelINS0_14default_configENS1_32segmented_reduce_config_selectorIfEEZNS1_21segmented_reduce_implIS3_PKfPfPKlfN6hipcub16HIPCUB_304000_NS6detail27convert_result_type_wrapperIS8_S9_N2at6native12_GLOBAL__N_110CustomProdEEEEE10hipError_tPvRmT0_T1_jT2_SQ_T4_T3_P12ihipStream_tbEUlT_E_NS1_11comp_targetILNS1_3genE9ELNS1_11target_archE1100ELNS1_3gpuE3ELNS1_3repE0EEENS1_30default_config_static_selectorELNS0_4arch9wavefront6targetE0EEEvSP_,"axG",@progbits,_ZN7rocprim17ROCPRIM_400000_NS6detail17trampoline_kernelINS0_14default_configENS1_32segmented_reduce_config_selectorIfEEZNS1_21segmented_reduce_implIS3_PKfPfPKlfN6hipcub16HIPCUB_304000_NS6detail27convert_result_type_wrapperIS8_S9_N2at6native12_GLOBAL__N_110CustomProdEEEEE10hipError_tPvRmT0_T1_jT2_SQ_T4_T3_P12ihipStream_tbEUlT_E_NS1_11comp_targetILNS1_3genE9ELNS1_11target_archE1100ELNS1_3gpuE3ELNS1_3repE0EEENS1_30default_config_static_selectorELNS0_4arch9wavefront6targetE0EEEvSP_,comdat
.Lfunc_end210:
	.size	_ZN7rocprim17ROCPRIM_400000_NS6detail17trampoline_kernelINS0_14default_configENS1_32segmented_reduce_config_selectorIfEEZNS1_21segmented_reduce_implIS3_PKfPfPKlfN6hipcub16HIPCUB_304000_NS6detail27convert_result_type_wrapperIS8_S9_N2at6native12_GLOBAL__N_110CustomProdEEEEE10hipError_tPvRmT0_T1_jT2_SQ_T4_T3_P12ihipStream_tbEUlT_E_NS1_11comp_targetILNS1_3genE9ELNS1_11target_archE1100ELNS1_3gpuE3ELNS1_3repE0EEENS1_30default_config_static_selectorELNS0_4arch9wavefront6targetE0EEEvSP_, .Lfunc_end210-_ZN7rocprim17ROCPRIM_400000_NS6detail17trampoline_kernelINS0_14default_configENS1_32segmented_reduce_config_selectorIfEEZNS1_21segmented_reduce_implIS3_PKfPfPKlfN6hipcub16HIPCUB_304000_NS6detail27convert_result_type_wrapperIS8_S9_N2at6native12_GLOBAL__N_110CustomProdEEEEE10hipError_tPvRmT0_T1_jT2_SQ_T4_T3_P12ihipStream_tbEUlT_E_NS1_11comp_targetILNS1_3genE9ELNS1_11target_archE1100ELNS1_3gpuE3ELNS1_3repE0EEENS1_30default_config_static_selectorELNS0_4arch9wavefront6targetE0EEEvSP_
                                        ; -- End function
	.section	.AMDGPU.csdata,"",@progbits
; Kernel info:
; codeLenInByte = 3692
; NumSgprs: 34
; NumVgprs: 23
; ScratchSize: 0
; MemoryBound: 0
; FloatMode: 240
; IeeeMode: 1
; LDSByteSize: 32 bytes/workgroup (compile time only)
; SGPRBlocks: 4
; VGPRBlocks: 2
; NumSGPRsForWavesPerEU: 34
; NumVGPRsForWavesPerEU: 23
; Occupancy: 16
; WaveLimiterHint : 1
; COMPUTE_PGM_RSRC2:SCRATCH_EN: 0
; COMPUTE_PGM_RSRC2:USER_SGPR: 15
; COMPUTE_PGM_RSRC2:TRAP_HANDLER: 0
; COMPUTE_PGM_RSRC2:TGID_X_EN: 1
; COMPUTE_PGM_RSRC2:TGID_Y_EN: 0
; COMPUTE_PGM_RSRC2:TGID_Z_EN: 0
; COMPUTE_PGM_RSRC2:TIDIG_COMP_CNT: 0
	.section	.text._ZN7rocprim17ROCPRIM_400000_NS6detail17trampoline_kernelINS0_14default_configENS1_32segmented_reduce_config_selectorIfEEZNS1_21segmented_reduce_implIS3_PKfPfPKlfN6hipcub16HIPCUB_304000_NS6detail27convert_result_type_wrapperIS8_S9_N2at6native12_GLOBAL__N_110CustomProdEEEEE10hipError_tPvRmT0_T1_jT2_SQ_T4_T3_P12ihipStream_tbEUlT_E_NS1_11comp_targetILNS1_3genE8ELNS1_11target_archE1030ELNS1_3gpuE2ELNS1_3repE0EEENS1_30default_config_static_selectorELNS0_4arch9wavefront6targetE0EEEvSP_,"axG",@progbits,_ZN7rocprim17ROCPRIM_400000_NS6detail17trampoline_kernelINS0_14default_configENS1_32segmented_reduce_config_selectorIfEEZNS1_21segmented_reduce_implIS3_PKfPfPKlfN6hipcub16HIPCUB_304000_NS6detail27convert_result_type_wrapperIS8_S9_N2at6native12_GLOBAL__N_110CustomProdEEEEE10hipError_tPvRmT0_T1_jT2_SQ_T4_T3_P12ihipStream_tbEUlT_E_NS1_11comp_targetILNS1_3genE8ELNS1_11target_archE1030ELNS1_3gpuE2ELNS1_3repE0EEENS1_30default_config_static_selectorELNS0_4arch9wavefront6targetE0EEEvSP_,comdat
	.globl	_ZN7rocprim17ROCPRIM_400000_NS6detail17trampoline_kernelINS0_14default_configENS1_32segmented_reduce_config_selectorIfEEZNS1_21segmented_reduce_implIS3_PKfPfPKlfN6hipcub16HIPCUB_304000_NS6detail27convert_result_type_wrapperIS8_S9_N2at6native12_GLOBAL__N_110CustomProdEEEEE10hipError_tPvRmT0_T1_jT2_SQ_T4_T3_P12ihipStream_tbEUlT_E_NS1_11comp_targetILNS1_3genE8ELNS1_11target_archE1030ELNS1_3gpuE2ELNS1_3repE0EEENS1_30default_config_static_selectorELNS0_4arch9wavefront6targetE0EEEvSP_ ; -- Begin function _ZN7rocprim17ROCPRIM_400000_NS6detail17trampoline_kernelINS0_14default_configENS1_32segmented_reduce_config_selectorIfEEZNS1_21segmented_reduce_implIS3_PKfPfPKlfN6hipcub16HIPCUB_304000_NS6detail27convert_result_type_wrapperIS8_S9_N2at6native12_GLOBAL__N_110CustomProdEEEEE10hipError_tPvRmT0_T1_jT2_SQ_T4_T3_P12ihipStream_tbEUlT_E_NS1_11comp_targetILNS1_3genE8ELNS1_11target_archE1030ELNS1_3gpuE2ELNS1_3repE0EEENS1_30default_config_static_selectorELNS0_4arch9wavefront6targetE0EEEvSP_
	.p2align	8
	.type	_ZN7rocprim17ROCPRIM_400000_NS6detail17trampoline_kernelINS0_14default_configENS1_32segmented_reduce_config_selectorIfEEZNS1_21segmented_reduce_implIS3_PKfPfPKlfN6hipcub16HIPCUB_304000_NS6detail27convert_result_type_wrapperIS8_S9_N2at6native12_GLOBAL__N_110CustomProdEEEEE10hipError_tPvRmT0_T1_jT2_SQ_T4_T3_P12ihipStream_tbEUlT_E_NS1_11comp_targetILNS1_3genE8ELNS1_11target_archE1030ELNS1_3gpuE2ELNS1_3repE0EEENS1_30default_config_static_selectorELNS0_4arch9wavefront6targetE0EEEvSP_,@function
_ZN7rocprim17ROCPRIM_400000_NS6detail17trampoline_kernelINS0_14default_configENS1_32segmented_reduce_config_selectorIfEEZNS1_21segmented_reduce_implIS3_PKfPfPKlfN6hipcub16HIPCUB_304000_NS6detail27convert_result_type_wrapperIS8_S9_N2at6native12_GLOBAL__N_110CustomProdEEEEE10hipError_tPvRmT0_T1_jT2_SQ_T4_T3_P12ihipStream_tbEUlT_E_NS1_11comp_targetILNS1_3genE8ELNS1_11target_archE1030ELNS1_3gpuE2ELNS1_3repE0EEENS1_30default_config_static_selectorELNS0_4arch9wavefront6targetE0EEEvSP_: ; @_ZN7rocprim17ROCPRIM_400000_NS6detail17trampoline_kernelINS0_14default_configENS1_32segmented_reduce_config_selectorIfEEZNS1_21segmented_reduce_implIS3_PKfPfPKlfN6hipcub16HIPCUB_304000_NS6detail27convert_result_type_wrapperIS8_S9_N2at6native12_GLOBAL__N_110CustomProdEEEEE10hipError_tPvRmT0_T1_jT2_SQ_T4_T3_P12ihipStream_tbEUlT_E_NS1_11comp_targetILNS1_3genE8ELNS1_11target_archE1030ELNS1_3gpuE2ELNS1_3repE0EEENS1_30default_config_static_selectorELNS0_4arch9wavefront6targetE0EEEvSP_
; %bb.0:
	.section	.rodata,"a",@progbits
	.p2align	6, 0x0
	.amdhsa_kernel _ZN7rocprim17ROCPRIM_400000_NS6detail17trampoline_kernelINS0_14default_configENS1_32segmented_reduce_config_selectorIfEEZNS1_21segmented_reduce_implIS3_PKfPfPKlfN6hipcub16HIPCUB_304000_NS6detail27convert_result_type_wrapperIS8_S9_N2at6native12_GLOBAL__N_110CustomProdEEEEE10hipError_tPvRmT0_T1_jT2_SQ_T4_T3_P12ihipStream_tbEUlT_E_NS1_11comp_targetILNS1_3genE8ELNS1_11target_archE1030ELNS1_3gpuE2ELNS1_3repE0EEENS1_30default_config_static_selectorELNS0_4arch9wavefront6targetE0EEEvSP_
		.amdhsa_group_segment_fixed_size 0
		.amdhsa_private_segment_fixed_size 0
		.amdhsa_kernarg_size 48
		.amdhsa_user_sgpr_count 15
		.amdhsa_user_sgpr_dispatch_ptr 0
		.amdhsa_user_sgpr_queue_ptr 0
		.amdhsa_user_sgpr_kernarg_segment_ptr 1
		.amdhsa_user_sgpr_dispatch_id 0
		.amdhsa_user_sgpr_private_segment_size 0
		.amdhsa_wavefront_size32 1
		.amdhsa_uses_dynamic_stack 0
		.amdhsa_enable_private_segment 0
		.amdhsa_system_sgpr_workgroup_id_x 1
		.amdhsa_system_sgpr_workgroup_id_y 0
		.amdhsa_system_sgpr_workgroup_id_z 0
		.amdhsa_system_sgpr_workgroup_info 0
		.amdhsa_system_vgpr_workitem_id 0
		.amdhsa_next_free_vgpr 1
		.amdhsa_next_free_sgpr 1
		.amdhsa_reserve_vcc 0
		.amdhsa_float_round_mode_32 0
		.amdhsa_float_round_mode_16_64 0
		.amdhsa_float_denorm_mode_32 3
		.amdhsa_float_denorm_mode_16_64 3
		.amdhsa_dx10_clamp 1
		.amdhsa_ieee_mode 1
		.amdhsa_fp16_overflow 0
		.amdhsa_workgroup_processor_mode 1
		.amdhsa_memory_ordered 1
		.amdhsa_forward_progress 0
		.amdhsa_shared_vgpr_count 0
		.amdhsa_exception_fp_ieee_invalid_op 0
		.amdhsa_exception_fp_denorm_src 0
		.amdhsa_exception_fp_ieee_div_zero 0
		.amdhsa_exception_fp_ieee_overflow 0
		.amdhsa_exception_fp_ieee_underflow 0
		.amdhsa_exception_fp_ieee_inexact 0
		.amdhsa_exception_int_div_zero 0
	.end_amdhsa_kernel
	.section	.text._ZN7rocprim17ROCPRIM_400000_NS6detail17trampoline_kernelINS0_14default_configENS1_32segmented_reduce_config_selectorIfEEZNS1_21segmented_reduce_implIS3_PKfPfPKlfN6hipcub16HIPCUB_304000_NS6detail27convert_result_type_wrapperIS8_S9_N2at6native12_GLOBAL__N_110CustomProdEEEEE10hipError_tPvRmT0_T1_jT2_SQ_T4_T3_P12ihipStream_tbEUlT_E_NS1_11comp_targetILNS1_3genE8ELNS1_11target_archE1030ELNS1_3gpuE2ELNS1_3repE0EEENS1_30default_config_static_selectorELNS0_4arch9wavefront6targetE0EEEvSP_,"axG",@progbits,_ZN7rocprim17ROCPRIM_400000_NS6detail17trampoline_kernelINS0_14default_configENS1_32segmented_reduce_config_selectorIfEEZNS1_21segmented_reduce_implIS3_PKfPfPKlfN6hipcub16HIPCUB_304000_NS6detail27convert_result_type_wrapperIS8_S9_N2at6native12_GLOBAL__N_110CustomProdEEEEE10hipError_tPvRmT0_T1_jT2_SQ_T4_T3_P12ihipStream_tbEUlT_E_NS1_11comp_targetILNS1_3genE8ELNS1_11target_archE1030ELNS1_3gpuE2ELNS1_3repE0EEENS1_30default_config_static_selectorELNS0_4arch9wavefront6targetE0EEEvSP_,comdat
.Lfunc_end211:
	.size	_ZN7rocprim17ROCPRIM_400000_NS6detail17trampoline_kernelINS0_14default_configENS1_32segmented_reduce_config_selectorIfEEZNS1_21segmented_reduce_implIS3_PKfPfPKlfN6hipcub16HIPCUB_304000_NS6detail27convert_result_type_wrapperIS8_S9_N2at6native12_GLOBAL__N_110CustomProdEEEEE10hipError_tPvRmT0_T1_jT2_SQ_T4_T3_P12ihipStream_tbEUlT_E_NS1_11comp_targetILNS1_3genE8ELNS1_11target_archE1030ELNS1_3gpuE2ELNS1_3repE0EEENS1_30default_config_static_selectorELNS0_4arch9wavefront6targetE0EEEvSP_, .Lfunc_end211-_ZN7rocprim17ROCPRIM_400000_NS6detail17trampoline_kernelINS0_14default_configENS1_32segmented_reduce_config_selectorIfEEZNS1_21segmented_reduce_implIS3_PKfPfPKlfN6hipcub16HIPCUB_304000_NS6detail27convert_result_type_wrapperIS8_S9_N2at6native12_GLOBAL__N_110CustomProdEEEEE10hipError_tPvRmT0_T1_jT2_SQ_T4_T3_P12ihipStream_tbEUlT_E_NS1_11comp_targetILNS1_3genE8ELNS1_11target_archE1030ELNS1_3gpuE2ELNS1_3repE0EEENS1_30default_config_static_selectorELNS0_4arch9wavefront6targetE0EEEvSP_
                                        ; -- End function
	.section	.AMDGPU.csdata,"",@progbits
; Kernel info:
; codeLenInByte = 0
; NumSgprs: 0
; NumVgprs: 0
; ScratchSize: 0
; MemoryBound: 0
; FloatMode: 240
; IeeeMode: 1
; LDSByteSize: 0 bytes/workgroup (compile time only)
; SGPRBlocks: 0
; VGPRBlocks: 0
; NumSGPRsForWavesPerEU: 1
; NumVGPRsForWavesPerEU: 1
; Occupancy: 16
; WaveLimiterHint : 0
; COMPUTE_PGM_RSRC2:SCRATCH_EN: 0
; COMPUTE_PGM_RSRC2:USER_SGPR: 15
; COMPUTE_PGM_RSRC2:TRAP_HANDLER: 0
; COMPUTE_PGM_RSRC2:TGID_X_EN: 1
; COMPUTE_PGM_RSRC2:TGID_Y_EN: 0
; COMPUTE_PGM_RSRC2:TGID_Z_EN: 0
; COMPUTE_PGM_RSRC2:TIDIG_COMP_CNT: 0
	.section	.text._ZN2at6native12_GLOBAL__N_129segment_reduce_forward_kernelIN3c104HalfElEEvNS0_13ReductionTypeEPT_PKS6_PKT0_SC_llbS6_lllllll,"axG",@progbits,_ZN2at6native12_GLOBAL__N_129segment_reduce_forward_kernelIN3c104HalfElEEvNS0_13ReductionTypeEPT_PKS6_PKT0_SC_llbS6_lllllll,comdat
	.globl	_ZN2at6native12_GLOBAL__N_129segment_reduce_forward_kernelIN3c104HalfElEEvNS0_13ReductionTypeEPT_PKS6_PKT0_SC_llbS6_lllllll ; -- Begin function _ZN2at6native12_GLOBAL__N_129segment_reduce_forward_kernelIN3c104HalfElEEvNS0_13ReductionTypeEPT_PKS6_PKT0_SC_llbS6_lllllll
	.p2align	8
	.type	_ZN2at6native12_GLOBAL__N_129segment_reduce_forward_kernelIN3c104HalfElEEvNS0_13ReductionTypeEPT_PKS6_PKT0_SC_llbS6_lllllll,@function
_ZN2at6native12_GLOBAL__N_129segment_reduce_forward_kernelIN3c104HalfElEEvNS0_13ReductionTypeEPT_PKS6_PKT0_SC_llbS6_lllllll: ; @_ZN2at6native12_GLOBAL__N_129segment_reduce_forward_kernelIN3c104HalfElEEvNS0_13ReductionTypeEPT_PKS6_PKT0_SC_llbS6_lllllll
; %bb.0:
	s_clause 0x2
	s_load_b128 s[28:31], s[0:1], 0x28
	s_load_b32 s2, s[0:1], 0x84
	s_load_b256 s[20:27], s[0:1], 0x40
	v_mov_b32_e32 v2, 0
	s_delay_alu instid0(VALU_DEP_1)
	v_mov_b32_e32 v1, v2
	s_waitcnt lgkmcnt(0)
	s_and_b32 s2, s2, 0xffff
	s_mul_i32 s3, s20, s29
	s_mul_hi_u32 s4, s20, s28
	s_mul_i32 s5, s21, s28
	s_mul_i32 s6, s20, s28
	v_mad_u64_u32 v[4:5], null, s2, s15, v[0:1]
	s_add_i32 s2, s4, s3
	s_mul_i32 s3, s6, s23
	s_mul_hi_u32 s4, s6, s22
	s_add_i32 s2, s2, s5
	s_add_i32 s3, s4, s3
	s_mul_i32 s2, s2, s22
	s_delay_alu instid0(SALU_CYCLE_1) | instskip(SKIP_1) | instid1(SALU_CYCLE_1)
	s_add_i32 s3, s3, s2
	s_mul_i32 s2, s6, s22
	v_cmp_gt_i64_e32 vcc_lo, s[2:3], v[4:5]
	s_and_saveexec_b32 s2, vcc_lo
	s_cbranch_execz .LBB212_37
; %bb.1:
	v_or_b32_e32 v3, s23, v5
                                        ; implicit-def: $vgpr12_vgpr13
	s_mov_b32 s2, exec_lo
	s_delay_alu instid0(VALU_DEP_1)
	v_cmpx_ne_u64_e32 0, v[2:3]
	s_xor_b32 s3, exec_lo, s2
	s_cbranch_execz .LBB212_3
; %bb.2:
	s_ashr_i32 s4, s23, 31
	s_delay_alu instid0(SALU_CYCLE_1) | instskip(SKIP_2) | instid1(SALU_CYCLE_1)
	s_add_u32 s6, s22, s4
	s_mov_b32 s5, s4
	s_addc_u32 s7, s23, s4
	s_xor_b64 s[6:7], s[6:7], s[4:5]
	s_delay_alu instid0(SALU_CYCLE_1) | instskip(SKIP_3) | instid1(VALU_DEP_1)
	v_cvt_f32_u32_e32 v0, s6
	v_cvt_f32_u32_e32 v1, s7
	s_sub_u32 s2, 0, s6
	s_subb_u32 s5, 0, s7
	v_fmamk_f32 v0, v1, 0x4f800000, v0
	s_delay_alu instid0(VALU_DEP_1) | instskip(SKIP_2) | instid1(VALU_DEP_1)
	v_rcp_f32_e32 v0, v0
	s_waitcnt_depctr 0xfff
	v_mul_f32_e32 v0, 0x5f7ffffc, v0
	v_mul_f32_e32 v1, 0x2f800000, v0
	s_delay_alu instid0(VALU_DEP_1) | instskip(NEXT) | instid1(VALU_DEP_1)
	v_trunc_f32_e32 v1, v1
	v_fmamk_f32 v0, v1, 0xcf800000, v0
	v_cvt_u32_f32_e32 v1, v1
	s_delay_alu instid0(VALU_DEP_2) | instskip(NEXT) | instid1(VALU_DEP_2)
	v_cvt_u32_f32_e32 v0, v0
	v_mul_lo_u32 v2, s2, v1
	s_delay_alu instid0(VALU_DEP_2) | instskip(SKIP_1) | instid1(VALU_DEP_2)
	v_mul_hi_u32 v3, s2, v0
	v_mul_lo_u32 v6, s5, v0
	v_add_nc_u32_e32 v2, v3, v2
	v_mul_lo_u32 v3, s2, v0
	s_delay_alu instid0(VALU_DEP_2) | instskip(NEXT) | instid1(VALU_DEP_2)
	v_add_nc_u32_e32 v2, v2, v6
	v_mul_hi_u32 v6, v0, v3
	s_delay_alu instid0(VALU_DEP_2)
	v_mul_lo_u32 v7, v0, v2
	v_mul_hi_u32 v8, v0, v2
	v_mul_hi_u32 v9, v1, v3
	v_mul_lo_u32 v3, v1, v3
	v_mul_hi_u32 v10, v1, v2
	v_mul_lo_u32 v2, v1, v2
	v_add_co_u32 v6, vcc_lo, v6, v7
	v_add_co_ci_u32_e32 v7, vcc_lo, 0, v8, vcc_lo
	s_delay_alu instid0(VALU_DEP_2) | instskip(NEXT) | instid1(VALU_DEP_2)
	v_add_co_u32 v3, vcc_lo, v6, v3
	v_add_co_ci_u32_e32 v3, vcc_lo, v7, v9, vcc_lo
	v_add_co_ci_u32_e32 v6, vcc_lo, 0, v10, vcc_lo
	v_ashrrev_i32_e32 v9, 31, v5
	s_delay_alu instid0(VALU_DEP_3) | instskip(NEXT) | instid1(VALU_DEP_3)
	v_add_co_u32 v2, vcc_lo, v3, v2
	v_add_co_ci_u32_e32 v3, vcc_lo, 0, v6, vcc_lo
	s_delay_alu instid0(VALU_DEP_2) | instskip(NEXT) | instid1(VALU_DEP_2)
	v_add_co_u32 v0, vcc_lo, v0, v2
	v_add_co_ci_u32_e32 v1, vcc_lo, v1, v3, vcc_lo
	s_delay_alu instid0(VALU_DEP_2) | instskip(SKIP_1) | instid1(VALU_DEP_3)
	v_mul_hi_u32 v2, s2, v0
	v_mul_lo_u32 v6, s5, v0
	v_mul_lo_u32 v3, s2, v1
	s_delay_alu instid0(VALU_DEP_1) | instskip(SKIP_1) | instid1(VALU_DEP_2)
	v_add_nc_u32_e32 v2, v2, v3
	v_mul_lo_u32 v3, s2, v0
	v_add_nc_u32_e32 v2, v2, v6
	s_delay_alu instid0(VALU_DEP_2) | instskip(NEXT) | instid1(VALU_DEP_2)
	v_mul_hi_u32 v6, v0, v3
	v_mul_lo_u32 v7, v0, v2
	v_mul_hi_u32 v8, v0, v2
	v_mul_hi_u32 v10, v1, v3
	v_mul_lo_u32 v3, v1, v3
	v_mul_hi_u32 v11, v1, v2
	v_mul_lo_u32 v2, v1, v2
	v_add_co_u32 v6, vcc_lo, v6, v7
	v_add_co_ci_u32_e32 v7, vcc_lo, 0, v8, vcc_lo
	s_delay_alu instid0(VALU_DEP_2) | instskip(NEXT) | instid1(VALU_DEP_2)
	v_add_co_u32 v3, vcc_lo, v6, v3
	v_add_co_ci_u32_e32 v3, vcc_lo, v7, v10, vcc_lo
	v_add_co_ci_u32_e32 v6, vcc_lo, 0, v11, vcc_lo
	v_add_co_u32 v7, vcc_lo, v4, v9
	v_add_co_ci_u32_e32 v8, vcc_lo, v5, v9, vcc_lo
	s_delay_alu instid0(VALU_DEP_4) | instskip(NEXT) | instid1(VALU_DEP_4)
	v_add_co_u32 v2, vcc_lo, v3, v2
	v_add_co_ci_u32_e32 v3, vcc_lo, 0, v6, vcc_lo
	s_delay_alu instid0(VALU_DEP_4) | instskip(NEXT) | instid1(VALU_DEP_3)
	v_xor_b32_e32 v10, v7, v9
	v_add_co_u32 v6, vcc_lo, v0, v2
	s_delay_alu instid0(VALU_DEP_3) | instskip(SKIP_1) | instid1(VALU_DEP_3)
	v_add_co_ci_u32_e32 v11, vcc_lo, v1, v3, vcc_lo
	v_xor_b32_e32 v8, v8, v9
	v_mul_hi_u32 v12, v10, v6
	s_delay_alu instid0(VALU_DEP_3) | instskip(NEXT) | instid1(VALU_DEP_3)
	v_mad_u64_u32 v[0:1], null, v10, v11, 0
	v_mad_u64_u32 v[2:3], null, v8, v6, 0
	;; [unrolled: 1-line block ×3, first 2 shown]
	s_delay_alu instid0(VALU_DEP_3) | instskip(NEXT) | instid1(VALU_DEP_4)
	v_add_co_u32 v0, vcc_lo, v12, v0
	v_add_co_ci_u32_e32 v1, vcc_lo, 0, v1, vcc_lo
	s_delay_alu instid0(VALU_DEP_2) | instskip(NEXT) | instid1(VALU_DEP_2)
	v_add_co_u32 v0, vcc_lo, v0, v2
	v_add_co_ci_u32_e32 v0, vcc_lo, v1, v3, vcc_lo
	v_add_co_ci_u32_e32 v1, vcc_lo, 0, v7, vcc_lo
	s_delay_alu instid0(VALU_DEP_2) | instskip(NEXT) | instid1(VALU_DEP_2)
	v_add_co_u32 v2, vcc_lo, v0, v6
	v_add_co_ci_u32_e32 v3, vcc_lo, 0, v1, vcc_lo
	s_delay_alu instid0(VALU_DEP_2) | instskip(SKIP_1) | instid1(VALU_DEP_3)
	v_mul_lo_u32 v6, s7, v2
	v_mad_u64_u32 v[0:1], null, s6, v2, 0
	v_mul_lo_u32 v7, s6, v3
	s_delay_alu instid0(VALU_DEP_2) | instskip(NEXT) | instid1(VALU_DEP_2)
	v_sub_co_u32 v0, vcc_lo, v10, v0
	v_add3_u32 v1, v1, v7, v6
	s_delay_alu instid0(VALU_DEP_1) | instskip(NEXT) | instid1(VALU_DEP_1)
	v_sub_nc_u32_e32 v6, v8, v1
	v_subrev_co_ci_u32_e64 v6, s2, s7, v6, vcc_lo
	v_add_co_u32 v7, s2, v2, 2
	s_delay_alu instid0(VALU_DEP_1) | instskip(SKIP_3) | instid1(VALU_DEP_3)
	v_add_co_ci_u32_e64 v10, s2, 0, v3, s2
	v_sub_co_u32 v11, s2, v0, s6
	v_sub_co_ci_u32_e32 v1, vcc_lo, v8, v1, vcc_lo
	v_subrev_co_ci_u32_e64 v6, s2, 0, v6, s2
	v_cmp_le_u32_e32 vcc_lo, s6, v11
	s_delay_alu instid0(VALU_DEP_3) | instskip(SKIP_1) | instid1(VALU_DEP_4)
	v_cmp_eq_u32_e64 s2, s7, v1
	v_cndmask_b32_e64 v8, 0, -1, vcc_lo
	v_cmp_le_u32_e32 vcc_lo, s7, v6
	v_cndmask_b32_e64 v11, 0, -1, vcc_lo
	v_cmp_le_u32_e32 vcc_lo, s6, v0
	;; [unrolled: 2-line block ×3, first 2 shown]
	v_cndmask_b32_e64 v12, 0, -1, vcc_lo
	v_cmp_eq_u32_e32 vcc_lo, s7, v6
	s_delay_alu instid0(VALU_DEP_2) | instskip(SKIP_3) | instid1(VALU_DEP_3)
	v_cndmask_b32_e64 v0, v12, v0, s2
	v_cndmask_b32_e32 v6, v11, v8, vcc_lo
	v_add_co_u32 v8, vcc_lo, v2, 1
	v_add_co_ci_u32_e32 v11, vcc_lo, 0, v3, vcc_lo
	v_cmp_ne_u32_e32 vcc_lo, 0, v6
	s_delay_alu instid0(VALU_DEP_2) | instskip(SKIP_2) | instid1(VALU_DEP_3)
	v_dual_cndmask_b32 v1, v11, v10 :: v_dual_cndmask_b32 v6, v8, v7
	v_cmp_ne_u32_e32 vcc_lo, 0, v0
	v_xor_b32_e32 v0, s4, v9
	v_dual_cndmask_b32 v2, v2, v6 :: v_dual_cndmask_b32 v1, v3, v1
	s_delay_alu instid0(VALU_DEP_1) | instskip(NEXT) | instid1(VALU_DEP_2)
	v_xor_b32_e32 v2, v2, v0
	v_xor_b32_e32 v1, v1, v0
	s_delay_alu instid0(VALU_DEP_2) | instskip(NEXT) | instid1(VALU_DEP_2)
	v_sub_co_u32 v12, vcc_lo, v2, v0
	v_sub_co_ci_u32_e32 v13, vcc_lo, v1, v0, vcc_lo
.LBB212_3:
	s_or_saveexec_b32 s2, s3
	s_clause 0x1
	s_load_b256 s[4:11], s[0:1], 0x8
	s_load_b256 s[12:19], s[0:1], 0x60
	s_xor_b32 exec_lo, exec_lo, s2
	s_cbranch_execz .LBB212_5
; %bb.4:
	v_cvt_f32_u32_e32 v0, s22
	s_sub_i32 s3, 0, s22
	v_mov_b32_e32 v13, 0
	s_delay_alu instid0(VALU_DEP_2) | instskip(SKIP_2) | instid1(VALU_DEP_1)
	v_rcp_iflag_f32_e32 v0, v0
	s_waitcnt_depctr 0xfff
	v_mul_f32_e32 v0, 0x4f7ffffe, v0
	v_cvt_u32_f32_e32 v0, v0
	s_delay_alu instid0(VALU_DEP_1) | instskip(NEXT) | instid1(VALU_DEP_1)
	v_mul_lo_u32 v1, s3, v0
	v_mul_hi_u32 v1, v0, v1
	s_delay_alu instid0(VALU_DEP_1) | instskip(NEXT) | instid1(VALU_DEP_1)
	v_add_nc_u32_e32 v0, v0, v1
	v_mul_hi_u32 v0, v4, v0
	s_delay_alu instid0(VALU_DEP_1) | instskip(SKIP_1) | instid1(VALU_DEP_2)
	v_mul_lo_u32 v1, v0, s22
	v_add_nc_u32_e32 v2, 1, v0
	v_sub_nc_u32_e32 v1, v4, v1
	s_delay_alu instid0(VALU_DEP_1) | instskip(SKIP_1) | instid1(VALU_DEP_2)
	v_subrev_nc_u32_e32 v3, s22, v1
	v_cmp_le_u32_e32 vcc_lo, s22, v1
	v_dual_cndmask_b32 v1, v1, v3 :: v_dual_cndmask_b32 v0, v0, v2
	s_delay_alu instid0(VALU_DEP_1) | instskip(NEXT) | instid1(VALU_DEP_2)
	v_cmp_le_u32_e32 vcc_lo, s22, v1
	v_add_nc_u32_e32 v2, 1, v0
	s_delay_alu instid0(VALU_DEP_1)
	v_cndmask_b32_e32 v12, v0, v2, vcc_lo
.LBB212_5:
	s_or_b32 exec_lo, exec_lo, s2
	v_or_b32_e32 v1, s29, v13
	v_mov_b32_e32 v0, 0
                                        ; implicit-def: $vgpr6_vgpr7
	s_mov_b32 s2, exec_lo
	s_delay_alu instid0(VALU_DEP_1)
	v_cmpx_ne_u64_e32 0, v[0:1]
	s_xor_b32 s3, exec_lo, s2
	s_cbranch_execz .LBB212_7
; %bb.6:
	s_waitcnt lgkmcnt(0)
	s_ashr_i32 s18, s29, 31
	s_delay_alu instid0(SALU_CYCLE_1) | instskip(SKIP_2) | instid1(SALU_CYCLE_1)
	s_add_u32 s20, s28, s18
	s_mov_b32 s19, s18
	s_addc_u32 s21, s29, s18
	s_xor_b64 s[20:21], s[20:21], s[18:19]
	s_delay_alu instid0(SALU_CYCLE_1) | instskip(SKIP_3) | instid1(VALU_DEP_1)
	v_cvt_f32_u32_e32 v0, s20
	v_cvt_f32_u32_e32 v1, s21
	s_sub_u32 s2, 0, s20
	s_subb_u32 s19, 0, s21
	v_fmamk_f32 v0, v1, 0x4f800000, v0
	s_delay_alu instid0(VALU_DEP_1) | instskip(SKIP_2) | instid1(VALU_DEP_1)
	v_rcp_f32_e32 v0, v0
	s_waitcnt_depctr 0xfff
	v_mul_f32_e32 v0, 0x5f7ffffc, v0
	v_mul_f32_e32 v1, 0x2f800000, v0
	s_delay_alu instid0(VALU_DEP_1) | instskip(NEXT) | instid1(VALU_DEP_1)
	v_trunc_f32_e32 v1, v1
	v_fmamk_f32 v0, v1, 0xcf800000, v0
	v_cvt_u32_f32_e32 v1, v1
	s_delay_alu instid0(VALU_DEP_2) | instskip(NEXT) | instid1(VALU_DEP_2)
	v_cvt_u32_f32_e32 v0, v0
	v_mul_lo_u32 v2, s2, v1
	s_delay_alu instid0(VALU_DEP_2) | instskip(SKIP_1) | instid1(VALU_DEP_2)
	v_mul_hi_u32 v3, s2, v0
	v_mul_lo_u32 v6, s19, v0
	v_add_nc_u32_e32 v2, v3, v2
	v_mul_lo_u32 v3, s2, v0
	s_delay_alu instid0(VALU_DEP_2) | instskip(NEXT) | instid1(VALU_DEP_2)
	v_add_nc_u32_e32 v2, v2, v6
	v_mul_hi_u32 v6, v0, v3
	s_delay_alu instid0(VALU_DEP_2)
	v_mul_lo_u32 v7, v0, v2
	v_mul_hi_u32 v8, v0, v2
	v_mul_hi_u32 v9, v1, v3
	v_mul_lo_u32 v3, v1, v3
	v_mul_hi_u32 v10, v1, v2
	v_mul_lo_u32 v2, v1, v2
	v_add_co_u32 v6, vcc_lo, v6, v7
	v_add_co_ci_u32_e32 v7, vcc_lo, 0, v8, vcc_lo
	s_delay_alu instid0(VALU_DEP_2) | instskip(NEXT) | instid1(VALU_DEP_2)
	v_add_co_u32 v3, vcc_lo, v6, v3
	v_add_co_ci_u32_e32 v3, vcc_lo, v7, v9, vcc_lo
	v_add_co_ci_u32_e32 v6, vcc_lo, 0, v10, vcc_lo
	v_ashrrev_i32_e32 v9, 31, v13
	s_delay_alu instid0(VALU_DEP_3) | instskip(NEXT) | instid1(VALU_DEP_3)
	v_add_co_u32 v2, vcc_lo, v3, v2
	v_add_co_ci_u32_e32 v3, vcc_lo, 0, v6, vcc_lo
	s_delay_alu instid0(VALU_DEP_2) | instskip(NEXT) | instid1(VALU_DEP_2)
	v_add_co_u32 v0, vcc_lo, v0, v2
	v_add_co_ci_u32_e32 v1, vcc_lo, v1, v3, vcc_lo
	s_delay_alu instid0(VALU_DEP_2) | instskip(SKIP_1) | instid1(VALU_DEP_3)
	v_mul_hi_u32 v2, s2, v0
	v_mul_lo_u32 v6, s19, v0
	v_mul_lo_u32 v3, s2, v1
	s_delay_alu instid0(VALU_DEP_1) | instskip(SKIP_1) | instid1(VALU_DEP_2)
	v_add_nc_u32_e32 v2, v2, v3
	v_mul_lo_u32 v3, s2, v0
	v_add_nc_u32_e32 v2, v2, v6
	s_delay_alu instid0(VALU_DEP_2) | instskip(NEXT) | instid1(VALU_DEP_2)
	v_mul_hi_u32 v6, v0, v3
	v_mul_lo_u32 v7, v0, v2
	v_mul_hi_u32 v8, v0, v2
	v_mul_hi_u32 v10, v1, v3
	v_mul_lo_u32 v3, v1, v3
	v_mul_hi_u32 v11, v1, v2
	v_mul_lo_u32 v2, v1, v2
	v_add_co_u32 v6, vcc_lo, v6, v7
	v_add_co_ci_u32_e32 v7, vcc_lo, 0, v8, vcc_lo
	s_delay_alu instid0(VALU_DEP_2) | instskip(NEXT) | instid1(VALU_DEP_2)
	v_add_co_u32 v3, vcc_lo, v6, v3
	v_add_co_ci_u32_e32 v3, vcc_lo, v7, v10, vcc_lo
	v_add_co_ci_u32_e32 v6, vcc_lo, 0, v11, vcc_lo
	v_add_co_u32 v7, vcc_lo, v12, v9
	v_add_co_ci_u32_e32 v8, vcc_lo, v13, v9, vcc_lo
	s_delay_alu instid0(VALU_DEP_4) | instskip(NEXT) | instid1(VALU_DEP_4)
	v_add_co_u32 v2, vcc_lo, v3, v2
	v_add_co_ci_u32_e32 v3, vcc_lo, 0, v6, vcc_lo
	s_delay_alu instid0(VALU_DEP_4) | instskip(NEXT) | instid1(VALU_DEP_3)
	v_xor_b32_e32 v10, v7, v9
	v_add_co_u32 v6, vcc_lo, v0, v2
	s_delay_alu instid0(VALU_DEP_3) | instskip(SKIP_1) | instid1(VALU_DEP_3)
	v_add_co_ci_u32_e32 v11, vcc_lo, v1, v3, vcc_lo
	v_xor_b32_e32 v8, v8, v9
	v_mul_hi_u32 v14, v10, v6
	s_delay_alu instid0(VALU_DEP_3) | instskip(NEXT) | instid1(VALU_DEP_3)
	v_mad_u64_u32 v[0:1], null, v10, v11, 0
	v_mad_u64_u32 v[2:3], null, v8, v6, 0
	;; [unrolled: 1-line block ×3, first 2 shown]
	s_delay_alu instid0(VALU_DEP_3) | instskip(NEXT) | instid1(VALU_DEP_4)
	v_add_co_u32 v0, vcc_lo, v14, v0
	v_add_co_ci_u32_e32 v1, vcc_lo, 0, v1, vcc_lo
	s_delay_alu instid0(VALU_DEP_2) | instskip(NEXT) | instid1(VALU_DEP_2)
	v_add_co_u32 v0, vcc_lo, v0, v2
	v_add_co_ci_u32_e32 v0, vcc_lo, v1, v3, vcc_lo
	v_add_co_ci_u32_e32 v1, vcc_lo, 0, v7, vcc_lo
	s_delay_alu instid0(VALU_DEP_2) | instskip(NEXT) | instid1(VALU_DEP_2)
	v_add_co_u32 v2, vcc_lo, v0, v6
	v_add_co_ci_u32_e32 v3, vcc_lo, 0, v1, vcc_lo
	s_delay_alu instid0(VALU_DEP_2) | instskip(SKIP_1) | instid1(VALU_DEP_3)
	v_mul_lo_u32 v6, s21, v2
	v_mad_u64_u32 v[0:1], null, s20, v2, 0
	v_mul_lo_u32 v7, s20, v3
	s_delay_alu instid0(VALU_DEP_2) | instskip(NEXT) | instid1(VALU_DEP_2)
	v_sub_co_u32 v0, vcc_lo, v10, v0
	v_add3_u32 v1, v1, v7, v6
	s_delay_alu instid0(VALU_DEP_1) | instskip(NEXT) | instid1(VALU_DEP_1)
	v_sub_nc_u32_e32 v6, v8, v1
	v_subrev_co_ci_u32_e64 v6, s2, s21, v6, vcc_lo
	v_add_co_u32 v7, s2, v2, 2
	s_delay_alu instid0(VALU_DEP_1) | instskip(SKIP_3) | instid1(VALU_DEP_3)
	v_add_co_ci_u32_e64 v10, s2, 0, v3, s2
	v_sub_co_u32 v11, s2, v0, s20
	v_sub_co_ci_u32_e32 v1, vcc_lo, v8, v1, vcc_lo
	v_subrev_co_ci_u32_e64 v6, s2, 0, v6, s2
	v_cmp_le_u32_e32 vcc_lo, s20, v11
	s_delay_alu instid0(VALU_DEP_3) | instskip(SKIP_1) | instid1(VALU_DEP_4)
	v_cmp_eq_u32_e64 s2, s21, v1
	v_cndmask_b32_e64 v8, 0, -1, vcc_lo
	v_cmp_le_u32_e32 vcc_lo, s21, v6
	v_cndmask_b32_e64 v11, 0, -1, vcc_lo
	v_cmp_le_u32_e32 vcc_lo, s20, v0
	;; [unrolled: 2-line block ×3, first 2 shown]
	v_cndmask_b32_e64 v14, 0, -1, vcc_lo
	v_cmp_eq_u32_e32 vcc_lo, s21, v6
	s_delay_alu instid0(VALU_DEP_2) | instskip(SKIP_3) | instid1(VALU_DEP_3)
	v_cndmask_b32_e64 v0, v14, v0, s2
	v_cndmask_b32_e32 v6, v11, v8, vcc_lo
	v_add_co_u32 v8, vcc_lo, v2, 1
	v_add_co_ci_u32_e32 v11, vcc_lo, 0, v3, vcc_lo
	v_cmp_ne_u32_e32 vcc_lo, 0, v6
	s_delay_alu instid0(VALU_DEP_2) | instskip(SKIP_2) | instid1(VALU_DEP_3)
	v_dual_cndmask_b32 v1, v11, v10 :: v_dual_cndmask_b32 v6, v8, v7
	v_cmp_ne_u32_e32 vcc_lo, 0, v0
	v_xor_b32_e32 v0, s18, v9
	v_dual_cndmask_b32 v2, v2, v6 :: v_dual_cndmask_b32 v1, v3, v1
	s_delay_alu instid0(VALU_DEP_1) | instskip(NEXT) | instid1(VALU_DEP_2)
	v_xor_b32_e32 v2, v2, v0
	v_xor_b32_e32 v1, v1, v0
	s_delay_alu instid0(VALU_DEP_2) | instskip(NEXT) | instid1(VALU_DEP_2)
	v_sub_co_u32 v6, vcc_lo, v2, v0
	v_sub_co_ci_u32_e32 v7, vcc_lo, v1, v0, vcc_lo
.LBB212_7:
	s_and_not1_saveexec_b32 s2, s3
	s_cbranch_execz .LBB212_9
; %bb.8:
	v_cvt_f32_u32_e32 v0, s28
	s_sub_i32 s3, 0, s28
	v_mov_b32_e32 v7, 0
	s_delay_alu instid0(VALU_DEP_2) | instskip(SKIP_2) | instid1(VALU_DEP_1)
	v_rcp_iflag_f32_e32 v0, v0
	s_waitcnt_depctr 0xfff
	v_mul_f32_e32 v0, 0x4f7ffffe, v0
	v_cvt_u32_f32_e32 v0, v0
	s_delay_alu instid0(VALU_DEP_1) | instskip(NEXT) | instid1(VALU_DEP_1)
	v_mul_lo_u32 v1, s3, v0
	v_mul_hi_u32 v1, v0, v1
	s_delay_alu instid0(VALU_DEP_1) | instskip(NEXT) | instid1(VALU_DEP_1)
	v_add_nc_u32_e32 v0, v0, v1
	v_mul_hi_u32 v0, v12, v0
	s_delay_alu instid0(VALU_DEP_1) | instskip(SKIP_1) | instid1(VALU_DEP_2)
	v_mul_lo_u32 v1, v0, s28
	v_add_nc_u32_e32 v2, 1, v0
	v_sub_nc_u32_e32 v1, v12, v1
	s_delay_alu instid0(VALU_DEP_1) | instskip(SKIP_1) | instid1(VALU_DEP_2)
	v_subrev_nc_u32_e32 v3, s28, v1
	v_cmp_le_u32_e32 vcc_lo, s28, v1
	v_dual_cndmask_b32 v1, v1, v3 :: v_dual_cndmask_b32 v0, v0, v2
	s_delay_alu instid0(VALU_DEP_1) | instskip(NEXT) | instid1(VALU_DEP_2)
	v_cmp_le_u32_e32 vcc_lo, s28, v1
	v_add_nc_u32_e32 v2, 1, v0
	s_delay_alu instid0(VALU_DEP_1)
	v_cndmask_b32_e32 v6, v0, v2, vcc_lo
.LBB212_9:
	s_or_b32 exec_lo, exec_lo, s2
	s_waitcnt lgkmcnt(0)
	s_load_b32 s18, s[0:1], 0x38
	v_mul_lo_u32 v2, v7, s28
	v_mul_lo_u32 v3, v6, s29
	v_mad_u64_u32 v[14:15], null, v6, s28, 0
	s_load_b32 s1, s[0:1], 0x0
	v_mul_lo_u32 v18, v12, s23
	v_mad_u64_u32 v[10:11], null, v12, s22, 0
	s_delay_alu instid0(VALU_DEP_3)
	v_add3_u32 v15, v15, v3, v2
	s_waitcnt lgkmcnt(0)
	s_lshr_b32 s2, s18, 16
	s_add_u32 s3, s28, 1
	s_addc_u32 s19, s29, 0
	s_mul_i32 s17, s3, s17
	s_mul_hi_u32 s20, s3, s16
	s_mul_i32 s3, s3, s16
	s_mul_i32 s19, s19, s16
	s_add_i32 s16, s20, s17
	v_mul_lo_u32 v8, s3, v7
	s_add_i32 s16, s16, s19
	v_mad_u64_u32 v[0:1], null, s3, v6, 0
	v_mul_lo_u32 v9, s16, v6
	s_delay_alu instid0(VALU_DEP_1) | instskip(SKIP_2) | instid1(VALU_DEP_3)
	v_add3_u32 v1, v1, v8, v9
	v_sub_co_u32 v8, vcc_lo, v12, v14
	v_sub_co_ci_u32_e32 v9, vcc_lo, v13, v15, vcc_lo
	v_lshlrev_b64 v[0:1], 3, v[0:1]
	v_mul_lo_u32 v13, v13, s22
	s_delay_alu instid0(VALU_DEP_3) | instskip(NEXT) | instid1(VALU_DEP_3)
	v_lshlrev_b64 v[16:17], 3, v[8:9]
	v_add_co_u32 v0, vcc_lo, s10, v0
	s_delay_alu instid0(VALU_DEP_4) | instskip(NEXT) | instid1(VALU_DEP_4)
	v_add_co_ci_u32_e32 v1, vcc_lo, s11, v1, vcc_lo
	v_add3_u32 v11, v11, v18, v13
	s_delay_alu instid0(VALU_DEP_3) | instskip(NEXT) | instid1(VALU_DEP_3)
	v_add_co_u32 v0, vcc_lo, v0, v16
	v_add_co_ci_u32_e32 v1, vcc_lo, v1, v17, vcc_lo
	v_mov_b32_e32 v18, s2
	s_mov_b32 s10, exec_lo
	global_load_b128 v[0:3], v[0:1], off
	s_waitcnt vmcnt(0)
	v_cmpx_lt_i64_e64 v[0:1], v[2:3]
	s_cbranch_execz .LBB212_28
; %bb.10:
	v_mul_lo_u32 v18, v7, s26
	v_mul_lo_u32 v19, v6, s27
	v_mad_u64_u32 v[12:13], null, v6, s26, 0
	s_cmp_lg_u32 s1, 0
	s_cselect_b32 s11, -1, 0
	s_and_b32 s0, s1, -3
	s_delay_alu instid0(SALU_CYCLE_1) | instskip(NEXT) | instid1(VALU_DEP_1)
	s_cmp_lg_u32 s0, 1
	v_add3_u32 v13, v13, v19, v18
	v_lshlrev_b64 v[18:19], 1, v[0:1]
	s_delay_alu instid0(VALU_DEP_2) | instskip(NEXT) | instid1(VALU_DEP_1)
	v_lshlrev_b64 v[12:13], 1, v[12:13]
	v_add_co_u32 v20, vcc_lo, v12, v18
	s_delay_alu instid0(VALU_DEP_2) | instskip(SKIP_1) | instid1(VALU_DEP_3)
	v_add_co_ci_u32_e32 v18, vcc_lo, v13, v19, vcc_lo
	v_lshlrev_b64 v[12:13], 1, v[4:5]
	v_mul_lo_u32 v22, s25, v20
	s_delay_alu instid0(VALU_DEP_3) | instskip(NEXT) | instid1(VALU_DEP_3)
	v_mul_lo_u32 v21, s24, v18
	v_mad_u64_u32 v[18:19], null, s24, v20, v[12:13]
	v_lshlrev_b64 v[12:13], 1, v[10:11]
	s_delay_alu instid0(VALU_DEP_2) | instskip(NEXT) | instid1(VALU_DEP_2)
	v_add3_u32 v19, v22, v19, v21
	v_sub_co_u32 v12, vcc_lo, v18, v12
	s_delay_alu instid0(VALU_DEP_2) | instskip(NEXT) | instid1(VALU_DEP_2)
	v_sub_co_ci_u32_e32 v13, vcc_lo, v19, v13, vcc_lo
	v_add_co_u32 v12, vcc_lo, s6, v12
	v_mov_b32_e32 v19, s2
	s_delay_alu instid0(VALU_DEP_3)
	v_add_co_ci_u32_e32 v13, vcc_lo, s7, v13, vcc_lo
	s_mov_b32 s6, 0
	s_cselect_b32 s7, -1, 0
	s_lshl_b64 s[2:3], s[24:25], 1
	s_branch .LBB212_12
.LBB212_11:                             ;   in Loop: Header=BB212_12 Depth=1
	v_add_co_u32 v0, vcc_lo, v0, 1
	v_add_co_ci_u32_e32 v1, vcc_lo, 0, v1, vcc_lo
	v_add_co_u32 v12, s0, v12, s2
	s_delay_alu instid0(VALU_DEP_1) | instskip(NEXT) | instid1(VALU_DEP_3)
	v_add_co_ci_u32_e64 v13, s0, s3, v13, s0
	v_cmp_ge_i64_e32 vcc_lo, v[0:1], v[2:3]
	v_mov_b32_e32 v19, v18
	s_or_b32 s6, vcc_lo, s6
	s_delay_alu instid0(SALU_CYCLE_1)
	s_and_not1_b32 exec_lo, exec_lo, s6
	s_cbranch_execz .LBB212_27
.LBB212_12:                             ; =>This Inner Loop Header: Depth=1
	global_load_u16 v20, v[12:13], off
	s_and_b32 vcc_lo, exec_lo, s11
	s_cbranch_vccz .LBB212_18
; %bb.13:                               ;   in Loop: Header=BB212_12 Depth=1
	s_and_b32 vcc_lo, exec_lo, s7
	s_cbranch_vccz .LBB212_19
; %bb.14:                               ;   in Loop: Header=BB212_12 Depth=1
	s_cmp_lt_i32 s1, 4
	s_cbranch_scc1 .LBB212_20
; %bb.15:                               ;   in Loop: Header=BB212_12 Depth=1
	v_mov_b32_e32 v18, v19
	s_cmp_eq_u32 s1, 4
	s_cbranch_scc0 .LBB212_17
; %bb.16:                               ;   in Loop: Header=BB212_12 Depth=1
	s_waitcnt vmcnt(0)
	v_mul_f16_e32 v18, v19, v20
.LBB212_17:                             ;   in Loop: Header=BB212_12 Depth=1
	s_cbranch_execz .LBB212_21
	s_branch .LBB212_23
.LBB212_18:                             ;   in Loop: Header=BB212_12 Depth=1
                                        ; implicit-def: $vgpr18
	s_branch .LBB212_26
.LBB212_19:                             ;   in Loop: Header=BB212_12 Depth=1
                                        ; implicit-def: $vgpr18
	s_cbranch_execnz .LBB212_24
	s_branch .LBB212_25
.LBB212_20:                             ;   in Loop: Header=BB212_12 Depth=1
                                        ; implicit-def: $vgpr18
.LBB212_21:                             ;   in Loop: Header=BB212_12 Depth=1
	v_mov_b32_e32 v18, v19
	s_cmp_lg_u32 s1, 2
	s_cbranch_scc1 .LBB212_23
; %bb.22:                               ;   in Loop: Header=BB212_12 Depth=1
	s_waitcnt vmcnt(0)
	v_cmp_u_f16_e32 vcc_lo, v20, v20
	v_cmp_gt_f16_e64 s0, v19, v20
	s_delay_alu instid0(VALU_DEP_1)
	s_or_b32 vcc_lo, vcc_lo, s0
	v_cndmask_b32_e32 v18, v19, v20, vcc_lo
.LBB212_23:                             ;   in Loop: Header=BB212_12 Depth=1
	s_branch .LBB212_25
.LBB212_24:                             ;   in Loop: Header=BB212_12 Depth=1
	s_waitcnt vmcnt(0)
	v_add_f16_e32 v18, v19, v20
.LBB212_25:                             ;   in Loop: Header=BB212_12 Depth=1
	s_cbranch_execnz .LBB212_11
.LBB212_26:                             ;   in Loop: Header=BB212_12 Depth=1
	s_waitcnt vmcnt(0)
	v_cmp_u_f16_e32 vcc_lo, v20, v20
	v_cmp_lt_f16_e64 s0, v19, v20
	s_delay_alu instid0(VALU_DEP_1)
	s_or_b32 vcc_lo, vcc_lo, s0
	v_cndmask_b32_e32 v18, v19, v20, vcc_lo
	s_branch .LBB212_11
.LBB212_27:
	s_or_b32 exec_lo, exec_lo, s6
.LBB212_28:
	s_delay_alu instid0(SALU_CYCLE_1) | instskip(SKIP_4) | instid1(VALU_DEP_1)
	s_or_b32 exec_lo, exec_lo, s10
	v_mul_lo_u32 v2, v15, s30
	v_mul_lo_u32 v3, v14, s31
	v_mad_u64_u32 v[0:1], null, v14, s30, 0
	s_mov_b32 s0, exec_lo
	v_add3_u32 v1, v1, v3, v2
	s_delay_alu instid0(VALU_DEP_1) | instskip(NEXT) | instid1(VALU_DEP_1)
	v_lshlrev_b64 v[0:1], 3, v[0:1]
	v_add_co_u32 v0, vcc_lo, s8, v0
	s_delay_alu instid0(VALU_DEP_2) | instskip(NEXT) | instid1(VALU_DEP_2)
	v_add_co_ci_u32_e32 v1, vcc_lo, s9, v1, vcc_lo
	v_add_co_u32 v0, vcc_lo, v0, v16
	s_delay_alu instid0(VALU_DEP_2)
	v_add_co_ci_u32_e32 v1, vcc_lo, v1, v17, vcc_lo
	global_load_b64 v[0:1], v[0:1], off
	s_waitcnt vmcnt(0)
	v_cmpx_lt_i64_e32 -1, v[0:1]
	s_xor_b32 s0, exec_lo, s0
	s_cbranch_execz .LBB212_36
; %bb.29:
	s_bitcmp1_b32 s18, 0
	v_cmp_ne_u64_e32 vcc_lo, 0, v[0:1]
	s_cselect_b32 s2, -1, 0
	s_cmp_lg_u32 s1, 1
	v_mov_b32_e32 v2, 0x7e00
	s_cselect_b32 s3, -1, 0
	s_delay_alu instid0(SALU_CYCLE_1) | instskip(NEXT) | instid1(SALU_CYCLE_1)
	s_or_b32 s2, s3, s2
	s_or_b32 s3, s2, vcc_lo
	s_delay_alu instid0(SALU_CYCLE_1)
	s_and_saveexec_b32 s2, s3
	s_cbranch_execz .LBB212_35
; %bb.30:
	s_cmp_eq_u32 s1, 1
	s_cselect_b32 s1, -1, 0
	s_delay_alu instid0(SALU_CYCLE_1) | instskip(NEXT) | instid1(SALU_CYCLE_1)
	s_and_b32 s3, s1, vcc_lo
	s_and_saveexec_b32 s1, s3
	s_cbranch_execz .LBB212_34
; %bb.31:
	s_mov_b32 s3, exec_lo
	v_cmpx_o_f16_e32 v18, v18
	s_cbranch_execz .LBB212_33
; %bb.32:
	v_clz_i32_u32_e32 v2, v1
	s_delay_alu instid0(VALU_DEP_1) | instskip(NEXT) | instid1(VALU_DEP_1)
	v_min_u32_e32 v2, 32, v2
	v_lshlrev_b64 v[0:1], v2, v[0:1]
	s_delay_alu instid0(VALU_DEP_1) | instskip(NEXT) | instid1(VALU_DEP_1)
	v_min_u32_e32 v0, 1, v0
	v_or_b32_e32 v0, v1, v0
	v_sub_nc_u32_e32 v1, 32, v2
	v_cvt_f32_f16_e32 v2, v18
	s_delay_alu instid0(VALU_DEP_3) | instskip(NEXT) | instid1(VALU_DEP_1)
	v_cvt_f32_u32_e32 v0, v0
	v_ldexp_f32 v0, v0, v1
	s_delay_alu instid0(VALU_DEP_1) | instskip(NEXT) | instid1(VALU_DEP_1)
	v_cvt_f16_f32_e32 v0, v0
	v_cvt_f32_f16_e32 v1, v0
	s_delay_alu instid0(VALU_DEP_1) | instskip(SKIP_2) | instid1(VALU_DEP_1)
	v_rcp_f32_e32 v1, v1
	s_waitcnt_depctr 0xfff
	v_mul_f32_e32 v2, v2, v1
	v_fma_mix_f32 v3, -v0, v2, v18 op_sel_hi:[1,0,1]
	s_delay_alu instid0(VALU_DEP_1) | instskip(NEXT) | instid1(VALU_DEP_1)
	v_fmac_f32_e32 v2, v3, v1
	v_fma_mix_f32 v3, -v0, v2, v18 op_sel_hi:[1,0,1]
	s_delay_alu instid0(VALU_DEP_1) | instskip(NEXT) | instid1(VALU_DEP_1)
	v_mul_f32_e32 v1, v3, v1
	v_and_b32_e32 v1, 0xff800000, v1
	s_delay_alu instid0(VALU_DEP_1) | instskip(NEXT) | instid1(VALU_DEP_1)
	v_add_f32_e32 v1, v1, v2
	v_cvt_f16_f32_e32 v1, v1
	s_delay_alu instid0(VALU_DEP_1)
	v_div_fixup_f16 v18, v1, v0, v18
.LBB212_33:
	s_or_b32 exec_lo, exec_lo, s3
.LBB212_34:
	s_delay_alu instid0(SALU_CYCLE_1) | instskip(NEXT) | instid1(VALU_DEP_1)
	s_or_b32 exec_lo, exec_lo, s1
	v_mov_b32_e32 v2, v18
.LBB212_35:
	s_or_b32 exec_lo, exec_lo, s2
	s_mul_i32 s1, s14, s13
	s_mul_hi_u32 s2, s14, s12
	s_mul_i32 s3, s15, s12
	s_add_i32 s1, s2, s1
	s_mul_i32 s2, s14, s12
	s_add_i32 s1, s1, s3
	v_mul_lo_u32 v12, s2, v7
	v_mul_lo_u32 v3, s1, v6
	v_mad_u64_u32 v[0:1], null, s2, v6, 0
	v_mul_lo_u32 v9, v9, s12
	v_mul_lo_u32 v13, v8, s13
	v_mad_u64_u32 v[6:7], null, v8, s12, 0
	s_delay_alu instid0(VALU_DEP_4) | instskip(SKIP_2) | instid1(VALU_DEP_4)
	v_add3_u32 v1, v1, v12, v3
	v_sub_co_u32 v3, vcc_lo, v4, v10
	v_sub_co_ci_u32_e32 v4, vcc_lo, v5, v11, vcc_lo
	v_add3_u32 v7, v7, v13, v9
	s_delay_alu instid0(VALU_DEP_4) | instskip(NEXT) | instid1(VALU_DEP_2)
	v_lshlrev_b64 v[0:1], 1, v[0:1]
	v_lshlrev_b64 v[5:6], 1, v[6:7]
	s_delay_alu instid0(VALU_DEP_2) | instskip(NEXT) | instid1(VALU_DEP_3)
	v_add_co_u32 v7, vcc_lo, s4, v0
	v_add_co_ci_u32_e32 v8, vcc_lo, s5, v1, vcc_lo
	v_lshlrev_b64 v[0:1], 1, v[3:4]
	s_delay_alu instid0(VALU_DEP_3) | instskip(NEXT) | instid1(VALU_DEP_3)
	v_add_co_u32 v3, vcc_lo, v7, v5
	v_add_co_ci_u32_e32 v4, vcc_lo, v8, v6, vcc_lo
	s_delay_alu instid0(VALU_DEP_2) | instskip(NEXT) | instid1(VALU_DEP_2)
	v_add_co_u32 v0, vcc_lo, v3, v0
	v_add_co_ci_u32_e32 v1, vcc_lo, v4, v1, vcc_lo
	global_store_b16 v[0:1], v2, off
.LBB212_36:
	s_and_not1_saveexec_b32 s0, s0
	s_cbranch_execnz .LBB212_38
.LBB212_37:
	s_nop 0
	s_sendmsg sendmsg(MSG_DEALLOC_VGPRS)
	s_endpgm
.LBB212_38:
	s_cbranch_execnz .LBB212_40
; %bb.39:
	; divergent unreachable
	s_nop 0
	s_sendmsg sendmsg(MSG_DEALLOC_VGPRS)
	s_endpgm
.LBB212_40:
	s_trap 2
	s_sendmsg_rtn_b32 s0, sendmsg(MSG_RTN_GET_DOORBELL)
	s_mov_b32 ttmp2, m0
	s_waitcnt lgkmcnt(0)
	s_and_b32 s0, s0, 0x3ff
	s_delay_alu instid0(SALU_CYCLE_1) | instskip(NEXT) | instid1(SALU_CYCLE_1)
	s_bitset1_b32 s0, 10
	s_mov_b32 m0, s0
	s_sendmsg sendmsg(MSG_INTERRUPT)
	s_mov_b32 m0, ttmp2
.LBB212_41:                             ; =>This Inner Loop Header: Depth=1
	s_sethalt 5
	s_branch .LBB212_41
	.section	.rodata,"a",@progbits
	.p2align	6, 0x0
	.amdhsa_kernel _ZN2at6native12_GLOBAL__N_129segment_reduce_forward_kernelIN3c104HalfElEEvNS0_13ReductionTypeEPT_PKS6_PKT0_SC_llbS6_lllllll
		.amdhsa_group_segment_fixed_size 0
		.amdhsa_private_segment_fixed_size 0
		.amdhsa_kernarg_size 376
		.amdhsa_user_sgpr_count 15
		.amdhsa_user_sgpr_dispatch_ptr 0
		.amdhsa_user_sgpr_queue_ptr 0
		.amdhsa_user_sgpr_kernarg_segment_ptr 1
		.amdhsa_user_sgpr_dispatch_id 0
		.amdhsa_user_sgpr_private_segment_size 0
		.amdhsa_wavefront_size32 1
		.amdhsa_uses_dynamic_stack 0
		.amdhsa_enable_private_segment 0
		.amdhsa_system_sgpr_workgroup_id_x 1
		.amdhsa_system_sgpr_workgroup_id_y 0
		.amdhsa_system_sgpr_workgroup_id_z 0
		.amdhsa_system_sgpr_workgroup_info 0
		.amdhsa_system_vgpr_workitem_id 0
		.amdhsa_next_free_vgpr 23
		.amdhsa_next_free_sgpr 32
		.amdhsa_reserve_vcc 1
		.amdhsa_float_round_mode_32 0
		.amdhsa_float_round_mode_16_64 0
		.amdhsa_float_denorm_mode_32 3
		.amdhsa_float_denorm_mode_16_64 3
		.amdhsa_dx10_clamp 1
		.amdhsa_ieee_mode 1
		.amdhsa_fp16_overflow 0
		.amdhsa_workgroup_processor_mode 1
		.amdhsa_memory_ordered 1
		.amdhsa_forward_progress 0
		.amdhsa_shared_vgpr_count 0
		.amdhsa_exception_fp_ieee_invalid_op 0
		.amdhsa_exception_fp_denorm_src 0
		.amdhsa_exception_fp_ieee_div_zero 0
		.amdhsa_exception_fp_ieee_overflow 0
		.amdhsa_exception_fp_ieee_underflow 0
		.amdhsa_exception_fp_ieee_inexact 0
		.amdhsa_exception_int_div_zero 0
	.end_amdhsa_kernel
	.section	.text._ZN2at6native12_GLOBAL__N_129segment_reduce_forward_kernelIN3c104HalfElEEvNS0_13ReductionTypeEPT_PKS6_PKT0_SC_llbS6_lllllll,"axG",@progbits,_ZN2at6native12_GLOBAL__N_129segment_reduce_forward_kernelIN3c104HalfElEEvNS0_13ReductionTypeEPT_PKS6_PKT0_SC_llbS6_lllllll,comdat
.Lfunc_end212:
	.size	_ZN2at6native12_GLOBAL__N_129segment_reduce_forward_kernelIN3c104HalfElEEvNS0_13ReductionTypeEPT_PKS6_PKT0_SC_llbS6_lllllll, .Lfunc_end212-_ZN2at6native12_GLOBAL__N_129segment_reduce_forward_kernelIN3c104HalfElEEvNS0_13ReductionTypeEPT_PKS6_PKT0_SC_llbS6_lllllll
                                        ; -- End function
	.section	.AMDGPU.csdata,"",@progbits
; Kernel info:
; codeLenInByte = 3460
; NumSgprs: 34
; NumVgprs: 23
; ScratchSize: 0
; MemoryBound: 0
; FloatMode: 240
; IeeeMode: 1
; LDSByteSize: 0 bytes/workgroup (compile time only)
; SGPRBlocks: 4
; VGPRBlocks: 2
; NumSGPRsForWavesPerEU: 34
; NumVGPRsForWavesPerEU: 23
; Occupancy: 16
; WaveLimiterHint : 0
; COMPUTE_PGM_RSRC2:SCRATCH_EN: 0
; COMPUTE_PGM_RSRC2:USER_SGPR: 15
; COMPUTE_PGM_RSRC2:TRAP_HANDLER: 0
; COMPUTE_PGM_RSRC2:TGID_X_EN: 1
; COMPUTE_PGM_RSRC2:TGID_Y_EN: 0
; COMPUTE_PGM_RSRC2:TGID_Z_EN: 0
; COMPUTE_PGM_RSRC2:TIDIG_COMP_CNT: 0
	.section	.text._ZN7rocprim17ROCPRIM_400000_NS6detail17trampoline_kernelINS0_14default_configENS1_32segmented_reduce_config_selectorIN3c104HalfEEEZNS1_21segmented_reduce_implIS3_PKS6_PS6_PKlS6_N6hipcub16HIPCUB_304000_NS6detail27convert_result_type_wrapperISA_SB_N2at6native12_GLOBAL__N_19CustomMaxEEEEE10hipError_tPvRmT0_T1_jT2_SS_T4_T3_P12ihipStream_tbEUlT_E_NS1_11comp_targetILNS1_3genE0ELNS1_11target_archE4294967295ELNS1_3gpuE0ELNS1_3repE0EEENS1_30default_config_static_selectorELNS0_4arch9wavefront6targetE0EEEvSR_,"axG",@progbits,_ZN7rocprim17ROCPRIM_400000_NS6detail17trampoline_kernelINS0_14default_configENS1_32segmented_reduce_config_selectorIN3c104HalfEEEZNS1_21segmented_reduce_implIS3_PKS6_PS6_PKlS6_N6hipcub16HIPCUB_304000_NS6detail27convert_result_type_wrapperISA_SB_N2at6native12_GLOBAL__N_19CustomMaxEEEEE10hipError_tPvRmT0_T1_jT2_SS_T4_T3_P12ihipStream_tbEUlT_E_NS1_11comp_targetILNS1_3genE0ELNS1_11target_archE4294967295ELNS1_3gpuE0ELNS1_3repE0EEENS1_30default_config_static_selectorELNS0_4arch9wavefront6targetE0EEEvSR_,comdat
	.globl	_ZN7rocprim17ROCPRIM_400000_NS6detail17trampoline_kernelINS0_14default_configENS1_32segmented_reduce_config_selectorIN3c104HalfEEEZNS1_21segmented_reduce_implIS3_PKS6_PS6_PKlS6_N6hipcub16HIPCUB_304000_NS6detail27convert_result_type_wrapperISA_SB_N2at6native12_GLOBAL__N_19CustomMaxEEEEE10hipError_tPvRmT0_T1_jT2_SS_T4_T3_P12ihipStream_tbEUlT_E_NS1_11comp_targetILNS1_3genE0ELNS1_11target_archE4294967295ELNS1_3gpuE0ELNS1_3repE0EEENS1_30default_config_static_selectorELNS0_4arch9wavefront6targetE0EEEvSR_ ; -- Begin function _ZN7rocprim17ROCPRIM_400000_NS6detail17trampoline_kernelINS0_14default_configENS1_32segmented_reduce_config_selectorIN3c104HalfEEEZNS1_21segmented_reduce_implIS3_PKS6_PS6_PKlS6_N6hipcub16HIPCUB_304000_NS6detail27convert_result_type_wrapperISA_SB_N2at6native12_GLOBAL__N_19CustomMaxEEEEE10hipError_tPvRmT0_T1_jT2_SS_T4_T3_P12ihipStream_tbEUlT_E_NS1_11comp_targetILNS1_3genE0ELNS1_11target_archE4294967295ELNS1_3gpuE0ELNS1_3repE0EEENS1_30default_config_static_selectorELNS0_4arch9wavefront6targetE0EEEvSR_
	.p2align	8
	.type	_ZN7rocprim17ROCPRIM_400000_NS6detail17trampoline_kernelINS0_14default_configENS1_32segmented_reduce_config_selectorIN3c104HalfEEEZNS1_21segmented_reduce_implIS3_PKS6_PS6_PKlS6_N6hipcub16HIPCUB_304000_NS6detail27convert_result_type_wrapperISA_SB_N2at6native12_GLOBAL__N_19CustomMaxEEEEE10hipError_tPvRmT0_T1_jT2_SS_T4_T3_P12ihipStream_tbEUlT_E_NS1_11comp_targetILNS1_3genE0ELNS1_11target_archE4294967295ELNS1_3gpuE0ELNS1_3repE0EEENS1_30default_config_static_selectorELNS0_4arch9wavefront6targetE0EEEvSR_,@function
_ZN7rocprim17ROCPRIM_400000_NS6detail17trampoline_kernelINS0_14default_configENS1_32segmented_reduce_config_selectorIN3c104HalfEEEZNS1_21segmented_reduce_implIS3_PKS6_PS6_PKlS6_N6hipcub16HIPCUB_304000_NS6detail27convert_result_type_wrapperISA_SB_N2at6native12_GLOBAL__N_19CustomMaxEEEEE10hipError_tPvRmT0_T1_jT2_SS_T4_T3_P12ihipStream_tbEUlT_E_NS1_11comp_targetILNS1_3genE0ELNS1_11target_archE4294967295ELNS1_3gpuE0ELNS1_3repE0EEENS1_30default_config_static_selectorELNS0_4arch9wavefront6targetE0EEEvSR_: ; @_ZN7rocprim17ROCPRIM_400000_NS6detail17trampoline_kernelINS0_14default_configENS1_32segmented_reduce_config_selectorIN3c104HalfEEEZNS1_21segmented_reduce_implIS3_PKS6_PS6_PKlS6_N6hipcub16HIPCUB_304000_NS6detail27convert_result_type_wrapperISA_SB_N2at6native12_GLOBAL__N_19CustomMaxEEEEE10hipError_tPvRmT0_T1_jT2_SS_T4_T3_P12ihipStream_tbEUlT_E_NS1_11comp_targetILNS1_3genE0ELNS1_11target_archE4294967295ELNS1_3gpuE0ELNS1_3repE0EEENS1_30default_config_static_selectorELNS0_4arch9wavefront6targetE0EEEvSR_
; %bb.0:
	.section	.rodata,"a",@progbits
	.p2align	6, 0x0
	.amdhsa_kernel _ZN7rocprim17ROCPRIM_400000_NS6detail17trampoline_kernelINS0_14default_configENS1_32segmented_reduce_config_selectorIN3c104HalfEEEZNS1_21segmented_reduce_implIS3_PKS6_PS6_PKlS6_N6hipcub16HIPCUB_304000_NS6detail27convert_result_type_wrapperISA_SB_N2at6native12_GLOBAL__N_19CustomMaxEEEEE10hipError_tPvRmT0_T1_jT2_SS_T4_T3_P12ihipStream_tbEUlT_E_NS1_11comp_targetILNS1_3genE0ELNS1_11target_archE4294967295ELNS1_3gpuE0ELNS1_3repE0EEENS1_30default_config_static_selectorELNS0_4arch9wavefront6targetE0EEEvSR_
		.amdhsa_group_segment_fixed_size 0
		.amdhsa_private_segment_fixed_size 0
		.amdhsa_kernarg_size 48
		.amdhsa_user_sgpr_count 15
		.amdhsa_user_sgpr_dispatch_ptr 0
		.amdhsa_user_sgpr_queue_ptr 0
		.amdhsa_user_sgpr_kernarg_segment_ptr 1
		.amdhsa_user_sgpr_dispatch_id 0
		.amdhsa_user_sgpr_private_segment_size 0
		.amdhsa_wavefront_size32 1
		.amdhsa_uses_dynamic_stack 0
		.amdhsa_enable_private_segment 0
		.amdhsa_system_sgpr_workgroup_id_x 1
		.amdhsa_system_sgpr_workgroup_id_y 0
		.amdhsa_system_sgpr_workgroup_id_z 0
		.amdhsa_system_sgpr_workgroup_info 0
		.amdhsa_system_vgpr_workitem_id 0
		.amdhsa_next_free_vgpr 1
		.amdhsa_next_free_sgpr 1
		.amdhsa_reserve_vcc 0
		.amdhsa_float_round_mode_32 0
		.amdhsa_float_round_mode_16_64 0
		.amdhsa_float_denorm_mode_32 3
		.amdhsa_float_denorm_mode_16_64 3
		.amdhsa_dx10_clamp 1
		.amdhsa_ieee_mode 1
		.amdhsa_fp16_overflow 0
		.amdhsa_workgroup_processor_mode 1
		.amdhsa_memory_ordered 1
		.amdhsa_forward_progress 0
		.amdhsa_shared_vgpr_count 0
		.amdhsa_exception_fp_ieee_invalid_op 0
		.amdhsa_exception_fp_denorm_src 0
		.amdhsa_exception_fp_ieee_div_zero 0
		.amdhsa_exception_fp_ieee_overflow 0
		.amdhsa_exception_fp_ieee_underflow 0
		.amdhsa_exception_fp_ieee_inexact 0
		.amdhsa_exception_int_div_zero 0
	.end_amdhsa_kernel
	.section	.text._ZN7rocprim17ROCPRIM_400000_NS6detail17trampoline_kernelINS0_14default_configENS1_32segmented_reduce_config_selectorIN3c104HalfEEEZNS1_21segmented_reduce_implIS3_PKS6_PS6_PKlS6_N6hipcub16HIPCUB_304000_NS6detail27convert_result_type_wrapperISA_SB_N2at6native12_GLOBAL__N_19CustomMaxEEEEE10hipError_tPvRmT0_T1_jT2_SS_T4_T3_P12ihipStream_tbEUlT_E_NS1_11comp_targetILNS1_3genE0ELNS1_11target_archE4294967295ELNS1_3gpuE0ELNS1_3repE0EEENS1_30default_config_static_selectorELNS0_4arch9wavefront6targetE0EEEvSR_,"axG",@progbits,_ZN7rocprim17ROCPRIM_400000_NS6detail17trampoline_kernelINS0_14default_configENS1_32segmented_reduce_config_selectorIN3c104HalfEEEZNS1_21segmented_reduce_implIS3_PKS6_PS6_PKlS6_N6hipcub16HIPCUB_304000_NS6detail27convert_result_type_wrapperISA_SB_N2at6native12_GLOBAL__N_19CustomMaxEEEEE10hipError_tPvRmT0_T1_jT2_SS_T4_T3_P12ihipStream_tbEUlT_E_NS1_11comp_targetILNS1_3genE0ELNS1_11target_archE4294967295ELNS1_3gpuE0ELNS1_3repE0EEENS1_30default_config_static_selectorELNS0_4arch9wavefront6targetE0EEEvSR_,comdat
.Lfunc_end213:
	.size	_ZN7rocprim17ROCPRIM_400000_NS6detail17trampoline_kernelINS0_14default_configENS1_32segmented_reduce_config_selectorIN3c104HalfEEEZNS1_21segmented_reduce_implIS3_PKS6_PS6_PKlS6_N6hipcub16HIPCUB_304000_NS6detail27convert_result_type_wrapperISA_SB_N2at6native12_GLOBAL__N_19CustomMaxEEEEE10hipError_tPvRmT0_T1_jT2_SS_T4_T3_P12ihipStream_tbEUlT_E_NS1_11comp_targetILNS1_3genE0ELNS1_11target_archE4294967295ELNS1_3gpuE0ELNS1_3repE0EEENS1_30default_config_static_selectorELNS0_4arch9wavefront6targetE0EEEvSR_, .Lfunc_end213-_ZN7rocprim17ROCPRIM_400000_NS6detail17trampoline_kernelINS0_14default_configENS1_32segmented_reduce_config_selectorIN3c104HalfEEEZNS1_21segmented_reduce_implIS3_PKS6_PS6_PKlS6_N6hipcub16HIPCUB_304000_NS6detail27convert_result_type_wrapperISA_SB_N2at6native12_GLOBAL__N_19CustomMaxEEEEE10hipError_tPvRmT0_T1_jT2_SS_T4_T3_P12ihipStream_tbEUlT_E_NS1_11comp_targetILNS1_3genE0ELNS1_11target_archE4294967295ELNS1_3gpuE0ELNS1_3repE0EEENS1_30default_config_static_selectorELNS0_4arch9wavefront6targetE0EEEvSR_
                                        ; -- End function
	.section	.AMDGPU.csdata,"",@progbits
; Kernel info:
; codeLenInByte = 0
; NumSgprs: 0
; NumVgprs: 0
; ScratchSize: 0
; MemoryBound: 0
; FloatMode: 240
; IeeeMode: 1
; LDSByteSize: 0 bytes/workgroup (compile time only)
; SGPRBlocks: 0
; VGPRBlocks: 0
; NumSGPRsForWavesPerEU: 1
; NumVGPRsForWavesPerEU: 1
; Occupancy: 16
; WaveLimiterHint : 0
; COMPUTE_PGM_RSRC2:SCRATCH_EN: 0
; COMPUTE_PGM_RSRC2:USER_SGPR: 15
; COMPUTE_PGM_RSRC2:TRAP_HANDLER: 0
; COMPUTE_PGM_RSRC2:TGID_X_EN: 1
; COMPUTE_PGM_RSRC2:TGID_Y_EN: 0
; COMPUTE_PGM_RSRC2:TGID_Z_EN: 0
; COMPUTE_PGM_RSRC2:TIDIG_COMP_CNT: 0
	.section	.text._ZN7rocprim17ROCPRIM_400000_NS6detail17trampoline_kernelINS0_14default_configENS1_32segmented_reduce_config_selectorIN3c104HalfEEEZNS1_21segmented_reduce_implIS3_PKS6_PS6_PKlS6_N6hipcub16HIPCUB_304000_NS6detail27convert_result_type_wrapperISA_SB_N2at6native12_GLOBAL__N_19CustomMaxEEEEE10hipError_tPvRmT0_T1_jT2_SS_T4_T3_P12ihipStream_tbEUlT_E_NS1_11comp_targetILNS1_3genE5ELNS1_11target_archE942ELNS1_3gpuE9ELNS1_3repE0EEENS1_30default_config_static_selectorELNS0_4arch9wavefront6targetE0EEEvSR_,"axG",@progbits,_ZN7rocprim17ROCPRIM_400000_NS6detail17trampoline_kernelINS0_14default_configENS1_32segmented_reduce_config_selectorIN3c104HalfEEEZNS1_21segmented_reduce_implIS3_PKS6_PS6_PKlS6_N6hipcub16HIPCUB_304000_NS6detail27convert_result_type_wrapperISA_SB_N2at6native12_GLOBAL__N_19CustomMaxEEEEE10hipError_tPvRmT0_T1_jT2_SS_T4_T3_P12ihipStream_tbEUlT_E_NS1_11comp_targetILNS1_3genE5ELNS1_11target_archE942ELNS1_3gpuE9ELNS1_3repE0EEENS1_30default_config_static_selectorELNS0_4arch9wavefront6targetE0EEEvSR_,comdat
	.globl	_ZN7rocprim17ROCPRIM_400000_NS6detail17trampoline_kernelINS0_14default_configENS1_32segmented_reduce_config_selectorIN3c104HalfEEEZNS1_21segmented_reduce_implIS3_PKS6_PS6_PKlS6_N6hipcub16HIPCUB_304000_NS6detail27convert_result_type_wrapperISA_SB_N2at6native12_GLOBAL__N_19CustomMaxEEEEE10hipError_tPvRmT0_T1_jT2_SS_T4_T3_P12ihipStream_tbEUlT_E_NS1_11comp_targetILNS1_3genE5ELNS1_11target_archE942ELNS1_3gpuE9ELNS1_3repE0EEENS1_30default_config_static_selectorELNS0_4arch9wavefront6targetE0EEEvSR_ ; -- Begin function _ZN7rocprim17ROCPRIM_400000_NS6detail17trampoline_kernelINS0_14default_configENS1_32segmented_reduce_config_selectorIN3c104HalfEEEZNS1_21segmented_reduce_implIS3_PKS6_PS6_PKlS6_N6hipcub16HIPCUB_304000_NS6detail27convert_result_type_wrapperISA_SB_N2at6native12_GLOBAL__N_19CustomMaxEEEEE10hipError_tPvRmT0_T1_jT2_SS_T4_T3_P12ihipStream_tbEUlT_E_NS1_11comp_targetILNS1_3genE5ELNS1_11target_archE942ELNS1_3gpuE9ELNS1_3repE0EEENS1_30default_config_static_selectorELNS0_4arch9wavefront6targetE0EEEvSR_
	.p2align	8
	.type	_ZN7rocprim17ROCPRIM_400000_NS6detail17trampoline_kernelINS0_14default_configENS1_32segmented_reduce_config_selectorIN3c104HalfEEEZNS1_21segmented_reduce_implIS3_PKS6_PS6_PKlS6_N6hipcub16HIPCUB_304000_NS6detail27convert_result_type_wrapperISA_SB_N2at6native12_GLOBAL__N_19CustomMaxEEEEE10hipError_tPvRmT0_T1_jT2_SS_T4_T3_P12ihipStream_tbEUlT_E_NS1_11comp_targetILNS1_3genE5ELNS1_11target_archE942ELNS1_3gpuE9ELNS1_3repE0EEENS1_30default_config_static_selectorELNS0_4arch9wavefront6targetE0EEEvSR_,@function
_ZN7rocprim17ROCPRIM_400000_NS6detail17trampoline_kernelINS0_14default_configENS1_32segmented_reduce_config_selectorIN3c104HalfEEEZNS1_21segmented_reduce_implIS3_PKS6_PS6_PKlS6_N6hipcub16HIPCUB_304000_NS6detail27convert_result_type_wrapperISA_SB_N2at6native12_GLOBAL__N_19CustomMaxEEEEE10hipError_tPvRmT0_T1_jT2_SS_T4_T3_P12ihipStream_tbEUlT_E_NS1_11comp_targetILNS1_3genE5ELNS1_11target_archE942ELNS1_3gpuE9ELNS1_3repE0EEENS1_30default_config_static_selectorELNS0_4arch9wavefront6targetE0EEEvSR_: ; @_ZN7rocprim17ROCPRIM_400000_NS6detail17trampoline_kernelINS0_14default_configENS1_32segmented_reduce_config_selectorIN3c104HalfEEEZNS1_21segmented_reduce_implIS3_PKS6_PS6_PKlS6_N6hipcub16HIPCUB_304000_NS6detail27convert_result_type_wrapperISA_SB_N2at6native12_GLOBAL__N_19CustomMaxEEEEE10hipError_tPvRmT0_T1_jT2_SS_T4_T3_P12ihipStream_tbEUlT_E_NS1_11comp_targetILNS1_3genE5ELNS1_11target_archE942ELNS1_3gpuE9ELNS1_3repE0EEENS1_30default_config_static_selectorELNS0_4arch9wavefront6targetE0EEEvSR_
; %bb.0:
	.section	.rodata,"a",@progbits
	.p2align	6, 0x0
	.amdhsa_kernel _ZN7rocprim17ROCPRIM_400000_NS6detail17trampoline_kernelINS0_14default_configENS1_32segmented_reduce_config_selectorIN3c104HalfEEEZNS1_21segmented_reduce_implIS3_PKS6_PS6_PKlS6_N6hipcub16HIPCUB_304000_NS6detail27convert_result_type_wrapperISA_SB_N2at6native12_GLOBAL__N_19CustomMaxEEEEE10hipError_tPvRmT0_T1_jT2_SS_T4_T3_P12ihipStream_tbEUlT_E_NS1_11comp_targetILNS1_3genE5ELNS1_11target_archE942ELNS1_3gpuE9ELNS1_3repE0EEENS1_30default_config_static_selectorELNS0_4arch9wavefront6targetE0EEEvSR_
		.amdhsa_group_segment_fixed_size 0
		.amdhsa_private_segment_fixed_size 0
		.amdhsa_kernarg_size 48
		.amdhsa_user_sgpr_count 15
		.amdhsa_user_sgpr_dispatch_ptr 0
		.amdhsa_user_sgpr_queue_ptr 0
		.amdhsa_user_sgpr_kernarg_segment_ptr 1
		.amdhsa_user_sgpr_dispatch_id 0
		.amdhsa_user_sgpr_private_segment_size 0
		.amdhsa_wavefront_size32 1
		.amdhsa_uses_dynamic_stack 0
		.amdhsa_enable_private_segment 0
		.amdhsa_system_sgpr_workgroup_id_x 1
		.amdhsa_system_sgpr_workgroup_id_y 0
		.amdhsa_system_sgpr_workgroup_id_z 0
		.amdhsa_system_sgpr_workgroup_info 0
		.amdhsa_system_vgpr_workitem_id 0
		.amdhsa_next_free_vgpr 1
		.amdhsa_next_free_sgpr 1
		.amdhsa_reserve_vcc 0
		.amdhsa_float_round_mode_32 0
		.amdhsa_float_round_mode_16_64 0
		.amdhsa_float_denorm_mode_32 3
		.amdhsa_float_denorm_mode_16_64 3
		.amdhsa_dx10_clamp 1
		.amdhsa_ieee_mode 1
		.amdhsa_fp16_overflow 0
		.amdhsa_workgroup_processor_mode 1
		.amdhsa_memory_ordered 1
		.amdhsa_forward_progress 0
		.amdhsa_shared_vgpr_count 0
		.amdhsa_exception_fp_ieee_invalid_op 0
		.amdhsa_exception_fp_denorm_src 0
		.amdhsa_exception_fp_ieee_div_zero 0
		.amdhsa_exception_fp_ieee_overflow 0
		.amdhsa_exception_fp_ieee_underflow 0
		.amdhsa_exception_fp_ieee_inexact 0
		.amdhsa_exception_int_div_zero 0
	.end_amdhsa_kernel
	.section	.text._ZN7rocprim17ROCPRIM_400000_NS6detail17trampoline_kernelINS0_14default_configENS1_32segmented_reduce_config_selectorIN3c104HalfEEEZNS1_21segmented_reduce_implIS3_PKS6_PS6_PKlS6_N6hipcub16HIPCUB_304000_NS6detail27convert_result_type_wrapperISA_SB_N2at6native12_GLOBAL__N_19CustomMaxEEEEE10hipError_tPvRmT0_T1_jT2_SS_T4_T3_P12ihipStream_tbEUlT_E_NS1_11comp_targetILNS1_3genE5ELNS1_11target_archE942ELNS1_3gpuE9ELNS1_3repE0EEENS1_30default_config_static_selectorELNS0_4arch9wavefront6targetE0EEEvSR_,"axG",@progbits,_ZN7rocprim17ROCPRIM_400000_NS6detail17trampoline_kernelINS0_14default_configENS1_32segmented_reduce_config_selectorIN3c104HalfEEEZNS1_21segmented_reduce_implIS3_PKS6_PS6_PKlS6_N6hipcub16HIPCUB_304000_NS6detail27convert_result_type_wrapperISA_SB_N2at6native12_GLOBAL__N_19CustomMaxEEEEE10hipError_tPvRmT0_T1_jT2_SS_T4_T3_P12ihipStream_tbEUlT_E_NS1_11comp_targetILNS1_3genE5ELNS1_11target_archE942ELNS1_3gpuE9ELNS1_3repE0EEENS1_30default_config_static_selectorELNS0_4arch9wavefront6targetE0EEEvSR_,comdat
.Lfunc_end214:
	.size	_ZN7rocprim17ROCPRIM_400000_NS6detail17trampoline_kernelINS0_14default_configENS1_32segmented_reduce_config_selectorIN3c104HalfEEEZNS1_21segmented_reduce_implIS3_PKS6_PS6_PKlS6_N6hipcub16HIPCUB_304000_NS6detail27convert_result_type_wrapperISA_SB_N2at6native12_GLOBAL__N_19CustomMaxEEEEE10hipError_tPvRmT0_T1_jT2_SS_T4_T3_P12ihipStream_tbEUlT_E_NS1_11comp_targetILNS1_3genE5ELNS1_11target_archE942ELNS1_3gpuE9ELNS1_3repE0EEENS1_30default_config_static_selectorELNS0_4arch9wavefront6targetE0EEEvSR_, .Lfunc_end214-_ZN7rocprim17ROCPRIM_400000_NS6detail17trampoline_kernelINS0_14default_configENS1_32segmented_reduce_config_selectorIN3c104HalfEEEZNS1_21segmented_reduce_implIS3_PKS6_PS6_PKlS6_N6hipcub16HIPCUB_304000_NS6detail27convert_result_type_wrapperISA_SB_N2at6native12_GLOBAL__N_19CustomMaxEEEEE10hipError_tPvRmT0_T1_jT2_SS_T4_T3_P12ihipStream_tbEUlT_E_NS1_11comp_targetILNS1_3genE5ELNS1_11target_archE942ELNS1_3gpuE9ELNS1_3repE0EEENS1_30default_config_static_selectorELNS0_4arch9wavefront6targetE0EEEvSR_
                                        ; -- End function
	.section	.AMDGPU.csdata,"",@progbits
; Kernel info:
; codeLenInByte = 0
; NumSgprs: 0
; NumVgprs: 0
; ScratchSize: 0
; MemoryBound: 0
; FloatMode: 240
; IeeeMode: 1
; LDSByteSize: 0 bytes/workgroup (compile time only)
; SGPRBlocks: 0
; VGPRBlocks: 0
; NumSGPRsForWavesPerEU: 1
; NumVGPRsForWavesPerEU: 1
; Occupancy: 16
; WaveLimiterHint : 0
; COMPUTE_PGM_RSRC2:SCRATCH_EN: 0
; COMPUTE_PGM_RSRC2:USER_SGPR: 15
; COMPUTE_PGM_RSRC2:TRAP_HANDLER: 0
; COMPUTE_PGM_RSRC2:TGID_X_EN: 1
; COMPUTE_PGM_RSRC2:TGID_Y_EN: 0
; COMPUTE_PGM_RSRC2:TGID_Z_EN: 0
; COMPUTE_PGM_RSRC2:TIDIG_COMP_CNT: 0
	.section	.text._ZN7rocprim17ROCPRIM_400000_NS6detail17trampoline_kernelINS0_14default_configENS1_32segmented_reduce_config_selectorIN3c104HalfEEEZNS1_21segmented_reduce_implIS3_PKS6_PS6_PKlS6_N6hipcub16HIPCUB_304000_NS6detail27convert_result_type_wrapperISA_SB_N2at6native12_GLOBAL__N_19CustomMaxEEEEE10hipError_tPvRmT0_T1_jT2_SS_T4_T3_P12ihipStream_tbEUlT_E_NS1_11comp_targetILNS1_3genE10ELNS1_11target_archE1201ELNS1_3gpuE5ELNS1_3repE0EEENS1_30default_config_static_selectorELNS0_4arch9wavefront6targetE0EEEvSR_,"axG",@progbits,_ZN7rocprim17ROCPRIM_400000_NS6detail17trampoline_kernelINS0_14default_configENS1_32segmented_reduce_config_selectorIN3c104HalfEEEZNS1_21segmented_reduce_implIS3_PKS6_PS6_PKlS6_N6hipcub16HIPCUB_304000_NS6detail27convert_result_type_wrapperISA_SB_N2at6native12_GLOBAL__N_19CustomMaxEEEEE10hipError_tPvRmT0_T1_jT2_SS_T4_T3_P12ihipStream_tbEUlT_E_NS1_11comp_targetILNS1_3genE10ELNS1_11target_archE1201ELNS1_3gpuE5ELNS1_3repE0EEENS1_30default_config_static_selectorELNS0_4arch9wavefront6targetE0EEEvSR_,comdat
	.globl	_ZN7rocprim17ROCPRIM_400000_NS6detail17trampoline_kernelINS0_14default_configENS1_32segmented_reduce_config_selectorIN3c104HalfEEEZNS1_21segmented_reduce_implIS3_PKS6_PS6_PKlS6_N6hipcub16HIPCUB_304000_NS6detail27convert_result_type_wrapperISA_SB_N2at6native12_GLOBAL__N_19CustomMaxEEEEE10hipError_tPvRmT0_T1_jT2_SS_T4_T3_P12ihipStream_tbEUlT_E_NS1_11comp_targetILNS1_3genE10ELNS1_11target_archE1201ELNS1_3gpuE5ELNS1_3repE0EEENS1_30default_config_static_selectorELNS0_4arch9wavefront6targetE0EEEvSR_ ; -- Begin function _ZN7rocprim17ROCPRIM_400000_NS6detail17trampoline_kernelINS0_14default_configENS1_32segmented_reduce_config_selectorIN3c104HalfEEEZNS1_21segmented_reduce_implIS3_PKS6_PS6_PKlS6_N6hipcub16HIPCUB_304000_NS6detail27convert_result_type_wrapperISA_SB_N2at6native12_GLOBAL__N_19CustomMaxEEEEE10hipError_tPvRmT0_T1_jT2_SS_T4_T3_P12ihipStream_tbEUlT_E_NS1_11comp_targetILNS1_3genE10ELNS1_11target_archE1201ELNS1_3gpuE5ELNS1_3repE0EEENS1_30default_config_static_selectorELNS0_4arch9wavefront6targetE0EEEvSR_
	.p2align	8
	.type	_ZN7rocprim17ROCPRIM_400000_NS6detail17trampoline_kernelINS0_14default_configENS1_32segmented_reduce_config_selectorIN3c104HalfEEEZNS1_21segmented_reduce_implIS3_PKS6_PS6_PKlS6_N6hipcub16HIPCUB_304000_NS6detail27convert_result_type_wrapperISA_SB_N2at6native12_GLOBAL__N_19CustomMaxEEEEE10hipError_tPvRmT0_T1_jT2_SS_T4_T3_P12ihipStream_tbEUlT_E_NS1_11comp_targetILNS1_3genE10ELNS1_11target_archE1201ELNS1_3gpuE5ELNS1_3repE0EEENS1_30default_config_static_selectorELNS0_4arch9wavefront6targetE0EEEvSR_,@function
_ZN7rocprim17ROCPRIM_400000_NS6detail17trampoline_kernelINS0_14default_configENS1_32segmented_reduce_config_selectorIN3c104HalfEEEZNS1_21segmented_reduce_implIS3_PKS6_PS6_PKlS6_N6hipcub16HIPCUB_304000_NS6detail27convert_result_type_wrapperISA_SB_N2at6native12_GLOBAL__N_19CustomMaxEEEEE10hipError_tPvRmT0_T1_jT2_SS_T4_T3_P12ihipStream_tbEUlT_E_NS1_11comp_targetILNS1_3genE10ELNS1_11target_archE1201ELNS1_3gpuE5ELNS1_3repE0EEENS1_30default_config_static_selectorELNS0_4arch9wavefront6targetE0EEEvSR_: ; @_ZN7rocprim17ROCPRIM_400000_NS6detail17trampoline_kernelINS0_14default_configENS1_32segmented_reduce_config_selectorIN3c104HalfEEEZNS1_21segmented_reduce_implIS3_PKS6_PS6_PKlS6_N6hipcub16HIPCUB_304000_NS6detail27convert_result_type_wrapperISA_SB_N2at6native12_GLOBAL__N_19CustomMaxEEEEE10hipError_tPvRmT0_T1_jT2_SS_T4_T3_P12ihipStream_tbEUlT_E_NS1_11comp_targetILNS1_3genE10ELNS1_11target_archE1201ELNS1_3gpuE5ELNS1_3repE0EEENS1_30default_config_static_selectorELNS0_4arch9wavefront6targetE0EEEvSR_
; %bb.0:
	.section	.rodata,"a",@progbits
	.p2align	6, 0x0
	.amdhsa_kernel _ZN7rocprim17ROCPRIM_400000_NS6detail17trampoline_kernelINS0_14default_configENS1_32segmented_reduce_config_selectorIN3c104HalfEEEZNS1_21segmented_reduce_implIS3_PKS6_PS6_PKlS6_N6hipcub16HIPCUB_304000_NS6detail27convert_result_type_wrapperISA_SB_N2at6native12_GLOBAL__N_19CustomMaxEEEEE10hipError_tPvRmT0_T1_jT2_SS_T4_T3_P12ihipStream_tbEUlT_E_NS1_11comp_targetILNS1_3genE10ELNS1_11target_archE1201ELNS1_3gpuE5ELNS1_3repE0EEENS1_30default_config_static_selectorELNS0_4arch9wavefront6targetE0EEEvSR_
		.amdhsa_group_segment_fixed_size 0
		.amdhsa_private_segment_fixed_size 0
		.amdhsa_kernarg_size 48
		.amdhsa_user_sgpr_count 15
		.amdhsa_user_sgpr_dispatch_ptr 0
		.amdhsa_user_sgpr_queue_ptr 0
		.amdhsa_user_sgpr_kernarg_segment_ptr 1
		.amdhsa_user_sgpr_dispatch_id 0
		.amdhsa_user_sgpr_private_segment_size 0
		.amdhsa_wavefront_size32 1
		.amdhsa_uses_dynamic_stack 0
		.amdhsa_enable_private_segment 0
		.amdhsa_system_sgpr_workgroup_id_x 1
		.amdhsa_system_sgpr_workgroup_id_y 0
		.amdhsa_system_sgpr_workgroup_id_z 0
		.amdhsa_system_sgpr_workgroup_info 0
		.amdhsa_system_vgpr_workitem_id 0
		.amdhsa_next_free_vgpr 1
		.amdhsa_next_free_sgpr 1
		.amdhsa_reserve_vcc 0
		.amdhsa_float_round_mode_32 0
		.amdhsa_float_round_mode_16_64 0
		.amdhsa_float_denorm_mode_32 3
		.amdhsa_float_denorm_mode_16_64 3
		.amdhsa_dx10_clamp 1
		.amdhsa_ieee_mode 1
		.amdhsa_fp16_overflow 0
		.amdhsa_workgroup_processor_mode 1
		.amdhsa_memory_ordered 1
		.amdhsa_forward_progress 0
		.amdhsa_shared_vgpr_count 0
		.amdhsa_exception_fp_ieee_invalid_op 0
		.amdhsa_exception_fp_denorm_src 0
		.amdhsa_exception_fp_ieee_div_zero 0
		.amdhsa_exception_fp_ieee_overflow 0
		.amdhsa_exception_fp_ieee_underflow 0
		.amdhsa_exception_fp_ieee_inexact 0
		.amdhsa_exception_int_div_zero 0
	.end_amdhsa_kernel
	.section	.text._ZN7rocprim17ROCPRIM_400000_NS6detail17trampoline_kernelINS0_14default_configENS1_32segmented_reduce_config_selectorIN3c104HalfEEEZNS1_21segmented_reduce_implIS3_PKS6_PS6_PKlS6_N6hipcub16HIPCUB_304000_NS6detail27convert_result_type_wrapperISA_SB_N2at6native12_GLOBAL__N_19CustomMaxEEEEE10hipError_tPvRmT0_T1_jT2_SS_T4_T3_P12ihipStream_tbEUlT_E_NS1_11comp_targetILNS1_3genE10ELNS1_11target_archE1201ELNS1_3gpuE5ELNS1_3repE0EEENS1_30default_config_static_selectorELNS0_4arch9wavefront6targetE0EEEvSR_,"axG",@progbits,_ZN7rocprim17ROCPRIM_400000_NS6detail17trampoline_kernelINS0_14default_configENS1_32segmented_reduce_config_selectorIN3c104HalfEEEZNS1_21segmented_reduce_implIS3_PKS6_PS6_PKlS6_N6hipcub16HIPCUB_304000_NS6detail27convert_result_type_wrapperISA_SB_N2at6native12_GLOBAL__N_19CustomMaxEEEEE10hipError_tPvRmT0_T1_jT2_SS_T4_T3_P12ihipStream_tbEUlT_E_NS1_11comp_targetILNS1_3genE10ELNS1_11target_archE1201ELNS1_3gpuE5ELNS1_3repE0EEENS1_30default_config_static_selectorELNS0_4arch9wavefront6targetE0EEEvSR_,comdat
.Lfunc_end215:
	.size	_ZN7rocprim17ROCPRIM_400000_NS6detail17trampoline_kernelINS0_14default_configENS1_32segmented_reduce_config_selectorIN3c104HalfEEEZNS1_21segmented_reduce_implIS3_PKS6_PS6_PKlS6_N6hipcub16HIPCUB_304000_NS6detail27convert_result_type_wrapperISA_SB_N2at6native12_GLOBAL__N_19CustomMaxEEEEE10hipError_tPvRmT0_T1_jT2_SS_T4_T3_P12ihipStream_tbEUlT_E_NS1_11comp_targetILNS1_3genE10ELNS1_11target_archE1201ELNS1_3gpuE5ELNS1_3repE0EEENS1_30default_config_static_selectorELNS0_4arch9wavefront6targetE0EEEvSR_, .Lfunc_end215-_ZN7rocprim17ROCPRIM_400000_NS6detail17trampoline_kernelINS0_14default_configENS1_32segmented_reduce_config_selectorIN3c104HalfEEEZNS1_21segmented_reduce_implIS3_PKS6_PS6_PKlS6_N6hipcub16HIPCUB_304000_NS6detail27convert_result_type_wrapperISA_SB_N2at6native12_GLOBAL__N_19CustomMaxEEEEE10hipError_tPvRmT0_T1_jT2_SS_T4_T3_P12ihipStream_tbEUlT_E_NS1_11comp_targetILNS1_3genE10ELNS1_11target_archE1201ELNS1_3gpuE5ELNS1_3repE0EEENS1_30default_config_static_selectorELNS0_4arch9wavefront6targetE0EEEvSR_
                                        ; -- End function
	.section	.AMDGPU.csdata,"",@progbits
; Kernel info:
; codeLenInByte = 0
; NumSgprs: 0
; NumVgprs: 0
; ScratchSize: 0
; MemoryBound: 0
; FloatMode: 240
; IeeeMode: 1
; LDSByteSize: 0 bytes/workgroup (compile time only)
; SGPRBlocks: 0
; VGPRBlocks: 0
; NumSGPRsForWavesPerEU: 1
; NumVGPRsForWavesPerEU: 1
; Occupancy: 16
; WaveLimiterHint : 0
; COMPUTE_PGM_RSRC2:SCRATCH_EN: 0
; COMPUTE_PGM_RSRC2:USER_SGPR: 15
; COMPUTE_PGM_RSRC2:TRAP_HANDLER: 0
; COMPUTE_PGM_RSRC2:TGID_X_EN: 1
; COMPUTE_PGM_RSRC2:TGID_Y_EN: 0
; COMPUTE_PGM_RSRC2:TGID_Z_EN: 0
; COMPUTE_PGM_RSRC2:TIDIG_COMP_CNT: 0
	.section	.text._ZN7rocprim17ROCPRIM_400000_NS6detail17trampoline_kernelINS0_14default_configENS1_32segmented_reduce_config_selectorIN3c104HalfEEEZNS1_21segmented_reduce_implIS3_PKS6_PS6_PKlS6_N6hipcub16HIPCUB_304000_NS6detail27convert_result_type_wrapperISA_SB_N2at6native12_GLOBAL__N_19CustomMaxEEEEE10hipError_tPvRmT0_T1_jT2_SS_T4_T3_P12ihipStream_tbEUlT_E_NS1_11comp_targetILNS1_3genE4ELNS1_11target_archE910ELNS1_3gpuE8ELNS1_3repE0EEENS1_30default_config_static_selectorELNS0_4arch9wavefront6targetE0EEEvSR_,"axG",@progbits,_ZN7rocprim17ROCPRIM_400000_NS6detail17trampoline_kernelINS0_14default_configENS1_32segmented_reduce_config_selectorIN3c104HalfEEEZNS1_21segmented_reduce_implIS3_PKS6_PS6_PKlS6_N6hipcub16HIPCUB_304000_NS6detail27convert_result_type_wrapperISA_SB_N2at6native12_GLOBAL__N_19CustomMaxEEEEE10hipError_tPvRmT0_T1_jT2_SS_T4_T3_P12ihipStream_tbEUlT_E_NS1_11comp_targetILNS1_3genE4ELNS1_11target_archE910ELNS1_3gpuE8ELNS1_3repE0EEENS1_30default_config_static_selectorELNS0_4arch9wavefront6targetE0EEEvSR_,comdat
	.globl	_ZN7rocprim17ROCPRIM_400000_NS6detail17trampoline_kernelINS0_14default_configENS1_32segmented_reduce_config_selectorIN3c104HalfEEEZNS1_21segmented_reduce_implIS3_PKS6_PS6_PKlS6_N6hipcub16HIPCUB_304000_NS6detail27convert_result_type_wrapperISA_SB_N2at6native12_GLOBAL__N_19CustomMaxEEEEE10hipError_tPvRmT0_T1_jT2_SS_T4_T3_P12ihipStream_tbEUlT_E_NS1_11comp_targetILNS1_3genE4ELNS1_11target_archE910ELNS1_3gpuE8ELNS1_3repE0EEENS1_30default_config_static_selectorELNS0_4arch9wavefront6targetE0EEEvSR_ ; -- Begin function _ZN7rocprim17ROCPRIM_400000_NS6detail17trampoline_kernelINS0_14default_configENS1_32segmented_reduce_config_selectorIN3c104HalfEEEZNS1_21segmented_reduce_implIS3_PKS6_PS6_PKlS6_N6hipcub16HIPCUB_304000_NS6detail27convert_result_type_wrapperISA_SB_N2at6native12_GLOBAL__N_19CustomMaxEEEEE10hipError_tPvRmT0_T1_jT2_SS_T4_T3_P12ihipStream_tbEUlT_E_NS1_11comp_targetILNS1_3genE4ELNS1_11target_archE910ELNS1_3gpuE8ELNS1_3repE0EEENS1_30default_config_static_selectorELNS0_4arch9wavefront6targetE0EEEvSR_
	.p2align	8
	.type	_ZN7rocprim17ROCPRIM_400000_NS6detail17trampoline_kernelINS0_14default_configENS1_32segmented_reduce_config_selectorIN3c104HalfEEEZNS1_21segmented_reduce_implIS3_PKS6_PS6_PKlS6_N6hipcub16HIPCUB_304000_NS6detail27convert_result_type_wrapperISA_SB_N2at6native12_GLOBAL__N_19CustomMaxEEEEE10hipError_tPvRmT0_T1_jT2_SS_T4_T3_P12ihipStream_tbEUlT_E_NS1_11comp_targetILNS1_3genE4ELNS1_11target_archE910ELNS1_3gpuE8ELNS1_3repE0EEENS1_30default_config_static_selectorELNS0_4arch9wavefront6targetE0EEEvSR_,@function
_ZN7rocprim17ROCPRIM_400000_NS6detail17trampoline_kernelINS0_14default_configENS1_32segmented_reduce_config_selectorIN3c104HalfEEEZNS1_21segmented_reduce_implIS3_PKS6_PS6_PKlS6_N6hipcub16HIPCUB_304000_NS6detail27convert_result_type_wrapperISA_SB_N2at6native12_GLOBAL__N_19CustomMaxEEEEE10hipError_tPvRmT0_T1_jT2_SS_T4_T3_P12ihipStream_tbEUlT_E_NS1_11comp_targetILNS1_3genE4ELNS1_11target_archE910ELNS1_3gpuE8ELNS1_3repE0EEENS1_30default_config_static_selectorELNS0_4arch9wavefront6targetE0EEEvSR_: ; @_ZN7rocprim17ROCPRIM_400000_NS6detail17trampoline_kernelINS0_14default_configENS1_32segmented_reduce_config_selectorIN3c104HalfEEEZNS1_21segmented_reduce_implIS3_PKS6_PS6_PKlS6_N6hipcub16HIPCUB_304000_NS6detail27convert_result_type_wrapperISA_SB_N2at6native12_GLOBAL__N_19CustomMaxEEEEE10hipError_tPvRmT0_T1_jT2_SS_T4_T3_P12ihipStream_tbEUlT_E_NS1_11comp_targetILNS1_3genE4ELNS1_11target_archE910ELNS1_3gpuE8ELNS1_3repE0EEENS1_30default_config_static_selectorELNS0_4arch9wavefront6targetE0EEEvSR_
; %bb.0:
	.section	.rodata,"a",@progbits
	.p2align	6, 0x0
	.amdhsa_kernel _ZN7rocprim17ROCPRIM_400000_NS6detail17trampoline_kernelINS0_14default_configENS1_32segmented_reduce_config_selectorIN3c104HalfEEEZNS1_21segmented_reduce_implIS3_PKS6_PS6_PKlS6_N6hipcub16HIPCUB_304000_NS6detail27convert_result_type_wrapperISA_SB_N2at6native12_GLOBAL__N_19CustomMaxEEEEE10hipError_tPvRmT0_T1_jT2_SS_T4_T3_P12ihipStream_tbEUlT_E_NS1_11comp_targetILNS1_3genE4ELNS1_11target_archE910ELNS1_3gpuE8ELNS1_3repE0EEENS1_30default_config_static_selectorELNS0_4arch9wavefront6targetE0EEEvSR_
		.amdhsa_group_segment_fixed_size 0
		.amdhsa_private_segment_fixed_size 0
		.amdhsa_kernarg_size 48
		.amdhsa_user_sgpr_count 15
		.amdhsa_user_sgpr_dispatch_ptr 0
		.amdhsa_user_sgpr_queue_ptr 0
		.amdhsa_user_sgpr_kernarg_segment_ptr 1
		.amdhsa_user_sgpr_dispatch_id 0
		.amdhsa_user_sgpr_private_segment_size 0
		.amdhsa_wavefront_size32 1
		.amdhsa_uses_dynamic_stack 0
		.amdhsa_enable_private_segment 0
		.amdhsa_system_sgpr_workgroup_id_x 1
		.amdhsa_system_sgpr_workgroup_id_y 0
		.amdhsa_system_sgpr_workgroup_id_z 0
		.amdhsa_system_sgpr_workgroup_info 0
		.amdhsa_system_vgpr_workitem_id 0
		.amdhsa_next_free_vgpr 1
		.amdhsa_next_free_sgpr 1
		.amdhsa_reserve_vcc 0
		.amdhsa_float_round_mode_32 0
		.amdhsa_float_round_mode_16_64 0
		.amdhsa_float_denorm_mode_32 3
		.amdhsa_float_denorm_mode_16_64 3
		.amdhsa_dx10_clamp 1
		.amdhsa_ieee_mode 1
		.amdhsa_fp16_overflow 0
		.amdhsa_workgroup_processor_mode 1
		.amdhsa_memory_ordered 1
		.amdhsa_forward_progress 0
		.amdhsa_shared_vgpr_count 0
		.amdhsa_exception_fp_ieee_invalid_op 0
		.amdhsa_exception_fp_denorm_src 0
		.amdhsa_exception_fp_ieee_div_zero 0
		.amdhsa_exception_fp_ieee_overflow 0
		.amdhsa_exception_fp_ieee_underflow 0
		.amdhsa_exception_fp_ieee_inexact 0
		.amdhsa_exception_int_div_zero 0
	.end_amdhsa_kernel
	.section	.text._ZN7rocprim17ROCPRIM_400000_NS6detail17trampoline_kernelINS0_14default_configENS1_32segmented_reduce_config_selectorIN3c104HalfEEEZNS1_21segmented_reduce_implIS3_PKS6_PS6_PKlS6_N6hipcub16HIPCUB_304000_NS6detail27convert_result_type_wrapperISA_SB_N2at6native12_GLOBAL__N_19CustomMaxEEEEE10hipError_tPvRmT0_T1_jT2_SS_T4_T3_P12ihipStream_tbEUlT_E_NS1_11comp_targetILNS1_3genE4ELNS1_11target_archE910ELNS1_3gpuE8ELNS1_3repE0EEENS1_30default_config_static_selectorELNS0_4arch9wavefront6targetE0EEEvSR_,"axG",@progbits,_ZN7rocprim17ROCPRIM_400000_NS6detail17trampoline_kernelINS0_14default_configENS1_32segmented_reduce_config_selectorIN3c104HalfEEEZNS1_21segmented_reduce_implIS3_PKS6_PS6_PKlS6_N6hipcub16HIPCUB_304000_NS6detail27convert_result_type_wrapperISA_SB_N2at6native12_GLOBAL__N_19CustomMaxEEEEE10hipError_tPvRmT0_T1_jT2_SS_T4_T3_P12ihipStream_tbEUlT_E_NS1_11comp_targetILNS1_3genE4ELNS1_11target_archE910ELNS1_3gpuE8ELNS1_3repE0EEENS1_30default_config_static_selectorELNS0_4arch9wavefront6targetE0EEEvSR_,comdat
.Lfunc_end216:
	.size	_ZN7rocprim17ROCPRIM_400000_NS6detail17trampoline_kernelINS0_14default_configENS1_32segmented_reduce_config_selectorIN3c104HalfEEEZNS1_21segmented_reduce_implIS3_PKS6_PS6_PKlS6_N6hipcub16HIPCUB_304000_NS6detail27convert_result_type_wrapperISA_SB_N2at6native12_GLOBAL__N_19CustomMaxEEEEE10hipError_tPvRmT0_T1_jT2_SS_T4_T3_P12ihipStream_tbEUlT_E_NS1_11comp_targetILNS1_3genE4ELNS1_11target_archE910ELNS1_3gpuE8ELNS1_3repE0EEENS1_30default_config_static_selectorELNS0_4arch9wavefront6targetE0EEEvSR_, .Lfunc_end216-_ZN7rocprim17ROCPRIM_400000_NS6detail17trampoline_kernelINS0_14default_configENS1_32segmented_reduce_config_selectorIN3c104HalfEEEZNS1_21segmented_reduce_implIS3_PKS6_PS6_PKlS6_N6hipcub16HIPCUB_304000_NS6detail27convert_result_type_wrapperISA_SB_N2at6native12_GLOBAL__N_19CustomMaxEEEEE10hipError_tPvRmT0_T1_jT2_SS_T4_T3_P12ihipStream_tbEUlT_E_NS1_11comp_targetILNS1_3genE4ELNS1_11target_archE910ELNS1_3gpuE8ELNS1_3repE0EEENS1_30default_config_static_selectorELNS0_4arch9wavefront6targetE0EEEvSR_
                                        ; -- End function
	.section	.AMDGPU.csdata,"",@progbits
; Kernel info:
; codeLenInByte = 0
; NumSgprs: 0
; NumVgprs: 0
; ScratchSize: 0
; MemoryBound: 0
; FloatMode: 240
; IeeeMode: 1
; LDSByteSize: 0 bytes/workgroup (compile time only)
; SGPRBlocks: 0
; VGPRBlocks: 0
; NumSGPRsForWavesPerEU: 1
; NumVGPRsForWavesPerEU: 1
; Occupancy: 16
; WaveLimiterHint : 0
; COMPUTE_PGM_RSRC2:SCRATCH_EN: 0
; COMPUTE_PGM_RSRC2:USER_SGPR: 15
; COMPUTE_PGM_RSRC2:TRAP_HANDLER: 0
; COMPUTE_PGM_RSRC2:TGID_X_EN: 1
; COMPUTE_PGM_RSRC2:TGID_Y_EN: 0
; COMPUTE_PGM_RSRC2:TGID_Z_EN: 0
; COMPUTE_PGM_RSRC2:TIDIG_COMP_CNT: 0
	.section	.text._ZN7rocprim17ROCPRIM_400000_NS6detail17trampoline_kernelINS0_14default_configENS1_32segmented_reduce_config_selectorIN3c104HalfEEEZNS1_21segmented_reduce_implIS3_PKS6_PS6_PKlS6_N6hipcub16HIPCUB_304000_NS6detail27convert_result_type_wrapperISA_SB_N2at6native12_GLOBAL__N_19CustomMaxEEEEE10hipError_tPvRmT0_T1_jT2_SS_T4_T3_P12ihipStream_tbEUlT_E_NS1_11comp_targetILNS1_3genE3ELNS1_11target_archE908ELNS1_3gpuE7ELNS1_3repE0EEENS1_30default_config_static_selectorELNS0_4arch9wavefront6targetE0EEEvSR_,"axG",@progbits,_ZN7rocprim17ROCPRIM_400000_NS6detail17trampoline_kernelINS0_14default_configENS1_32segmented_reduce_config_selectorIN3c104HalfEEEZNS1_21segmented_reduce_implIS3_PKS6_PS6_PKlS6_N6hipcub16HIPCUB_304000_NS6detail27convert_result_type_wrapperISA_SB_N2at6native12_GLOBAL__N_19CustomMaxEEEEE10hipError_tPvRmT0_T1_jT2_SS_T4_T3_P12ihipStream_tbEUlT_E_NS1_11comp_targetILNS1_3genE3ELNS1_11target_archE908ELNS1_3gpuE7ELNS1_3repE0EEENS1_30default_config_static_selectorELNS0_4arch9wavefront6targetE0EEEvSR_,comdat
	.globl	_ZN7rocprim17ROCPRIM_400000_NS6detail17trampoline_kernelINS0_14default_configENS1_32segmented_reduce_config_selectorIN3c104HalfEEEZNS1_21segmented_reduce_implIS3_PKS6_PS6_PKlS6_N6hipcub16HIPCUB_304000_NS6detail27convert_result_type_wrapperISA_SB_N2at6native12_GLOBAL__N_19CustomMaxEEEEE10hipError_tPvRmT0_T1_jT2_SS_T4_T3_P12ihipStream_tbEUlT_E_NS1_11comp_targetILNS1_3genE3ELNS1_11target_archE908ELNS1_3gpuE7ELNS1_3repE0EEENS1_30default_config_static_selectorELNS0_4arch9wavefront6targetE0EEEvSR_ ; -- Begin function _ZN7rocprim17ROCPRIM_400000_NS6detail17trampoline_kernelINS0_14default_configENS1_32segmented_reduce_config_selectorIN3c104HalfEEEZNS1_21segmented_reduce_implIS3_PKS6_PS6_PKlS6_N6hipcub16HIPCUB_304000_NS6detail27convert_result_type_wrapperISA_SB_N2at6native12_GLOBAL__N_19CustomMaxEEEEE10hipError_tPvRmT0_T1_jT2_SS_T4_T3_P12ihipStream_tbEUlT_E_NS1_11comp_targetILNS1_3genE3ELNS1_11target_archE908ELNS1_3gpuE7ELNS1_3repE0EEENS1_30default_config_static_selectorELNS0_4arch9wavefront6targetE0EEEvSR_
	.p2align	8
	.type	_ZN7rocprim17ROCPRIM_400000_NS6detail17trampoline_kernelINS0_14default_configENS1_32segmented_reduce_config_selectorIN3c104HalfEEEZNS1_21segmented_reduce_implIS3_PKS6_PS6_PKlS6_N6hipcub16HIPCUB_304000_NS6detail27convert_result_type_wrapperISA_SB_N2at6native12_GLOBAL__N_19CustomMaxEEEEE10hipError_tPvRmT0_T1_jT2_SS_T4_T3_P12ihipStream_tbEUlT_E_NS1_11comp_targetILNS1_3genE3ELNS1_11target_archE908ELNS1_3gpuE7ELNS1_3repE0EEENS1_30default_config_static_selectorELNS0_4arch9wavefront6targetE0EEEvSR_,@function
_ZN7rocprim17ROCPRIM_400000_NS6detail17trampoline_kernelINS0_14default_configENS1_32segmented_reduce_config_selectorIN3c104HalfEEEZNS1_21segmented_reduce_implIS3_PKS6_PS6_PKlS6_N6hipcub16HIPCUB_304000_NS6detail27convert_result_type_wrapperISA_SB_N2at6native12_GLOBAL__N_19CustomMaxEEEEE10hipError_tPvRmT0_T1_jT2_SS_T4_T3_P12ihipStream_tbEUlT_E_NS1_11comp_targetILNS1_3genE3ELNS1_11target_archE908ELNS1_3gpuE7ELNS1_3repE0EEENS1_30default_config_static_selectorELNS0_4arch9wavefront6targetE0EEEvSR_: ; @_ZN7rocprim17ROCPRIM_400000_NS6detail17trampoline_kernelINS0_14default_configENS1_32segmented_reduce_config_selectorIN3c104HalfEEEZNS1_21segmented_reduce_implIS3_PKS6_PS6_PKlS6_N6hipcub16HIPCUB_304000_NS6detail27convert_result_type_wrapperISA_SB_N2at6native12_GLOBAL__N_19CustomMaxEEEEE10hipError_tPvRmT0_T1_jT2_SS_T4_T3_P12ihipStream_tbEUlT_E_NS1_11comp_targetILNS1_3genE3ELNS1_11target_archE908ELNS1_3gpuE7ELNS1_3repE0EEENS1_30default_config_static_selectorELNS0_4arch9wavefront6targetE0EEEvSR_
; %bb.0:
	.section	.rodata,"a",@progbits
	.p2align	6, 0x0
	.amdhsa_kernel _ZN7rocprim17ROCPRIM_400000_NS6detail17trampoline_kernelINS0_14default_configENS1_32segmented_reduce_config_selectorIN3c104HalfEEEZNS1_21segmented_reduce_implIS3_PKS6_PS6_PKlS6_N6hipcub16HIPCUB_304000_NS6detail27convert_result_type_wrapperISA_SB_N2at6native12_GLOBAL__N_19CustomMaxEEEEE10hipError_tPvRmT0_T1_jT2_SS_T4_T3_P12ihipStream_tbEUlT_E_NS1_11comp_targetILNS1_3genE3ELNS1_11target_archE908ELNS1_3gpuE7ELNS1_3repE0EEENS1_30default_config_static_selectorELNS0_4arch9wavefront6targetE0EEEvSR_
		.amdhsa_group_segment_fixed_size 0
		.amdhsa_private_segment_fixed_size 0
		.amdhsa_kernarg_size 48
		.amdhsa_user_sgpr_count 15
		.amdhsa_user_sgpr_dispatch_ptr 0
		.amdhsa_user_sgpr_queue_ptr 0
		.amdhsa_user_sgpr_kernarg_segment_ptr 1
		.amdhsa_user_sgpr_dispatch_id 0
		.amdhsa_user_sgpr_private_segment_size 0
		.amdhsa_wavefront_size32 1
		.amdhsa_uses_dynamic_stack 0
		.amdhsa_enable_private_segment 0
		.amdhsa_system_sgpr_workgroup_id_x 1
		.amdhsa_system_sgpr_workgroup_id_y 0
		.amdhsa_system_sgpr_workgroup_id_z 0
		.amdhsa_system_sgpr_workgroup_info 0
		.amdhsa_system_vgpr_workitem_id 0
		.amdhsa_next_free_vgpr 1
		.amdhsa_next_free_sgpr 1
		.amdhsa_reserve_vcc 0
		.amdhsa_float_round_mode_32 0
		.amdhsa_float_round_mode_16_64 0
		.amdhsa_float_denorm_mode_32 3
		.amdhsa_float_denorm_mode_16_64 3
		.amdhsa_dx10_clamp 1
		.amdhsa_ieee_mode 1
		.amdhsa_fp16_overflow 0
		.amdhsa_workgroup_processor_mode 1
		.amdhsa_memory_ordered 1
		.amdhsa_forward_progress 0
		.amdhsa_shared_vgpr_count 0
		.amdhsa_exception_fp_ieee_invalid_op 0
		.amdhsa_exception_fp_denorm_src 0
		.amdhsa_exception_fp_ieee_div_zero 0
		.amdhsa_exception_fp_ieee_overflow 0
		.amdhsa_exception_fp_ieee_underflow 0
		.amdhsa_exception_fp_ieee_inexact 0
		.amdhsa_exception_int_div_zero 0
	.end_amdhsa_kernel
	.section	.text._ZN7rocprim17ROCPRIM_400000_NS6detail17trampoline_kernelINS0_14default_configENS1_32segmented_reduce_config_selectorIN3c104HalfEEEZNS1_21segmented_reduce_implIS3_PKS6_PS6_PKlS6_N6hipcub16HIPCUB_304000_NS6detail27convert_result_type_wrapperISA_SB_N2at6native12_GLOBAL__N_19CustomMaxEEEEE10hipError_tPvRmT0_T1_jT2_SS_T4_T3_P12ihipStream_tbEUlT_E_NS1_11comp_targetILNS1_3genE3ELNS1_11target_archE908ELNS1_3gpuE7ELNS1_3repE0EEENS1_30default_config_static_selectorELNS0_4arch9wavefront6targetE0EEEvSR_,"axG",@progbits,_ZN7rocprim17ROCPRIM_400000_NS6detail17trampoline_kernelINS0_14default_configENS1_32segmented_reduce_config_selectorIN3c104HalfEEEZNS1_21segmented_reduce_implIS3_PKS6_PS6_PKlS6_N6hipcub16HIPCUB_304000_NS6detail27convert_result_type_wrapperISA_SB_N2at6native12_GLOBAL__N_19CustomMaxEEEEE10hipError_tPvRmT0_T1_jT2_SS_T4_T3_P12ihipStream_tbEUlT_E_NS1_11comp_targetILNS1_3genE3ELNS1_11target_archE908ELNS1_3gpuE7ELNS1_3repE0EEENS1_30default_config_static_selectorELNS0_4arch9wavefront6targetE0EEEvSR_,comdat
.Lfunc_end217:
	.size	_ZN7rocprim17ROCPRIM_400000_NS6detail17trampoline_kernelINS0_14default_configENS1_32segmented_reduce_config_selectorIN3c104HalfEEEZNS1_21segmented_reduce_implIS3_PKS6_PS6_PKlS6_N6hipcub16HIPCUB_304000_NS6detail27convert_result_type_wrapperISA_SB_N2at6native12_GLOBAL__N_19CustomMaxEEEEE10hipError_tPvRmT0_T1_jT2_SS_T4_T3_P12ihipStream_tbEUlT_E_NS1_11comp_targetILNS1_3genE3ELNS1_11target_archE908ELNS1_3gpuE7ELNS1_3repE0EEENS1_30default_config_static_selectorELNS0_4arch9wavefront6targetE0EEEvSR_, .Lfunc_end217-_ZN7rocprim17ROCPRIM_400000_NS6detail17trampoline_kernelINS0_14default_configENS1_32segmented_reduce_config_selectorIN3c104HalfEEEZNS1_21segmented_reduce_implIS3_PKS6_PS6_PKlS6_N6hipcub16HIPCUB_304000_NS6detail27convert_result_type_wrapperISA_SB_N2at6native12_GLOBAL__N_19CustomMaxEEEEE10hipError_tPvRmT0_T1_jT2_SS_T4_T3_P12ihipStream_tbEUlT_E_NS1_11comp_targetILNS1_3genE3ELNS1_11target_archE908ELNS1_3gpuE7ELNS1_3repE0EEENS1_30default_config_static_selectorELNS0_4arch9wavefront6targetE0EEEvSR_
                                        ; -- End function
	.section	.AMDGPU.csdata,"",@progbits
; Kernel info:
; codeLenInByte = 0
; NumSgprs: 0
; NumVgprs: 0
; ScratchSize: 0
; MemoryBound: 0
; FloatMode: 240
; IeeeMode: 1
; LDSByteSize: 0 bytes/workgroup (compile time only)
; SGPRBlocks: 0
; VGPRBlocks: 0
; NumSGPRsForWavesPerEU: 1
; NumVGPRsForWavesPerEU: 1
; Occupancy: 16
; WaveLimiterHint : 0
; COMPUTE_PGM_RSRC2:SCRATCH_EN: 0
; COMPUTE_PGM_RSRC2:USER_SGPR: 15
; COMPUTE_PGM_RSRC2:TRAP_HANDLER: 0
; COMPUTE_PGM_RSRC2:TGID_X_EN: 1
; COMPUTE_PGM_RSRC2:TGID_Y_EN: 0
; COMPUTE_PGM_RSRC2:TGID_Z_EN: 0
; COMPUTE_PGM_RSRC2:TIDIG_COMP_CNT: 0
	.section	.text._ZN7rocprim17ROCPRIM_400000_NS6detail17trampoline_kernelINS0_14default_configENS1_32segmented_reduce_config_selectorIN3c104HalfEEEZNS1_21segmented_reduce_implIS3_PKS6_PS6_PKlS6_N6hipcub16HIPCUB_304000_NS6detail27convert_result_type_wrapperISA_SB_N2at6native12_GLOBAL__N_19CustomMaxEEEEE10hipError_tPvRmT0_T1_jT2_SS_T4_T3_P12ihipStream_tbEUlT_E_NS1_11comp_targetILNS1_3genE2ELNS1_11target_archE906ELNS1_3gpuE6ELNS1_3repE0EEENS1_30default_config_static_selectorELNS0_4arch9wavefront6targetE0EEEvSR_,"axG",@progbits,_ZN7rocprim17ROCPRIM_400000_NS6detail17trampoline_kernelINS0_14default_configENS1_32segmented_reduce_config_selectorIN3c104HalfEEEZNS1_21segmented_reduce_implIS3_PKS6_PS6_PKlS6_N6hipcub16HIPCUB_304000_NS6detail27convert_result_type_wrapperISA_SB_N2at6native12_GLOBAL__N_19CustomMaxEEEEE10hipError_tPvRmT0_T1_jT2_SS_T4_T3_P12ihipStream_tbEUlT_E_NS1_11comp_targetILNS1_3genE2ELNS1_11target_archE906ELNS1_3gpuE6ELNS1_3repE0EEENS1_30default_config_static_selectorELNS0_4arch9wavefront6targetE0EEEvSR_,comdat
	.globl	_ZN7rocprim17ROCPRIM_400000_NS6detail17trampoline_kernelINS0_14default_configENS1_32segmented_reduce_config_selectorIN3c104HalfEEEZNS1_21segmented_reduce_implIS3_PKS6_PS6_PKlS6_N6hipcub16HIPCUB_304000_NS6detail27convert_result_type_wrapperISA_SB_N2at6native12_GLOBAL__N_19CustomMaxEEEEE10hipError_tPvRmT0_T1_jT2_SS_T4_T3_P12ihipStream_tbEUlT_E_NS1_11comp_targetILNS1_3genE2ELNS1_11target_archE906ELNS1_3gpuE6ELNS1_3repE0EEENS1_30default_config_static_selectorELNS0_4arch9wavefront6targetE0EEEvSR_ ; -- Begin function _ZN7rocprim17ROCPRIM_400000_NS6detail17trampoline_kernelINS0_14default_configENS1_32segmented_reduce_config_selectorIN3c104HalfEEEZNS1_21segmented_reduce_implIS3_PKS6_PS6_PKlS6_N6hipcub16HIPCUB_304000_NS6detail27convert_result_type_wrapperISA_SB_N2at6native12_GLOBAL__N_19CustomMaxEEEEE10hipError_tPvRmT0_T1_jT2_SS_T4_T3_P12ihipStream_tbEUlT_E_NS1_11comp_targetILNS1_3genE2ELNS1_11target_archE906ELNS1_3gpuE6ELNS1_3repE0EEENS1_30default_config_static_selectorELNS0_4arch9wavefront6targetE0EEEvSR_
	.p2align	8
	.type	_ZN7rocprim17ROCPRIM_400000_NS6detail17trampoline_kernelINS0_14default_configENS1_32segmented_reduce_config_selectorIN3c104HalfEEEZNS1_21segmented_reduce_implIS3_PKS6_PS6_PKlS6_N6hipcub16HIPCUB_304000_NS6detail27convert_result_type_wrapperISA_SB_N2at6native12_GLOBAL__N_19CustomMaxEEEEE10hipError_tPvRmT0_T1_jT2_SS_T4_T3_P12ihipStream_tbEUlT_E_NS1_11comp_targetILNS1_3genE2ELNS1_11target_archE906ELNS1_3gpuE6ELNS1_3repE0EEENS1_30default_config_static_selectorELNS0_4arch9wavefront6targetE0EEEvSR_,@function
_ZN7rocprim17ROCPRIM_400000_NS6detail17trampoline_kernelINS0_14default_configENS1_32segmented_reduce_config_selectorIN3c104HalfEEEZNS1_21segmented_reduce_implIS3_PKS6_PS6_PKlS6_N6hipcub16HIPCUB_304000_NS6detail27convert_result_type_wrapperISA_SB_N2at6native12_GLOBAL__N_19CustomMaxEEEEE10hipError_tPvRmT0_T1_jT2_SS_T4_T3_P12ihipStream_tbEUlT_E_NS1_11comp_targetILNS1_3genE2ELNS1_11target_archE906ELNS1_3gpuE6ELNS1_3repE0EEENS1_30default_config_static_selectorELNS0_4arch9wavefront6targetE0EEEvSR_: ; @_ZN7rocprim17ROCPRIM_400000_NS6detail17trampoline_kernelINS0_14default_configENS1_32segmented_reduce_config_selectorIN3c104HalfEEEZNS1_21segmented_reduce_implIS3_PKS6_PS6_PKlS6_N6hipcub16HIPCUB_304000_NS6detail27convert_result_type_wrapperISA_SB_N2at6native12_GLOBAL__N_19CustomMaxEEEEE10hipError_tPvRmT0_T1_jT2_SS_T4_T3_P12ihipStream_tbEUlT_E_NS1_11comp_targetILNS1_3genE2ELNS1_11target_archE906ELNS1_3gpuE6ELNS1_3repE0EEENS1_30default_config_static_selectorELNS0_4arch9wavefront6targetE0EEEvSR_
; %bb.0:
	.section	.rodata,"a",@progbits
	.p2align	6, 0x0
	.amdhsa_kernel _ZN7rocprim17ROCPRIM_400000_NS6detail17trampoline_kernelINS0_14default_configENS1_32segmented_reduce_config_selectorIN3c104HalfEEEZNS1_21segmented_reduce_implIS3_PKS6_PS6_PKlS6_N6hipcub16HIPCUB_304000_NS6detail27convert_result_type_wrapperISA_SB_N2at6native12_GLOBAL__N_19CustomMaxEEEEE10hipError_tPvRmT0_T1_jT2_SS_T4_T3_P12ihipStream_tbEUlT_E_NS1_11comp_targetILNS1_3genE2ELNS1_11target_archE906ELNS1_3gpuE6ELNS1_3repE0EEENS1_30default_config_static_selectorELNS0_4arch9wavefront6targetE0EEEvSR_
		.amdhsa_group_segment_fixed_size 0
		.amdhsa_private_segment_fixed_size 0
		.amdhsa_kernarg_size 48
		.amdhsa_user_sgpr_count 15
		.amdhsa_user_sgpr_dispatch_ptr 0
		.amdhsa_user_sgpr_queue_ptr 0
		.amdhsa_user_sgpr_kernarg_segment_ptr 1
		.amdhsa_user_sgpr_dispatch_id 0
		.amdhsa_user_sgpr_private_segment_size 0
		.amdhsa_wavefront_size32 1
		.amdhsa_uses_dynamic_stack 0
		.amdhsa_enable_private_segment 0
		.amdhsa_system_sgpr_workgroup_id_x 1
		.amdhsa_system_sgpr_workgroup_id_y 0
		.amdhsa_system_sgpr_workgroup_id_z 0
		.amdhsa_system_sgpr_workgroup_info 0
		.amdhsa_system_vgpr_workitem_id 0
		.amdhsa_next_free_vgpr 1
		.amdhsa_next_free_sgpr 1
		.amdhsa_reserve_vcc 0
		.amdhsa_float_round_mode_32 0
		.amdhsa_float_round_mode_16_64 0
		.amdhsa_float_denorm_mode_32 3
		.amdhsa_float_denorm_mode_16_64 3
		.amdhsa_dx10_clamp 1
		.amdhsa_ieee_mode 1
		.amdhsa_fp16_overflow 0
		.amdhsa_workgroup_processor_mode 1
		.amdhsa_memory_ordered 1
		.amdhsa_forward_progress 0
		.amdhsa_shared_vgpr_count 0
		.amdhsa_exception_fp_ieee_invalid_op 0
		.amdhsa_exception_fp_denorm_src 0
		.amdhsa_exception_fp_ieee_div_zero 0
		.amdhsa_exception_fp_ieee_overflow 0
		.amdhsa_exception_fp_ieee_underflow 0
		.amdhsa_exception_fp_ieee_inexact 0
		.amdhsa_exception_int_div_zero 0
	.end_amdhsa_kernel
	.section	.text._ZN7rocprim17ROCPRIM_400000_NS6detail17trampoline_kernelINS0_14default_configENS1_32segmented_reduce_config_selectorIN3c104HalfEEEZNS1_21segmented_reduce_implIS3_PKS6_PS6_PKlS6_N6hipcub16HIPCUB_304000_NS6detail27convert_result_type_wrapperISA_SB_N2at6native12_GLOBAL__N_19CustomMaxEEEEE10hipError_tPvRmT0_T1_jT2_SS_T4_T3_P12ihipStream_tbEUlT_E_NS1_11comp_targetILNS1_3genE2ELNS1_11target_archE906ELNS1_3gpuE6ELNS1_3repE0EEENS1_30default_config_static_selectorELNS0_4arch9wavefront6targetE0EEEvSR_,"axG",@progbits,_ZN7rocprim17ROCPRIM_400000_NS6detail17trampoline_kernelINS0_14default_configENS1_32segmented_reduce_config_selectorIN3c104HalfEEEZNS1_21segmented_reduce_implIS3_PKS6_PS6_PKlS6_N6hipcub16HIPCUB_304000_NS6detail27convert_result_type_wrapperISA_SB_N2at6native12_GLOBAL__N_19CustomMaxEEEEE10hipError_tPvRmT0_T1_jT2_SS_T4_T3_P12ihipStream_tbEUlT_E_NS1_11comp_targetILNS1_3genE2ELNS1_11target_archE906ELNS1_3gpuE6ELNS1_3repE0EEENS1_30default_config_static_selectorELNS0_4arch9wavefront6targetE0EEEvSR_,comdat
.Lfunc_end218:
	.size	_ZN7rocprim17ROCPRIM_400000_NS6detail17trampoline_kernelINS0_14default_configENS1_32segmented_reduce_config_selectorIN3c104HalfEEEZNS1_21segmented_reduce_implIS3_PKS6_PS6_PKlS6_N6hipcub16HIPCUB_304000_NS6detail27convert_result_type_wrapperISA_SB_N2at6native12_GLOBAL__N_19CustomMaxEEEEE10hipError_tPvRmT0_T1_jT2_SS_T4_T3_P12ihipStream_tbEUlT_E_NS1_11comp_targetILNS1_3genE2ELNS1_11target_archE906ELNS1_3gpuE6ELNS1_3repE0EEENS1_30default_config_static_selectorELNS0_4arch9wavefront6targetE0EEEvSR_, .Lfunc_end218-_ZN7rocprim17ROCPRIM_400000_NS6detail17trampoline_kernelINS0_14default_configENS1_32segmented_reduce_config_selectorIN3c104HalfEEEZNS1_21segmented_reduce_implIS3_PKS6_PS6_PKlS6_N6hipcub16HIPCUB_304000_NS6detail27convert_result_type_wrapperISA_SB_N2at6native12_GLOBAL__N_19CustomMaxEEEEE10hipError_tPvRmT0_T1_jT2_SS_T4_T3_P12ihipStream_tbEUlT_E_NS1_11comp_targetILNS1_3genE2ELNS1_11target_archE906ELNS1_3gpuE6ELNS1_3repE0EEENS1_30default_config_static_selectorELNS0_4arch9wavefront6targetE0EEEvSR_
                                        ; -- End function
	.section	.AMDGPU.csdata,"",@progbits
; Kernel info:
; codeLenInByte = 0
; NumSgprs: 0
; NumVgprs: 0
; ScratchSize: 0
; MemoryBound: 0
; FloatMode: 240
; IeeeMode: 1
; LDSByteSize: 0 bytes/workgroup (compile time only)
; SGPRBlocks: 0
; VGPRBlocks: 0
; NumSGPRsForWavesPerEU: 1
; NumVGPRsForWavesPerEU: 1
; Occupancy: 16
; WaveLimiterHint : 0
; COMPUTE_PGM_RSRC2:SCRATCH_EN: 0
; COMPUTE_PGM_RSRC2:USER_SGPR: 15
; COMPUTE_PGM_RSRC2:TRAP_HANDLER: 0
; COMPUTE_PGM_RSRC2:TGID_X_EN: 1
; COMPUTE_PGM_RSRC2:TGID_Y_EN: 0
; COMPUTE_PGM_RSRC2:TGID_Z_EN: 0
; COMPUTE_PGM_RSRC2:TIDIG_COMP_CNT: 0
	.section	.text._ZN7rocprim17ROCPRIM_400000_NS6detail17trampoline_kernelINS0_14default_configENS1_32segmented_reduce_config_selectorIN3c104HalfEEEZNS1_21segmented_reduce_implIS3_PKS6_PS6_PKlS6_N6hipcub16HIPCUB_304000_NS6detail27convert_result_type_wrapperISA_SB_N2at6native12_GLOBAL__N_19CustomMaxEEEEE10hipError_tPvRmT0_T1_jT2_SS_T4_T3_P12ihipStream_tbEUlT_E_NS1_11comp_targetILNS1_3genE9ELNS1_11target_archE1100ELNS1_3gpuE3ELNS1_3repE0EEENS1_30default_config_static_selectorELNS0_4arch9wavefront6targetE0EEEvSR_,"axG",@progbits,_ZN7rocprim17ROCPRIM_400000_NS6detail17trampoline_kernelINS0_14default_configENS1_32segmented_reduce_config_selectorIN3c104HalfEEEZNS1_21segmented_reduce_implIS3_PKS6_PS6_PKlS6_N6hipcub16HIPCUB_304000_NS6detail27convert_result_type_wrapperISA_SB_N2at6native12_GLOBAL__N_19CustomMaxEEEEE10hipError_tPvRmT0_T1_jT2_SS_T4_T3_P12ihipStream_tbEUlT_E_NS1_11comp_targetILNS1_3genE9ELNS1_11target_archE1100ELNS1_3gpuE3ELNS1_3repE0EEENS1_30default_config_static_selectorELNS0_4arch9wavefront6targetE0EEEvSR_,comdat
	.globl	_ZN7rocprim17ROCPRIM_400000_NS6detail17trampoline_kernelINS0_14default_configENS1_32segmented_reduce_config_selectorIN3c104HalfEEEZNS1_21segmented_reduce_implIS3_PKS6_PS6_PKlS6_N6hipcub16HIPCUB_304000_NS6detail27convert_result_type_wrapperISA_SB_N2at6native12_GLOBAL__N_19CustomMaxEEEEE10hipError_tPvRmT0_T1_jT2_SS_T4_T3_P12ihipStream_tbEUlT_E_NS1_11comp_targetILNS1_3genE9ELNS1_11target_archE1100ELNS1_3gpuE3ELNS1_3repE0EEENS1_30default_config_static_selectorELNS0_4arch9wavefront6targetE0EEEvSR_ ; -- Begin function _ZN7rocprim17ROCPRIM_400000_NS6detail17trampoline_kernelINS0_14default_configENS1_32segmented_reduce_config_selectorIN3c104HalfEEEZNS1_21segmented_reduce_implIS3_PKS6_PS6_PKlS6_N6hipcub16HIPCUB_304000_NS6detail27convert_result_type_wrapperISA_SB_N2at6native12_GLOBAL__N_19CustomMaxEEEEE10hipError_tPvRmT0_T1_jT2_SS_T4_T3_P12ihipStream_tbEUlT_E_NS1_11comp_targetILNS1_3genE9ELNS1_11target_archE1100ELNS1_3gpuE3ELNS1_3repE0EEENS1_30default_config_static_selectorELNS0_4arch9wavefront6targetE0EEEvSR_
	.p2align	8
	.type	_ZN7rocprim17ROCPRIM_400000_NS6detail17trampoline_kernelINS0_14default_configENS1_32segmented_reduce_config_selectorIN3c104HalfEEEZNS1_21segmented_reduce_implIS3_PKS6_PS6_PKlS6_N6hipcub16HIPCUB_304000_NS6detail27convert_result_type_wrapperISA_SB_N2at6native12_GLOBAL__N_19CustomMaxEEEEE10hipError_tPvRmT0_T1_jT2_SS_T4_T3_P12ihipStream_tbEUlT_E_NS1_11comp_targetILNS1_3genE9ELNS1_11target_archE1100ELNS1_3gpuE3ELNS1_3repE0EEENS1_30default_config_static_selectorELNS0_4arch9wavefront6targetE0EEEvSR_,@function
_ZN7rocprim17ROCPRIM_400000_NS6detail17trampoline_kernelINS0_14default_configENS1_32segmented_reduce_config_selectorIN3c104HalfEEEZNS1_21segmented_reduce_implIS3_PKS6_PS6_PKlS6_N6hipcub16HIPCUB_304000_NS6detail27convert_result_type_wrapperISA_SB_N2at6native12_GLOBAL__N_19CustomMaxEEEEE10hipError_tPvRmT0_T1_jT2_SS_T4_T3_P12ihipStream_tbEUlT_E_NS1_11comp_targetILNS1_3genE9ELNS1_11target_archE1100ELNS1_3gpuE3ELNS1_3repE0EEENS1_30default_config_static_selectorELNS0_4arch9wavefront6targetE0EEEvSR_: ; @_ZN7rocprim17ROCPRIM_400000_NS6detail17trampoline_kernelINS0_14default_configENS1_32segmented_reduce_config_selectorIN3c104HalfEEEZNS1_21segmented_reduce_implIS3_PKS6_PS6_PKlS6_N6hipcub16HIPCUB_304000_NS6detail27convert_result_type_wrapperISA_SB_N2at6native12_GLOBAL__N_19CustomMaxEEEEE10hipError_tPvRmT0_T1_jT2_SS_T4_T3_P12ihipStream_tbEUlT_E_NS1_11comp_targetILNS1_3genE9ELNS1_11target_archE1100ELNS1_3gpuE3ELNS1_3repE0EEENS1_30default_config_static_selectorELNS0_4arch9wavefront6targetE0EEEvSR_
; %bb.0:
	s_clause 0x2
	s_load_b256 s[16:23], s[0:1], 0x0
	s_load_b32 s4, s[0:1], 0x28
	s_load_b64 s[0:1], s[0:1], 0x20
	s_mov_b32 s24, s15
	s_mov_b32 s25, 0
	s_waitcnt lgkmcnt(0)
	s_lshl_b64 s[2:3], s[20:21], 3
	s_lshr_b32 s15, s4, 16
	s_add_u32 s4, s22, s2
	s_addc_u32 s5, s23, s3
	s_add_u32 s6, s0, s2
	s_addc_u32 s7, s1, s3
	s_lshl_b64 s[0:1], s[24:25], 3
	s_delay_alu instid0(SALU_CYCLE_1)
	s_add_u32 s2, s4, s0
	s_addc_u32 s3, s5, s1
	s_add_u32 s0, s6, s0
	s_addc_u32 s1, s7, s1
	s_load_b64 s[26:27], s[2:3], 0x0
	s_load_b64 s[22:23], s[0:1], 0x0
	s_waitcnt lgkmcnt(0)
	v_cmp_gt_i64_e64 s0, s[22:23], s[26:27]
	s_delay_alu instid0(VALU_DEP_1)
	s_and_b32 vcc_lo, exec_lo, s0
	v_cmp_eq_u32_e64 s0, 0, v0
	s_cbranch_vccnz .LBB219_3
; %bb.1:
	s_delay_alu instid0(VALU_DEP_1)
	s_and_b32 s30, s0, exec_lo
	s_cbranch_execz .LBB219_4
; %bb.2:
	v_mov_b32_e32 v1, s15
	s_and_saveexec_b32 s0, s30
	s_cbranch_execnz .LBB219_409
	s_branch .LBB219_410
.LBB219_3:
	s_mov_b32 s30, s25
.LBB219_4:
	s_add_u32 s0, s26, 0x1000
	s_addc_u32 s1, s27, 0
	s_delay_alu instid0(SALU_CYCLE_1) | instskip(NEXT) | instid1(VALU_DEP_1)
	v_cmp_le_i64_e64 s2, s[0:1], s[22:23]
	s_and_b32 vcc_lo, exec_lo, s2
	s_cbranch_vccz .LBB219_133
; %bb.5:
	v_lshlrev_b32_e32 v20, 1, v0
	s_lshl_b64 s[2:3], s[26:27], 1
	s_delay_alu instid0(SALU_CYCLE_1) | instskip(SKIP_1) | instid1(VALU_DEP_1)
	s_add_u32 s4, s16, s2
	s_addc_u32 s5, s17, s3
	v_add_co_u32 v1, s6, s4, v20
	s_delay_alu instid0(VALU_DEP_1) | instskip(NEXT) | instid1(VALU_DEP_2)
	v_add_co_ci_u32_e64 v2, null, s5, 0, s6
	v_add_co_u32 v1, vcc_lo, 0x1000, v1
	s_delay_alu instid0(VALU_DEP_2)
	v_add_co_ci_u32_e32 v2, vcc_lo, 0, v2, vcc_lo
	s_clause 0xf
	global_load_u16 v19, v20, s[4:5]
	global_load_u16 v18, v20, s[4:5] offset:512
	global_load_u16 v17, v20, s[4:5] offset:1024
	;; [unrolled: 1-line block ×7, first 2 shown]
	global_load_u16 v10, v[1:2], off
	global_load_u16 v9, v[1:2], off offset:512
	global_load_u16 v8, v[1:2], off offset:1024
	;; [unrolled: 1-line block ×7, first 2 shown]
	s_mov_b32 s4, exec_lo
	s_waitcnt vmcnt(15)
	v_mov_b32_e32 v11, v19
	v_cmpx_o_f16_e32 v19, v19
	s_cbranch_execz .LBB219_9
; %bb.6:
	s_waitcnt vmcnt(14)
	v_mov_b32_e32 v11, v18
	s_mov_b32 s5, exec_lo
	v_cmpx_o_f16_e32 v18, v18
; %bb.7:
	v_cmp_gt_f16_e32 vcc_lo, v18, v19
	v_cndmask_b32_e32 v11, v19, v18, vcc_lo
; %bb.8:
	s_or_b32 exec_lo, exec_lo, s5
.LBB219_9:
	s_delay_alu instid0(SALU_CYCLE_1) | instskip(NEXT) | instid1(SALU_CYCLE_1)
	s_or_b32 exec_lo, exec_lo, s4
	s_mov_b32 s4, exec_lo
	s_delay_alu instid0(VALU_DEP_1)
	v_cmpx_o_f16_e32 v11, v11
	s_cbranch_execz .LBB219_13
; %bb.10:
	s_waitcnt vmcnt(13)
	v_mov_b32_e32 v1, v17
	s_mov_b32 s5, exec_lo
	v_cmpx_o_f16_e32 v17, v17
; %bb.11:
	v_cmp_lt_f16_e32 vcc_lo, v11, v17
	v_cndmask_b32_e32 v1, v11, v17, vcc_lo
; %bb.12:
	s_or_b32 exec_lo, exec_lo, s5
	s_delay_alu instid0(VALU_DEP_1)
	v_mov_b32_e32 v11, v1
.LBB219_13:
	s_or_b32 exec_lo, exec_lo, s4
	s_delay_alu instid0(SALU_CYCLE_1) | instskip(NEXT) | instid1(VALU_DEP_1)
	s_mov_b32 s4, exec_lo
	v_cmpx_o_f16_e32 v11, v11
	s_cbranch_execz .LBB219_17
; %bb.14:
	s_waitcnt vmcnt(12)
	v_mov_b32_e32 v1, v16
	s_mov_b32 s5, exec_lo
	v_cmpx_o_f16_e32 v16, v16
; %bb.15:
	v_cmp_lt_f16_e32 vcc_lo, v11, v16
	v_cndmask_b32_e32 v1, v11, v16, vcc_lo
; %bb.16:
	s_or_b32 exec_lo, exec_lo, s5
	s_delay_alu instid0(VALU_DEP_1)
	v_mov_b32_e32 v11, v1
.LBB219_17:
	s_or_b32 exec_lo, exec_lo, s4
	s_delay_alu instid0(SALU_CYCLE_1) | instskip(NEXT) | instid1(VALU_DEP_1)
	s_mov_b32 s4, exec_lo
	v_cmpx_o_f16_e32 v11, v11
	s_cbranch_execz .LBB219_21
; %bb.18:
	s_waitcnt vmcnt(11)
	v_mov_b32_e32 v1, v15
	s_mov_b32 s5, exec_lo
	v_cmpx_o_f16_e32 v15, v15
; %bb.19:
	v_cmp_lt_f16_e32 vcc_lo, v11, v15
	v_cndmask_b32_e32 v1, v11, v15, vcc_lo
; %bb.20:
	s_or_b32 exec_lo, exec_lo, s5
	s_delay_alu instid0(VALU_DEP_1)
	v_mov_b32_e32 v11, v1
.LBB219_21:
	s_or_b32 exec_lo, exec_lo, s4
	s_delay_alu instid0(SALU_CYCLE_1) | instskip(NEXT) | instid1(VALU_DEP_1)
	s_mov_b32 s4, exec_lo
	v_cmpx_o_f16_e32 v11, v11
	s_cbranch_execz .LBB219_25
; %bb.22:
	s_waitcnt vmcnt(10)
	v_mov_b32_e32 v1, v14
	s_mov_b32 s5, exec_lo
	v_cmpx_o_f16_e32 v14, v14
; %bb.23:
	v_cmp_lt_f16_e32 vcc_lo, v11, v14
	v_cndmask_b32_e32 v1, v11, v14, vcc_lo
; %bb.24:
	s_or_b32 exec_lo, exec_lo, s5
	s_delay_alu instid0(VALU_DEP_1)
	v_mov_b32_e32 v11, v1
.LBB219_25:
	s_or_b32 exec_lo, exec_lo, s4
	s_delay_alu instid0(SALU_CYCLE_1) | instskip(NEXT) | instid1(VALU_DEP_1)
	s_mov_b32 s4, exec_lo
	v_cmpx_o_f16_e32 v11, v11
	s_cbranch_execz .LBB219_29
; %bb.26:
	s_waitcnt vmcnt(9)
	v_mov_b32_e32 v1, v13
	s_mov_b32 s5, exec_lo
	v_cmpx_o_f16_e32 v13, v13
; %bb.27:
	v_cmp_lt_f16_e32 vcc_lo, v11, v13
	v_cndmask_b32_e32 v1, v11, v13, vcc_lo
; %bb.28:
	s_or_b32 exec_lo, exec_lo, s5
	s_delay_alu instid0(VALU_DEP_1)
	v_mov_b32_e32 v11, v1
.LBB219_29:
	s_or_b32 exec_lo, exec_lo, s4
	s_delay_alu instid0(SALU_CYCLE_1) | instskip(NEXT) | instid1(VALU_DEP_1)
	s_mov_b32 s4, exec_lo
	v_cmpx_o_f16_e32 v11, v11
	s_cbranch_execz .LBB219_33
; %bb.30:
	s_waitcnt vmcnt(8)
	v_mov_b32_e32 v1, v12
	s_mov_b32 s5, exec_lo
	v_cmpx_o_f16_e32 v12, v12
; %bb.31:
	v_cmp_lt_f16_e32 vcc_lo, v11, v12
	v_cndmask_b32_e32 v1, v11, v12, vcc_lo
; %bb.32:
	s_or_b32 exec_lo, exec_lo, s5
	s_delay_alu instid0(VALU_DEP_1)
	v_mov_b32_e32 v11, v1
.LBB219_33:
	s_or_b32 exec_lo, exec_lo, s4
	s_delay_alu instid0(SALU_CYCLE_1) | instskip(NEXT) | instid1(VALU_DEP_1)
	s_mov_b32 s4, exec_lo
	v_cmpx_o_f16_e32 v11, v11
	s_cbranch_execz .LBB219_37
; %bb.34:
	s_waitcnt vmcnt(7)
	v_mov_b32_e32 v1, v10
	s_mov_b32 s5, exec_lo
	v_cmpx_o_f16_e32 v10, v10
; %bb.35:
	v_cmp_lt_f16_e32 vcc_lo, v11, v10
	v_cndmask_b32_e32 v1, v11, v10, vcc_lo
; %bb.36:
	s_or_b32 exec_lo, exec_lo, s5
	s_delay_alu instid0(VALU_DEP_1)
	v_mov_b32_e32 v11, v1
.LBB219_37:
	s_or_b32 exec_lo, exec_lo, s4
	s_delay_alu instid0(SALU_CYCLE_1) | instskip(NEXT) | instid1(VALU_DEP_1)
	s_mov_b32 s4, exec_lo
	v_cmpx_o_f16_e32 v11, v11
	s_cbranch_execz .LBB219_41
; %bb.38:
	s_waitcnt vmcnt(6)
	v_mov_b32_e32 v1, v9
	s_mov_b32 s5, exec_lo
	v_cmpx_o_f16_e32 v9, v9
; %bb.39:
	v_cmp_lt_f16_e32 vcc_lo, v11, v9
	v_cndmask_b32_e32 v1, v11, v9, vcc_lo
; %bb.40:
	s_or_b32 exec_lo, exec_lo, s5
	s_delay_alu instid0(VALU_DEP_1)
	v_mov_b32_e32 v11, v1
.LBB219_41:
	s_or_b32 exec_lo, exec_lo, s4
	s_delay_alu instid0(SALU_CYCLE_1) | instskip(NEXT) | instid1(VALU_DEP_1)
	s_mov_b32 s4, exec_lo
	v_cmpx_o_f16_e32 v11, v11
	s_cbranch_execz .LBB219_45
; %bb.42:
	s_waitcnt vmcnt(5)
	v_mov_b32_e32 v1, v8
	s_mov_b32 s5, exec_lo
	v_cmpx_o_f16_e32 v8, v8
; %bb.43:
	v_cmp_lt_f16_e32 vcc_lo, v11, v8
	v_cndmask_b32_e32 v1, v11, v8, vcc_lo
; %bb.44:
	s_or_b32 exec_lo, exec_lo, s5
	s_delay_alu instid0(VALU_DEP_1)
	v_mov_b32_e32 v11, v1
.LBB219_45:
	s_or_b32 exec_lo, exec_lo, s4
	s_delay_alu instid0(SALU_CYCLE_1) | instskip(NEXT) | instid1(VALU_DEP_1)
	s_mov_b32 s4, exec_lo
	v_cmpx_o_f16_e32 v11, v11
	s_cbranch_execz .LBB219_49
; %bb.46:
	s_waitcnt vmcnt(4)
	v_mov_b32_e32 v1, v7
	s_mov_b32 s5, exec_lo
	v_cmpx_o_f16_e32 v7, v7
; %bb.47:
	v_cmp_lt_f16_e32 vcc_lo, v11, v7
	v_cndmask_b32_e32 v1, v11, v7, vcc_lo
; %bb.48:
	s_or_b32 exec_lo, exec_lo, s5
	s_delay_alu instid0(VALU_DEP_1)
	v_mov_b32_e32 v11, v1
.LBB219_49:
	s_or_b32 exec_lo, exec_lo, s4
	s_delay_alu instid0(SALU_CYCLE_1) | instskip(NEXT) | instid1(VALU_DEP_1)
	s_mov_b32 s4, exec_lo
	v_cmpx_o_f16_e32 v11, v11
	s_cbranch_execz .LBB219_53
; %bb.50:
	s_waitcnt vmcnt(3)
	v_mov_b32_e32 v1, v6
	s_mov_b32 s5, exec_lo
	v_cmpx_o_f16_e32 v6, v6
; %bb.51:
	v_cmp_lt_f16_e32 vcc_lo, v11, v6
	v_cndmask_b32_e32 v1, v11, v6, vcc_lo
; %bb.52:
	s_or_b32 exec_lo, exec_lo, s5
	s_delay_alu instid0(VALU_DEP_1)
	v_mov_b32_e32 v11, v1
.LBB219_53:
	s_or_b32 exec_lo, exec_lo, s4
	s_delay_alu instid0(SALU_CYCLE_1) | instskip(NEXT) | instid1(VALU_DEP_1)
	s_mov_b32 s4, exec_lo
	v_cmpx_o_f16_e32 v11, v11
	s_cbranch_execz .LBB219_57
; %bb.54:
	s_waitcnt vmcnt(2)
	v_mov_b32_e32 v1, v5
	s_mov_b32 s5, exec_lo
	v_cmpx_o_f16_e32 v5, v5
; %bb.55:
	v_cmp_lt_f16_e32 vcc_lo, v11, v5
	v_cndmask_b32_e32 v1, v11, v5, vcc_lo
; %bb.56:
	s_or_b32 exec_lo, exec_lo, s5
	s_delay_alu instid0(VALU_DEP_1)
	v_mov_b32_e32 v11, v1
.LBB219_57:
	s_or_b32 exec_lo, exec_lo, s4
	s_delay_alu instid0(SALU_CYCLE_1) | instskip(NEXT) | instid1(VALU_DEP_1)
	s_mov_b32 s4, exec_lo
	v_cmpx_o_f16_e32 v11, v11
	s_cbranch_execz .LBB219_61
; %bb.58:
	s_waitcnt vmcnt(1)
	v_mov_b32_e32 v1, v4
	s_mov_b32 s5, exec_lo
	v_cmpx_o_f16_e32 v4, v4
; %bb.59:
	v_cmp_lt_f16_e32 vcc_lo, v11, v4
	v_cndmask_b32_e32 v1, v11, v4, vcc_lo
; %bb.60:
	s_or_b32 exec_lo, exec_lo, s5
	s_delay_alu instid0(VALU_DEP_1)
	v_mov_b32_e32 v11, v1
.LBB219_61:
	s_or_b32 exec_lo, exec_lo, s4
	s_delay_alu instid0(SALU_CYCLE_1) | instskip(NEXT) | instid1(VALU_DEP_1)
	s_mov_b32 s4, exec_lo
	v_cmpx_o_f16_e32 v11, v11
	s_cbranch_execz .LBB219_65
; %bb.62:
	s_waitcnt vmcnt(0)
	v_mov_b32_e32 v1, v3
	s_mov_b32 s5, exec_lo
	v_cmpx_o_f16_e32 v3, v3
; %bb.63:
	v_cmp_lt_f16_e32 vcc_lo, v11, v3
	v_cndmask_b32_e32 v1, v11, v3, vcc_lo
; %bb.64:
	s_or_b32 exec_lo, exec_lo, s5
	s_delay_alu instid0(VALU_DEP_1)
	v_mov_b32_e32 v11, v1
.LBB219_65:
	s_or_b32 exec_lo, exec_lo, s4
	s_add_u32 s4, s26, 0x2000
	s_addc_u32 s5, s27, 0
	s_delay_alu instid0(SALU_CYCLE_1) | instskip(NEXT) | instid1(VALU_DEP_1)
	v_cmp_ge_i64_e64 s4, s[4:5], s[22:23]
	s_and_b32 vcc_lo, exec_lo, s4
	s_cbranch_vccnz .LBB219_134
; %bb.66:
	s_add_u32 s2, s16, s2
	s_addc_u32 s3, s17, s3
	v_add_co_u32 v1, s2, s2, v20
	s_delay_alu instid0(VALU_DEP_1) | instskip(NEXT) | instid1(VALU_DEP_2)
	v_add_co_ci_u32_e64 v2, null, s3, 0, s2
	v_add_co_u32 v1, vcc_lo, 0x2000, v1
	s_delay_alu instid0(VALU_DEP_2)
	v_add_co_ci_u32_e32 v2, vcc_lo, 0, v2, vcc_lo
.LBB219_67:                             ; =>This Inner Loop Header: Depth=1
	s_delay_alu instid0(VALU_DEP_2) | instskip(NEXT) | instid1(VALU_DEP_2)
	v_add_co_u32 v21, vcc_lo, 0x1000, v1
	v_add_co_ci_u32_e32 v22, vcc_lo, 0, v2, vcc_lo
	s_clause 0xf
	global_load_u16 v19, v[1:2], off
	global_load_u16 v18, v[1:2], off offset:512
	global_load_u16 v17, v[1:2], off offset:1024
	global_load_u16 v16, v[1:2], off offset:1536
	global_load_u16 v15, v[1:2], off offset:2048
	global_load_u16 v14, v[1:2], off offset:2560
	global_load_u16 v13, v[1:2], off offset:3072
	global_load_u16 v12, v[1:2], off offset:3584
	global_load_u16 v10, v[21:22], off
	global_load_u16 v9, v[21:22], off offset:512
	global_load_u16 v8, v[21:22], off offset:1024
	;; [unrolled: 1-line block ×7, first 2 shown]
	v_mov_b32_e32 v21, v11
	s_mov_b32 s2, exec_lo
	v_cmpx_o_f16_e32 v11, v11
	s_cbranch_execz .LBB219_71
; %bb.68:                               ;   in Loop: Header=BB219_67 Depth=1
	s_waitcnt vmcnt(15)
	v_mov_b32_e32 v21, v19
	s_mov_b32 s3, exec_lo
	v_cmpx_o_f16_e32 v19, v19
; %bb.69:                               ;   in Loop: Header=BB219_67 Depth=1
	v_cmp_gt_f16_e32 vcc_lo, v19, v11
	v_cndmask_b32_e32 v21, v11, v19, vcc_lo
; %bb.70:                               ;   in Loop: Header=BB219_67 Depth=1
	s_or_b32 exec_lo, exec_lo, s3
	s_delay_alu instid0(VALU_DEP_1)
	v_mov_b32_e32 v11, v21
.LBB219_71:                             ;   in Loop: Header=BB219_67 Depth=1
	s_or_b32 exec_lo, exec_lo, s2
	s_delay_alu instid0(SALU_CYCLE_1)
	s_mov_b32 s2, exec_lo
	v_cmpx_o_f16_e32 v21, v21
	s_cbranch_execz .LBB219_75
; %bb.72:                               ;   in Loop: Header=BB219_67 Depth=1
	s_waitcnt vmcnt(14)
	v_mov_b32_e32 v22, v18
	s_mov_b32 s3, exec_lo
	v_cmpx_o_f16_e32 v18, v18
; %bb.73:                               ;   in Loop: Header=BB219_67 Depth=1
	v_cmp_lt_f16_e32 vcc_lo, v21, v18
	v_cndmask_b32_e32 v22, v11, v18, vcc_lo
; %bb.74:                               ;   in Loop: Header=BB219_67 Depth=1
	s_or_b32 exec_lo, exec_lo, s3
	s_delay_alu instid0(VALU_DEP_1)
	v_mov_b32_e32 v21, v22
	v_mov_b32_e32 v11, v22
.LBB219_75:                             ;   in Loop: Header=BB219_67 Depth=1
	s_or_b32 exec_lo, exec_lo, s2
	s_delay_alu instid0(SALU_CYCLE_1) | instskip(NEXT) | instid1(VALU_DEP_2)
	s_mov_b32 s2, exec_lo
	v_cmpx_o_f16_e32 v21, v21
	s_cbranch_execz .LBB219_79
; %bb.76:                               ;   in Loop: Header=BB219_67 Depth=1
	s_waitcnt vmcnt(13)
	v_mov_b32_e32 v22, v17
	s_mov_b32 s3, exec_lo
	v_cmpx_o_f16_e32 v17, v17
; %bb.77:                               ;   in Loop: Header=BB219_67 Depth=1
	v_cmp_lt_f16_e32 vcc_lo, v21, v17
	v_cndmask_b32_e32 v22, v11, v17, vcc_lo
; %bb.78:                               ;   in Loop: Header=BB219_67 Depth=1
	s_or_b32 exec_lo, exec_lo, s3
	s_delay_alu instid0(VALU_DEP_1)
	v_mov_b32_e32 v21, v22
	v_mov_b32_e32 v11, v22
.LBB219_79:                             ;   in Loop: Header=BB219_67 Depth=1
	s_or_b32 exec_lo, exec_lo, s2
	s_delay_alu instid0(SALU_CYCLE_1) | instskip(NEXT) | instid1(VALU_DEP_2)
	;; [unrolled: 19-line block ×7, first 2 shown]
	s_mov_b32 s2, exec_lo
	v_cmpx_o_f16_e32 v21, v21
	s_cbranch_execz .LBB219_103
; %bb.100:                              ;   in Loop: Header=BB219_67 Depth=1
	s_waitcnt vmcnt(7)
	v_mov_b32_e32 v22, v10
	s_mov_b32 s3, exec_lo
	v_cmpx_o_f16_e32 v10, v10
; %bb.101:                              ;   in Loop: Header=BB219_67 Depth=1
	v_cmp_lt_f16_e32 vcc_lo, v21, v10
	v_cndmask_b32_e32 v22, v11, v10, vcc_lo
; %bb.102:                              ;   in Loop: Header=BB219_67 Depth=1
	s_or_b32 exec_lo, exec_lo, s3
	s_delay_alu instid0(VALU_DEP_1)
	v_mov_b32_e32 v21, v22
	v_mov_b32_e32 v11, v22
.LBB219_103:                            ;   in Loop: Header=BB219_67 Depth=1
	s_or_b32 exec_lo, exec_lo, s2
	s_delay_alu instid0(SALU_CYCLE_1) | instskip(NEXT) | instid1(VALU_DEP_2)
	s_mov_b32 s2, exec_lo
	v_cmpx_o_f16_e32 v21, v21
	s_cbranch_execz .LBB219_107
; %bb.104:                              ;   in Loop: Header=BB219_67 Depth=1
	s_waitcnt vmcnt(6)
	v_mov_b32_e32 v22, v9
	s_mov_b32 s3, exec_lo
	v_cmpx_o_f16_e32 v9, v9
; %bb.105:                              ;   in Loop: Header=BB219_67 Depth=1
	v_cmp_lt_f16_e32 vcc_lo, v21, v9
	v_cndmask_b32_e32 v22, v11, v9, vcc_lo
; %bb.106:                              ;   in Loop: Header=BB219_67 Depth=1
	s_or_b32 exec_lo, exec_lo, s3
	s_delay_alu instid0(VALU_DEP_1)
	v_mov_b32_e32 v21, v22
	v_mov_b32_e32 v11, v22
.LBB219_107:                            ;   in Loop: Header=BB219_67 Depth=1
	s_or_b32 exec_lo, exec_lo, s2
	s_delay_alu instid0(SALU_CYCLE_1) | instskip(NEXT) | instid1(VALU_DEP_2)
	;; [unrolled: 19-line block ×7, first 2 shown]
	s_mov_b32 s2, exec_lo
	v_cmpx_o_f16_e32 v21, v21
	s_cbranch_execz .LBB219_131
; %bb.128:                              ;   in Loop: Header=BB219_67 Depth=1
	s_waitcnt vmcnt(0)
	v_mov_b32_e32 v22, v3
	s_mov_b32 s3, exec_lo
	v_cmpx_o_f16_e32 v3, v3
; %bb.129:                              ;   in Loop: Header=BB219_67 Depth=1
	v_cmp_lt_f16_e32 vcc_lo, v21, v3
	v_cndmask_b32_e32 v22, v11, v3, vcc_lo
; %bb.130:                              ;   in Loop: Header=BB219_67 Depth=1
	s_or_b32 exec_lo, exec_lo, s3
	s_delay_alu instid0(VALU_DEP_1)
	v_mov_b32_e32 v11, v22
.LBB219_131:                            ;   in Loop: Header=BB219_67 Depth=1
	s_or_b32 exec_lo, exec_lo, s2
	s_add_u32 s2, s0, 0x1000
	s_addc_u32 s3, s1, 0
	s_add_u32 s0, s0, 0x2000
	s_addc_u32 s1, s1, 0
	v_add_co_u32 v1, vcc_lo, 0x2000, v1
	v_cmp_lt_i64_e64 s0, s[0:1], s[22:23]
	v_add_co_ci_u32_e32 v2, vcc_lo, 0, v2, vcc_lo
	s_delay_alu instid0(VALU_DEP_2)
	s_and_b32 vcc_lo, exec_lo, s0
	s_cbranch_vccz .LBB219_135
; %bb.132:                              ;   in Loop: Header=BB219_67 Depth=1
	s_mov_b64 s[0:1], s[2:3]
	s_branch .LBB219_67
.LBB219_133:
                                        ; implicit-def: $vgpr2
	s_cbranch_execnz .LBB219_300
	s_branch .LBB219_402
.LBB219_134:
	s_mov_b64 s[2:3], s[0:1]
.LBB219_135:
	s_delay_alu instid0(SALU_CYCLE_1) | instskip(SKIP_4) | instid1(VALU_DEP_1)
	s_sub_i32 s31, s22, s2
	s_lshl_b64 s[0:1], s[2:3], 1
	v_cmp_gt_u32_e64 s14, s31, v0
	s_add_u32 s28, s16, s0
	s_addc_u32 s29, s17, s1
	s_and_saveexec_b32 s0, s14
	s_cbranch_execz .LBB219_137
; %bb.136:
	global_load_u16 v19, v20, s[28:29]
.LBB219_137:
	s_or_b32 exec_lo, exec_lo, s0
	v_or_b32_e32 v1, 0x100, v0
	s_delay_alu instid0(VALU_DEP_1) | instskip(NEXT) | instid1(VALU_DEP_1)
	v_cmp_gt_u32_e64 s13, s31, v1
	s_and_saveexec_b32 s0, s13
	s_cbranch_execz .LBB219_139
; %bb.138:
	global_load_u16 v18, v20, s[28:29] offset:512
.LBB219_139:
	s_or_b32 exec_lo, exec_lo, s0
	v_or_b32_e32 v1, 0x200, v0
	s_delay_alu instid0(VALU_DEP_1) | instskip(NEXT) | instid1(VALU_DEP_1)
	v_cmp_gt_u32_e64 s12, s31, v1
	s_and_saveexec_b32 s0, s12
	s_cbranch_execz .LBB219_141
; %bb.140:
	global_load_u16 v17, v20, s[28:29] offset:1024
.LBB219_141:
	;; [unrolled: 9-line block ×7, first 2 shown]
	s_or_b32 exec_lo, exec_lo, s0
	v_or_b32_e32 v1, 0x800, v0
	s_delay_alu instid0(VALU_DEP_1) | instskip(NEXT) | instid1(VALU_DEP_1)
	v_cmp_gt_u32_e64 s6, s31, v1
	s_and_saveexec_b32 s0, s6
	s_cbranch_execz .LBB219_153
; %bb.152:
	v_lshlrev_b32_e32 v1, 1, v1
	global_load_u16 v10, v1, s[28:29]
.LBB219_153:
	s_or_b32 exec_lo, exec_lo, s0
	v_or_b32_e32 v1, 0x900, v0
	s_delay_alu instid0(VALU_DEP_1) | instskip(NEXT) | instid1(VALU_DEP_1)
	v_cmp_gt_u32_e64 s5, s31, v1
	s_and_saveexec_b32 s0, s5
	s_cbranch_execz .LBB219_155
; %bb.154:
	v_lshlrev_b32_e32 v1, 1, v1
	global_load_u16 v9, v1, s[28:29]
.LBB219_155:
	;; [unrolled: 10-line block ×7, first 2 shown]
	s_or_b32 exec_lo, exec_lo, s33
	v_or_b32_e32 v1, 0xf00, v0
	s_delay_alu instid0(VALU_DEP_1)
	v_cmp_gt_u32_e32 vcc_lo, s31, v1
	s_and_saveexec_b32 s31, vcc_lo
	s_cbranch_execnz .LBB219_182
; %bb.166:
	s_or_b32 exec_lo, exec_lo, s31
	s_and_saveexec_b32 s28, s14
	s_cbranch_execnz .LBB219_183
.LBB219_167:
	s_or_b32 exec_lo, exec_lo, s28
	s_and_saveexec_b32 s14, s13
	s_cbranch_execnz .LBB219_188
.LBB219_168:
	s_or_b32 exec_lo, exec_lo, s14
	s_and_saveexec_b32 s13, s12
	s_cbranch_execnz .LBB219_193
.LBB219_169:
	s_or_b32 exec_lo, exec_lo, s13
	s_and_saveexec_b32 s12, s11
	s_cbranch_execnz .LBB219_198
.LBB219_170:
	s_or_b32 exec_lo, exec_lo, s12
	s_and_saveexec_b32 s11, s10
	s_cbranch_execnz .LBB219_203
.LBB219_171:
	s_or_b32 exec_lo, exec_lo, s11
	s_and_saveexec_b32 s10, s9
	s_cbranch_execnz .LBB219_208
.LBB219_172:
	s_or_b32 exec_lo, exec_lo, s10
	s_and_saveexec_b32 s9, s8
	s_cbranch_execnz .LBB219_213
.LBB219_173:
	s_or_b32 exec_lo, exec_lo, s9
	s_and_saveexec_b32 s8, s7
	s_cbranch_execnz .LBB219_218
.LBB219_174:
	s_or_b32 exec_lo, exec_lo, s8
	s_and_saveexec_b32 s7, s6
	s_cbranch_execnz .LBB219_223
.LBB219_175:
	s_or_b32 exec_lo, exec_lo, s7
	s_and_saveexec_b32 s6, s5
	s_cbranch_execnz .LBB219_228
.LBB219_176:
	s_or_b32 exec_lo, exec_lo, s6
	s_and_saveexec_b32 s5, s4
	s_cbranch_execnz .LBB219_233
.LBB219_177:
	s_or_b32 exec_lo, exec_lo, s5
	s_and_saveexec_b32 s4, s3
	s_cbranch_execnz .LBB219_238
.LBB219_178:
	s_or_b32 exec_lo, exec_lo, s4
	s_and_saveexec_b32 s3, s2
	s_cbranch_execnz .LBB219_243
.LBB219_179:
	s_or_b32 exec_lo, exec_lo, s3
	s_and_saveexec_b32 s2, s1
	s_cbranch_execnz .LBB219_248
.LBB219_180:
	s_or_b32 exec_lo, exec_lo, s2
	s_and_saveexec_b32 s1, s0
	s_cbranch_execnz .LBB219_253
.LBB219_181:
	s_or_b32 exec_lo, exec_lo, s1
	s_and_saveexec_b32 s0, vcc_lo
	s_cbranch_execnz .LBB219_258
	s_branch .LBB219_263
.LBB219_182:
	v_lshlrev_b32_e32 v1, 1, v1
	global_load_u16 v3, v1, s[28:29]
	s_or_b32 exec_lo, exec_lo, s31
	s_and_saveexec_b32 s28, s14
	s_cbranch_execz .LBB219_167
.LBB219_183:
	s_mov_b32 s29, exec_lo
	v_cmpx_o_f16_e32 v11, v11
	s_cbranch_execz .LBB219_187
; %bb.184:
	s_mov_b32 s31, exec_lo
	s_waitcnt vmcnt(0)
	v_cmpx_o_f16_e32 v19, v19
; %bb.185:
	v_cmp_gt_f16_e64 s14, v19, v11
	s_delay_alu instid0(VALU_DEP_1)
	v_cndmask_b32_e64 v19, v11, v19, s14
; %bb.186:
	s_or_b32 exec_lo, exec_lo, s31
	s_delay_alu instid0(VALU_DEP_1)
	v_mov_b32_e32 v11, v19
.LBB219_187:
	s_or_b32 exec_lo, exec_lo, s29
	s_delay_alu instid0(SALU_CYCLE_1)
	s_or_b32 exec_lo, exec_lo, s28
	s_and_saveexec_b32 s14, s13
	s_cbranch_execz .LBB219_168
.LBB219_188:
	s_mov_b32 s28, exec_lo
	v_cmpx_o_f16_e32 v11, v11
	s_cbranch_execz .LBB219_192
; %bb.189:
	s_mov_b32 s29, exec_lo
	s_waitcnt vmcnt(0)
	v_cmpx_o_f16_e32 v18, v18
; %bb.190:
	v_cmp_gt_f16_e64 s13, v18, v11
	s_delay_alu instid0(VALU_DEP_1)
	v_cndmask_b32_e64 v18, v11, v18, s13
; %bb.191:
	s_or_b32 exec_lo, exec_lo, s29
	s_delay_alu instid0(VALU_DEP_1)
	v_mov_b32_e32 v11, v18
.LBB219_192:
	s_or_b32 exec_lo, exec_lo, s28
	s_delay_alu instid0(SALU_CYCLE_1)
	s_or_b32 exec_lo, exec_lo, s14
	s_and_saveexec_b32 s13, s12
	s_cbranch_execz .LBB219_169
.LBB219_193:
	s_mov_b32 s14, exec_lo
	v_cmpx_o_f16_e32 v11, v11
	s_cbranch_execz .LBB219_197
; %bb.194:
	s_mov_b32 s28, exec_lo
	s_waitcnt vmcnt(0)
	v_cmpx_o_f16_e32 v17, v17
; %bb.195:
	v_cmp_gt_f16_e64 s12, v17, v11
	s_delay_alu instid0(VALU_DEP_1)
	v_cndmask_b32_e64 v17, v11, v17, s12
; %bb.196:
	s_or_b32 exec_lo, exec_lo, s28
	s_delay_alu instid0(VALU_DEP_1)
	v_mov_b32_e32 v11, v17
.LBB219_197:
	s_or_b32 exec_lo, exec_lo, s14
	s_delay_alu instid0(SALU_CYCLE_1)
	s_or_b32 exec_lo, exec_lo, s13
	s_and_saveexec_b32 s12, s11
	s_cbranch_execz .LBB219_170
.LBB219_198:
	s_mov_b32 s13, exec_lo
	v_cmpx_o_f16_e32 v11, v11
	s_cbranch_execz .LBB219_202
; %bb.199:
	s_mov_b32 s14, exec_lo
	s_waitcnt vmcnt(0)
	v_cmpx_o_f16_e32 v16, v16
; %bb.200:
	v_cmp_gt_f16_e64 s11, v16, v11
	s_delay_alu instid0(VALU_DEP_1)
	v_cndmask_b32_e64 v16, v11, v16, s11
; %bb.201:
	s_or_b32 exec_lo, exec_lo, s14
	s_delay_alu instid0(VALU_DEP_1)
	v_mov_b32_e32 v11, v16
.LBB219_202:
	s_or_b32 exec_lo, exec_lo, s13
	s_delay_alu instid0(SALU_CYCLE_1)
	s_or_b32 exec_lo, exec_lo, s12
	s_and_saveexec_b32 s11, s10
	s_cbranch_execz .LBB219_171
.LBB219_203:
	s_mov_b32 s12, exec_lo
	v_cmpx_o_f16_e32 v11, v11
	s_cbranch_execz .LBB219_207
; %bb.204:
	s_mov_b32 s13, exec_lo
	s_waitcnt vmcnt(0)
	v_cmpx_o_f16_e32 v15, v15
; %bb.205:
	v_cmp_gt_f16_e64 s10, v15, v11
	s_delay_alu instid0(VALU_DEP_1)
	v_cndmask_b32_e64 v15, v11, v15, s10
; %bb.206:
	s_or_b32 exec_lo, exec_lo, s13
	s_delay_alu instid0(VALU_DEP_1)
	v_mov_b32_e32 v11, v15
.LBB219_207:
	s_or_b32 exec_lo, exec_lo, s12
	s_delay_alu instid0(SALU_CYCLE_1)
	s_or_b32 exec_lo, exec_lo, s11
	s_and_saveexec_b32 s10, s9
	s_cbranch_execz .LBB219_172
.LBB219_208:
	s_mov_b32 s11, exec_lo
	v_cmpx_o_f16_e32 v11, v11
	s_cbranch_execz .LBB219_212
; %bb.209:
	s_mov_b32 s12, exec_lo
	s_waitcnt vmcnt(0)
	v_cmpx_o_f16_e32 v14, v14
; %bb.210:
	v_cmp_gt_f16_e64 s9, v14, v11
	s_delay_alu instid0(VALU_DEP_1)
	v_cndmask_b32_e64 v14, v11, v14, s9
; %bb.211:
	s_or_b32 exec_lo, exec_lo, s12
	s_delay_alu instid0(VALU_DEP_1)
	v_mov_b32_e32 v11, v14
.LBB219_212:
	s_or_b32 exec_lo, exec_lo, s11
	s_delay_alu instid0(SALU_CYCLE_1)
	s_or_b32 exec_lo, exec_lo, s10
	s_and_saveexec_b32 s9, s8
	s_cbranch_execz .LBB219_173
.LBB219_213:
	s_mov_b32 s10, exec_lo
	v_cmpx_o_f16_e32 v11, v11
	s_cbranch_execz .LBB219_217
; %bb.214:
	s_mov_b32 s11, exec_lo
	s_waitcnt vmcnt(0)
	v_cmpx_o_f16_e32 v13, v13
; %bb.215:
	v_cmp_gt_f16_e64 s8, v13, v11
	s_delay_alu instid0(VALU_DEP_1)
	v_cndmask_b32_e64 v13, v11, v13, s8
; %bb.216:
	s_or_b32 exec_lo, exec_lo, s11
	s_delay_alu instid0(VALU_DEP_1)
	v_mov_b32_e32 v11, v13
.LBB219_217:
	s_or_b32 exec_lo, exec_lo, s10
	s_delay_alu instid0(SALU_CYCLE_1)
	s_or_b32 exec_lo, exec_lo, s9
	s_and_saveexec_b32 s8, s7
	s_cbranch_execz .LBB219_174
.LBB219_218:
	s_mov_b32 s9, exec_lo
	v_cmpx_o_f16_e32 v11, v11
	s_cbranch_execz .LBB219_222
; %bb.219:
	s_mov_b32 s10, exec_lo
	s_waitcnt vmcnt(0)
	v_cmpx_o_f16_e32 v12, v12
; %bb.220:
	v_cmp_gt_f16_e64 s7, v12, v11
	s_delay_alu instid0(VALU_DEP_1)
	v_cndmask_b32_e64 v12, v11, v12, s7
; %bb.221:
	s_or_b32 exec_lo, exec_lo, s10
	s_delay_alu instid0(VALU_DEP_1)
	v_mov_b32_e32 v11, v12
.LBB219_222:
	s_or_b32 exec_lo, exec_lo, s9
	s_delay_alu instid0(SALU_CYCLE_1)
	s_or_b32 exec_lo, exec_lo, s8
	s_and_saveexec_b32 s7, s6
	s_cbranch_execz .LBB219_175
.LBB219_223:
	s_mov_b32 s8, exec_lo
	v_cmpx_o_f16_e32 v11, v11
	s_cbranch_execz .LBB219_227
; %bb.224:
	s_mov_b32 s9, exec_lo
	s_waitcnt vmcnt(0)
	v_cmpx_o_f16_e32 v10, v10
; %bb.225:
	v_cmp_gt_f16_e64 s6, v10, v11
	s_delay_alu instid0(VALU_DEP_1)
	v_cndmask_b32_e64 v10, v11, v10, s6
; %bb.226:
	s_or_b32 exec_lo, exec_lo, s9
	s_delay_alu instid0(VALU_DEP_1)
	v_mov_b32_e32 v11, v10
.LBB219_227:
	s_or_b32 exec_lo, exec_lo, s8
	s_delay_alu instid0(SALU_CYCLE_1)
	s_or_b32 exec_lo, exec_lo, s7
	s_and_saveexec_b32 s6, s5
	s_cbranch_execz .LBB219_176
.LBB219_228:
	s_mov_b32 s7, exec_lo
	v_cmpx_o_f16_e32 v11, v11
	s_cbranch_execz .LBB219_232
; %bb.229:
	s_mov_b32 s8, exec_lo
	s_waitcnt vmcnt(0)
	v_cmpx_o_f16_e32 v9, v9
; %bb.230:
	v_cmp_gt_f16_e64 s5, v9, v11
	s_delay_alu instid0(VALU_DEP_1)
	v_cndmask_b32_e64 v9, v11, v9, s5
; %bb.231:
	s_or_b32 exec_lo, exec_lo, s8
	s_delay_alu instid0(VALU_DEP_1)
	v_mov_b32_e32 v11, v9
.LBB219_232:
	s_or_b32 exec_lo, exec_lo, s7
	s_delay_alu instid0(SALU_CYCLE_1)
	s_or_b32 exec_lo, exec_lo, s6
	s_and_saveexec_b32 s5, s4
	s_cbranch_execz .LBB219_177
.LBB219_233:
	s_mov_b32 s6, exec_lo
	v_cmpx_o_f16_e32 v11, v11
	s_cbranch_execz .LBB219_237
; %bb.234:
	s_mov_b32 s7, exec_lo
	s_waitcnt vmcnt(0)
	v_cmpx_o_f16_e32 v8, v8
; %bb.235:
	v_cmp_gt_f16_e64 s4, v8, v11
	s_delay_alu instid0(VALU_DEP_1)
	v_cndmask_b32_e64 v8, v11, v8, s4
; %bb.236:
	s_or_b32 exec_lo, exec_lo, s7
	s_delay_alu instid0(VALU_DEP_1)
	v_mov_b32_e32 v11, v8
.LBB219_237:
	s_or_b32 exec_lo, exec_lo, s6
	s_delay_alu instid0(SALU_CYCLE_1)
	s_or_b32 exec_lo, exec_lo, s5
	s_and_saveexec_b32 s4, s3
	s_cbranch_execz .LBB219_178
.LBB219_238:
	s_mov_b32 s5, exec_lo
	v_cmpx_o_f16_e32 v11, v11
	s_cbranch_execz .LBB219_242
; %bb.239:
	s_mov_b32 s6, exec_lo
	s_waitcnt vmcnt(0)
	v_cmpx_o_f16_e32 v7, v7
; %bb.240:
	v_cmp_gt_f16_e64 s3, v7, v11
	s_delay_alu instid0(VALU_DEP_1)
	v_cndmask_b32_e64 v7, v11, v7, s3
; %bb.241:
	s_or_b32 exec_lo, exec_lo, s6
	s_delay_alu instid0(VALU_DEP_1)
	v_mov_b32_e32 v11, v7
.LBB219_242:
	s_or_b32 exec_lo, exec_lo, s5
	s_delay_alu instid0(SALU_CYCLE_1)
	s_or_b32 exec_lo, exec_lo, s4
	s_and_saveexec_b32 s3, s2
	s_cbranch_execz .LBB219_179
.LBB219_243:
	s_mov_b32 s4, exec_lo
	v_cmpx_o_f16_e32 v11, v11
	s_cbranch_execz .LBB219_247
; %bb.244:
	s_mov_b32 s5, exec_lo
	s_waitcnt vmcnt(0)
	v_cmpx_o_f16_e32 v6, v6
; %bb.245:
	v_cmp_gt_f16_e64 s2, v6, v11
	s_delay_alu instid0(VALU_DEP_1)
	v_cndmask_b32_e64 v6, v11, v6, s2
; %bb.246:
	s_or_b32 exec_lo, exec_lo, s5
	s_delay_alu instid0(VALU_DEP_1)
	v_mov_b32_e32 v11, v6
.LBB219_247:
	s_or_b32 exec_lo, exec_lo, s4
	s_delay_alu instid0(SALU_CYCLE_1)
	s_or_b32 exec_lo, exec_lo, s3
	s_and_saveexec_b32 s2, s1
	s_cbranch_execz .LBB219_180
.LBB219_248:
	s_mov_b32 s3, exec_lo
	v_cmpx_o_f16_e32 v11, v11
	s_cbranch_execz .LBB219_252
; %bb.249:
	s_mov_b32 s4, exec_lo
	s_waitcnt vmcnt(0)
	v_cmpx_o_f16_e32 v5, v5
; %bb.250:
	v_cmp_gt_f16_e64 s1, v5, v11
	s_delay_alu instid0(VALU_DEP_1)
	v_cndmask_b32_e64 v5, v11, v5, s1
; %bb.251:
	s_or_b32 exec_lo, exec_lo, s4
	s_delay_alu instid0(VALU_DEP_1)
	v_mov_b32_e32 v11, v5
.LBB219_252:
	s_or_b32 exec_lo, exec_lo, s3
	s_delay_alu instid0(SALU_CYCLE_1)
	s_or_b32 exec_lo, exec_lo, s2
	s_and_saveexec_b32 s1, s0
	s_cbranch_execz .LBB219_181
.LBB219_253:
	s_mov_b32 s2, exec_lo
	v_cmpx_o_f16_e32 v11, v11
	s_cbranch_execz .LBB219_257
; %bb.254:
	s_mov_b32 s3, exec_lo
	s_waitcnt vmcnt(0)
	v_cmpx_o_f16_e32 v4, v4
; %bb.255:
	v_cmp_gt_f16_e64 s0, v4, v11
	s_delay_alu instid0(VALU_DEP_1)
	v_cndmask_b32_e64 v4, v11, v4, s0
; %bb.256:
	s_or_b32 exec_lo, exec_lo, s3
	s_delay_alu instid0(VALU_DEP_1)
	v_mov_b32_e32 v11, v4
.LBB219_257:
	s_or_b32 exec_lo, exec_lo, s2
	s_delay_alu instid0(SALU_CYCLE_1)
	s_or_b32 exec_lo, exec_lo, s1
	s_and_saveexec_b32 s0, vcc_lo
	s_cbranch_execz .LBB219_263
.LBB219_258:
	s_mov_b32 s1, exec_lo
	v_cmpx_o_f16_e32 v11, v11
	s_cbranch_execz .LBB219_262
; %bb.259:
	s_mov_b32 s2, exec_lo
	s_waitcnt vmcnt(0)
	v_cmpx_o_f16_e32 v3, v3
; %bb.260:
	v_cmp_gt_f16_e32 vcc_lo, v3, v11
	v_cndmask_b32_e32 v3, v11, v3, vcc_lo
; %bb.261:
	s_or_b32 exec_lo, exec_lo, s2
	s_delay_alu instid0(VALU_DEP_1)
	v_mov_b32_e32 v11, v3
.LBB219_262:
	s_or_b32 exec_lo, exec_lo, s1
.LBB219_263:
	s_delay_alu instid0(SALU_CYCLE_1) | instskip(NEXT) | instid1(VALU_DEP_1)
	s_or_b32 exec_lo, exec_lo, s0
	v_and_b32_e32 v1, 0xffff, v11
	s_mov_b32 s0, exec_lo
	s_delay_alu instid0(VALU_DEP_1) | instskip(NEXT) | instid1(VALU_DEP_1)
	v_mov_b32_dpp v1, v1 quad_perm:[1,0,3,2] row_mask:0xf bank_mask:0xf
	v_cmpx_o_f16_e32 v1, v1
	s_xor_b32 s0, exec_lo, s0
	s_cbranch_execz .LBB219_267
; %bb.264:
	s_mov_b32 s1, exec_lo
	v_cmpx_o_f16_e32 v11, v11
; %bb.265:
	v_cmp_gt_f16_e32 vcc_lo, v11, v1
	v_cndmask_b32_e32 v11, v1, v11, vcc_lo
; %bb.266:
	s_or_b32 exec_lo, exec_lo, s1
	s_delay_alu instid0(VALU_DEP_1)
	v_mov_b32_e32 v1, v11
.LBB219_267:
	s_or_b32 exec_lo, exec_lo, s0
	s_delay_alu instid0(VALU_DEP_1) | instskip(SKIP_1) | instid1(VALU_DEP_1)
	v_and_b32_e32 v2, 0xffff, v1
	s_mov_b32 s0, exec_lo
	v_mov_b32_dpp v2, v2 quad_perm:[2,3,0,1] row_mask:0xf bank_mask:0xf
	s_delay_alu instid0(VALU_DEP_1)
	v_cmpx_o_f16_e32 v2, v2
	s_cbranch_execz .LBB219_271
; %bb.268:
	s_mov_b32 s1, exec_lo
	v_cmpx_o_f16_e32 v1, v1
; %bb.269:
	v_cmp_gt_f16_e32 vcc_lo, v1, v2
	v_cndmask_b32_e32 v1, v2, v1, vcc_lo
; %bb.270:
	s_or_b32 exec_lo, exec_lo, s1
	s_delay_alu instid0(VALU_DEP_1)
	v_mov_b32_e32 v2, v1
.LBB219_271:
	s_or_b32 exec_lo, exec_lo, s0
	s_delay_alu instid0(VALU_DEP_1) | instskip(SKIP_1) | instid1(VALU_DEP_1)
	v_and_b32_e32 v1, 0xffff, v2
	s_mov_b32 s0, exec_lo
	v_mov_b32_dpp v1, v1 row_ror:4 row_mask:0xf bank_mask:0xf
	s_delay_alu instid0(VALU_DEP_1)
	v_cmpx_o_f16_e32 v1, v1
	s_cbranch_execz .LBB219_275
; %bb.272:
	s_mov_b32 s1, exec_lo
	v_cmpx_o_f16_e32 v2, v2
; %bb.273:
	v_cmp_gt_f16_e32 vcc_lo, v2, v1
	v_cndmask_b32_e32 v2, v1, v2, vcc_lo
; %bb.274:
	s_or_b32 exec_lo, exec_lo, s1
	s_delay_alu instid0(VALU_DEP_1)
	v_mov_b32_e32 v1, v2
.LBB219_275:
	s_or_b32 exec_lo, exec_lo, s0
	s_delay_alu instid0(VALU_DEP_1) | instskip(SKIP_1) | instid1(VALU_DEP_1)
	v_and_b32_e32 v2, 0xffff, v1
	s_mov_b32 s0, exec_lo
	v_mov_b32_dpp v2, v2 row_ror:8 row_mask:0xf bank_mask:0xf
	s_delay_alu instid0(VALU_DEP_1)
	v_cmpx_o_f16_e32 v2, v2
	s_cbranch_execz .LBB219_279
; %bb.276:
	s_mov_b32 s1, exec_lo
	v_cmpx_o_f16_e32 v1, v1
; %bb.277:
	v_cmp_gt_f16_e32 vcc_lo, v1, v2
	v_cndmask_b32_e32 v1, v2, v1, vcc_lo
; %bb.278:
	s_or_b32 exec_lo, exec_lo, s1
	s_delay_alu instid0(VALU_DEP_1)
	v_mov_b32_e32 v2, v1
.LBB219_279:
	s_or_b32 exec_lo, exec_lo, s0
	s_delay_alu instid0(VALU_DEP_1)
	v_and_b32_e32 v1, 0xffff, v2
	s_mov_b32 s0, exec_lo
	ds_swizzle_b32 v1, v1 offset:swizzle(BROADCAST,32,15)
	s_waitcnt lgkmcnt(0)
	v_cmpx_o_f16_e32 v1, v1
	s_cbranch_execz .LBB219_283
; %bb.280:
	s_mov_b32 s1, exec_lo
	v_cmpx_o_f16_e32 v2, v2
; %bb.281:
	v_cmp_gt_f16_e32 vcc_lo, v2, v1
	v_cndmask_b32_e32 v2, v1, v2, vcc_lo
; %bb.282:
	s_or_b32 exec_lo, exec_lo, s1
	s_delay_alu instid0(VALU_DEP_1)
	v_mov_b32_e32 v1, v2
.LBB219_283:
	s_or_b32 exec_lo, exec_lo, s0
	s_delay_alu instid0(VALU_DEP_1) | instskip(SKIP_3) | instid1(VALU_DEP_1)
	v_dual_mov_b32 v2, 0 :: v_dual_and_b32 v1, 0xffff, v1
	s_mov_b32 s0, exec_lo
	ds_bpermute_b32 v2, v2, v1 offset:124
	v_mbcnt_lo_u32_b32 v1, -1, 0
	v_cmpx_eq_u32_e32 0, v1
	s_cbranch_execz .LBB219_285
; %bb.284:
	s_waitcnt vmcnt(0)
	v_lshrrev_b32_e32 v3, 4, v0
	s_delay_alu instid0(VALU_DEP_1)
	v_and_b32_e32 v3, 14, v3
	s_waitcnt lgkmcnt(0)
	ds_store_b16 v3, v2
.LBB219_285:
	s_or_b32 exec_lo, exec_lo, s0
	s_delay_alu instid0(SALU_CYCLE_1)
	s_mov_b32 s0, exec_lo
	s_waitcnt vmcnt(0) lgkmcnt(0)
	s_barrier
	buffer_gl0_inv
	v_cmpx_gt_u32_e32 32, v0
	s_cbranch_execz .LBB219_299
; %bb.286:
	v_and_b32_e32 v3, 7, v1
	s_mov_b32 s1, exec_lo
	s_delay_alu instid0(VALU_DEP_1) | instskip(SKIP_3) | instid1(VALU_DEP_1)
	v_lshlrev_b32_e32 v2, 1, v3
	v_cmp_ne_u32_e32 vcc_lo, 7, v3
	ds_load_u16 v2, v2
	v_add_co_ci_u32_e32 v4, vcc_lo, 0, v1, vcc_lo
	v_lshlrev_b32_e32 v4, 2, v4
	s_waitcnt lgkmcnt(0)
	v_and_b32_e32 v5, 0xffff, v2
	ds_bpermute_b32 v4, v4, v5
	v_cmpx_o_f16_e32 v2, v2
	s_cbranch_execz .LBB219_290
; %bb.287:
	s_mov_b32 s2, exec_lo
	s_waitcnt lgkmcnt(0)
	v_cmpx_o_f16_e32 v4, v4
; %bb.288:
	v_cmp_lt_f16_e32 vcc_lo, v2, v4
	v_cndmask_b32_e32 v4, v2, v4, vcc_lo
; %bb.289:
	s_or_b32 exec_lo, exec_lo, s2
	s_delay_alu instid0(VALU_DEP_1)
	v_mov_b32_e32 v2, v4
.LBB219_290:
	s_or_b32 exec_lo, exec_lo, s1
	v_cmp_gt_u32_e32 vcc_lo, 6, v3
	s_delay_alu instid0(VALU_DEP_2) | instskip(SKIP_3) | instid1(VALU_DEP_1)
	v_and_b32_e32 v5, 0xffff, v2
	s_mov_b32 s1, exec_lo
	s_waitcnt lgkmcnt(0)
	v_cndmask_b32_e64 v4, 0, 1, vcc_lo
	v_lshlrev_b32_e32 v4, 1, v4
	s_delay_alu instid0(VALU_DEP_1)
	v_add_lshl_u32 v4, v4, v1, 2
	ds_bpermute_b32 v4, v4, v5
	v_cmpx_o_f16_e32 v2, v2
	s_cbranch_execz .LBB219_294
; %bb.291:
	s_mov_b32 s2, exec_lo
	s_waitcnt lgkmcnt(0)
	v_cmpx_o_f16_e32 v4, v4
; %bb.292:
	v_cmp_lt_f16_e32 vcc_lo, v2, v4
	v_cndmask_b32_e32 v4, v2, v4, vcc_lo
; %bb.293:
	s_or_b32 exec_lo, exec_lo, s2
	s_delay_alu instid0(VALU_DEP_1)
	v_mov_b32_e32 v2, v4
.LBB219_294:
	s_or_b32 exec_lo, exec_lo, s1
	v_cmp_gt_u32_e32 vcc_lo, 4, v3
	s_waitcnt lgkmcnt(0)
	s_delay_alu instid0(VALU_DEP_2) | instskip(SKIP_2) | instid1(VALU_DEP_1)
	v_and_b32_e32 v4, 0xffff, v2
	s_mov_b32 s1, exec_lo
	v_cndmask_b32_e64 v3, 0, 1, vcc_lo
	v_lshlrev_b32_e32 v3, 2, v3
	s_delay_alu instid0(VALU_DEP_1)
	v_add_lshl_u32 v1, v3, v1, 2
	ds_bpermute_b32 v1, v1, v4
	v_cmpx_o_f16_e32 v2, v2
	s_cbranch_execz .LBB219_298
; %bb.295:
	s_mov_b32 s2, exec_lo
	s_waitcnt lgkmcnt(0)
	v_cmpx_o_f16_e32 v1, v1
; %bb.296:
	v_cmp_lt_f16_e32 vcc_lo, v2, v1
	v_cndmask_b32_e32 v1, v2, v1, vcc_lo
; %bb.297:
	s_or_b32 exec_lo, exec_lo, s2
	s_delay_alu instid0(VALU_DEP_1)
	v_mov_b32_e32 v2, v1
.LBB219_298:
	s_or_b32 exec_lo, exec_lo, s1
.LBB219_299:
	s_delay_alu instid0(SALU_CYCLE_1)
	s_or_b32 exec_lo, exec_lo, s0
	s_branch .LBB219_402
.LBB219_300:
	s_sub_i32 s1, s22, s26
	s_mov_b32 s2, exec_lo
                                        ; implicit-def: $vgpr5
	v_cmpx_gt_u32_e64 s1, v0
	s_cbranch_execz .LBB219_310
; %bb.301:
	s_waitcnt lgkmcnt(0)
	v_add_co_u32 v1, s0, s26, v0
	s_delay_alu instid0(VALU_DEP_1) | instskip(SKIP_1) | instid1(VALU_DEP_1)
	v_add_co_ci_u32_e64 v2, null, s27, 0, s0
	s_mov_b32 s3, exec_lo
	v_lshlrev_b64 v[3:4], 1, v[1:2]
	s_delay_alu instid0(VALU_DEP_1) | instskip(NEXT) | instid1(VALU_DEP_2)
	v_add_co_u32 v3, vcc_lo, s16, v3
	v_add_co_ci_u32_e32 v4, vcc_lo, s17, v4, vcc_lo
	v_add_co_u32 v1, vcc_lo, 0x100, v1
	v_add_co_ci_u32_e32 v2, vcc_lo, 0, v2, vcc_lo
	global_load_u16 v5, v[3:4], off
	v_cmpx_gt_i64_e64 s[22:23], v[1:2]
	s_cbranch_execz .LBB219_309
; %bb.302:
	v_add_co_u32 v3, vcc_lo, 0x200, v3
	v_add_co_ci_u32_e32 v4, vcc_lo, 0, v4, vcc_lo
	s_mov_b32 s4, 0
	s_set_inst_prefetch_distance 0x1
	s_branch .LBB219_305
	.p2align	6
.LBB219_303:                            ;   in Loop: Header=BB219_305 Depth=1
	s_or_b32 exec_lo, exec_lo, s5
	s_delay_alu instid0(VALU_DEP_1)
	v_mov_b32_e32 v5, v6
.LBB219_304:                            ;   in Loop: Header=BB219_305 Depth=1
	s_or_b32 exec_lo, exec_lo, s0
	v_add_co_u32 v1, vcc_lo, 0x100, v1
	v_add_co_ci_u32_e32 v2, vcc_lo, 0, v2, vcc_lo
	v_add_co_u32 v3, s0, 0x200, v3
	s_delay_alu instid0(VALU_DEP_1) | instskip(NEXT) | instid1(VALU_DEP_3)
	v_add_co_ci_u32_e64 v4, s0, 0, v4, s0
	v_cmp_le_i64_e32 vcc_lo, s[22:23], v[1:2]
	s_or_b32 s4, vcc_lo, s4
	s_delay_alu instid0(SALU_CYCLE_1)
	s_and_not1_b32 exec_lo, exec_lo, s4
	s_cbranch_execz .LBB219_308
.LBB219_305:                            ; =>This Inner Loop Header: Depth=1
	s_mov_b32 s0, exec_lo
	s_waitcnt vmcnt(0)
	v_cmpx_o_f16_e32 v5, v5
	s_cbranch_execz .LBB219_304
; %bb.306:                              ;   in Loop: Header=BB219_305 Depth=1
	global_load_u16 v6, v[3:4], off
	s_mov_b32 s5, exec_lo
	s_waitcnt vmcnt(0)
	v_cmpx_o_f16_e32 v6, v6
	s_cbranch_execz .LBB219_303
; %bb.307:                              ;   in Loop: Header=BB219_305 Depth=1
	v_cmp_lt_f16_e32 vcc_lo, v5, v6
	v_cndmask_b32_e32 v6, v5, v6, vcc_lo
	s_branch .LBB219_303
.LBB219_308:
	s_set_inst_prefetch_distance 0x2
	s_or_b32 exec_lo, exec_lo, s4
.LBB219_309:
	s_delay_alu instid0(SALU_CYCLE_1)
	s_or_b32 exec_lo, exec_lo, s3
.LBB219_310:
	s_delay_alu instid0(SALU_CYCLE_1)
	s_or_b32 exec_lo, exec_lo, s2
	v_lshrrev_b32_e32 v3, 5, v0
	s_waitcnt lgkmcnt(0)
	v_mbcnt_lo_u32_b32 v1, -1, 0
	s_waitcnt vmcnt(0)
	v_and_b32_e32 v4, 0xffff, v5
	s_cmpk_lt_u32 s1, 0x100
	s_mov_b32 s0, -1
	s_cbranch_scc0 .LBB219_364
; %bb.311:
	v_cmp_ne_u32_e32 vcc_lo, 31, v1
	v_mov_b32_e32 v7, v4
	v_add_co_ci_u32_e32 v2, vcc_lo, 0, v1, vcc_lo
	s_delay_alu instid0(VALU_DEP_1) | instskip(SKIP_2) | instid1(VALU_DEP_1)
	v_lshlrev_b32_e32 v2, 2, v2
	ds_bpermute_b32 v8, v2, v4
	v_and_b32_e32 v2, 0xe0, v0
	v_sub_nc_u32_e64 v6, s1, v2 clamp
	v_add_nc_u32_e32 v2, 1, v1
	s_delay_alu instid0(VALU_DEP_1)
	v_cmp_lt_u32_e32 vcc_lo, v2, v6
	v_mov_b32_e32 v2, v5
	s_and_saveexec_b32 s0, vcc_lo
	s_cbranch_execz .LBB219_317
; %bb.312:
	v_mov_b32_e32 v2, v5
	s_mov_b32 s2, exec_lo
	v_cmpx_o_f16_e32 v5, v5
	s_cbranch_execz .LBB219_316
; %bb.313:
	s_mov_b32 s3, exec_lo
	s_waitcnt lgkmcnt(0)
	v_cmpx_o_f16_e32 v8, v8
; %bb.314:
	v_cmp_lt_f16_e32 vcc_lo, v5, v8
	v_cndmask_b32_e32 v8, v5, v8, vcc_lo
; %bb.315:
	s_or_b32 exec_lo, exec_lo, s3
	s_delay_alu instid0(VALU_DEP_1)
	v_mov_b32_e32 v2, v8
.LBB219_316:
	s_or_b32 exec_lo, exec_lo, s2
	s_delay_alu instid0(VALU_DEP_1)
	v_and_b32_e32 v7, 0xffff, v2
.LBB219_317:
	s_or_b32 exec_lo, exec_lo, s0
	v_cmp_gt_u32_e32 vcc_lo, 30, v1
	v_add_nc_u32_e32 v9, 2, v1
	s_mov_b32 s0, exec_lo
	s_waitcnt lgkmcnt(0)
	v_cndmask_b32_e64 v8, 0, 1, vcc_lo
	s_delay_alu instid0(VALU_DEP_1) | instskip(NEXT) | instid1(VALU_DEP_1)
	v_lshlrev_b32_e32 v8, 1, v8
	v_add_lshl_u32 v8, v8, v1, 2
	ds_bpermute_b32 v8, v8, v7
	v_cmpx_lt_u32_e64 v9, v6
	s_cbranch_execz .LBB219_323
; %bb.318:
	s_mov_b32 s2, exec_lo
	v_cmpx_o_f16_e32 v2, v2
	s_cbranch_execz .LBB219_322
; %bb.319:
	s_mov_b32 s3, exec_lo
	s_waitcnt lgkmcnt(0)
	v_cmpx_o_f16_e32 v8, v8
; %bb.320:
	v_cmp_lt_f16_e32 vcc_lo, v2, v8
	v_cndmask_b32_e32 v8, v2, v8, vcc_lo
; %bb.321:
	s_or_b32 exec_lo, exec_lo, s3
	s_delay_alu instid0(VALU_DEP_1)
	v_mov_b32_e32 v2, v8
.LBB219_322:
	s_or_b32 exec_lo, exec_lo, s2
	s_delay_alu instid0(VALU_DEP_1)
	v_and_b32_e32 v7, 0xffff, v2
.LBB219_323:
	s_or_b32 exec_lo, exec_lo, s0
	v_cmp_gt_u32_e32 vcc_lo, 28, v1
	v_add_nc_u32_e32 v9, 4, v1
	s_mov_b32 s0, exec_lo
	s_waitcnt lgkmcnt(0)
	v_cndmask_b32_e64 v8, 0, 1, vcc_lo
	s_delay_alu instid0(VALU_DEP_1) | instskip(NEXT) | instid1(VALU_DEP_1)
	v_lshlrev_b32_e32 v8, 2, v8
	v_add_lshl_u32 v8, v8, v1, 2
	ds_bpermute_b32 v8, v8, v7
	v_cmpx_lt_u32_e64 v9, v6
	s_cbranch_execz .LBB219_329
; %bb.324:
	s_mov_b32 s2, exec_lo
	v_cmpx_o_f16_e32 v2, v2
	s_cbranch_execz .LBB219_328
; %bb.325:
	s_mov_b32 s3, exec_lo
	s_waitcnt lgkmcnt(0)
	v_cmpx_o_f16_e32 v8, v8
; %bb.326:
	v_cmp_lt_f16_e32 vcc_lo, v2, v8
	v_cndmask_b32_e32 v8, v2, v8, vcc_lo
; %bb.327:
	s_or_b32 exec_lo, exec_lo, s3
	s_delay_alu instid0(VALU_DEP_1)
	v_mov_b32_e32 v2, v8
.LBB219_328:
	s_or_b32 exec_lo, exec_lo, s2
	s_delay_alu instid0(VALU_DEP_1)
	v_and_b32_e32 v7, 0xffff, v2
.LBB219_329:
	;; [unrolled: 32-line block ×3, first 2 shown]
	s_or_b32 exec_lo, exec_lo, s0
	v_cmp_gt_u32_e32 vcc_lo, 16, v1
	s_mov_b32 s0, exec_lo
	s_waitcnt lgkmcnt(0)
	v_cndmask_b32_e64 v8, 0, 1, vcc_lo
	s_delay_alu instid0(VALU_DEP_1) | instskip(NEXT) | instid1(VALU_DEP_1)
	v_lshlrev_b32_e32 v8, 4, v8
	v_add_lshl_u32 v8, v8, v1, 2
	ds_bpermute_b32 v7, v8, v7
	v_add_nc_u32_e32 v8, 16, v1
	s_delay_alu instid0(VALU_DEP_1)
	v_cmpx_lt_u32_e64 v8, v6
	s_cbranch_execz .LBB219_341
; %bb.336:
	s_mov_b32 s2, exec_lo
	v_cmpx_o_f16_e32 v2, v2
	s_cbranch_execz .LBB219_340
; %bb.337:
	s_mov_b32 s3, exec_lo
	s_waitcnt lgkmcnt(0)
	v_cmpx_o_f16_e32 v7, v7
; %bb.338:
	v_cmp_lt_f16_e32 vcc_lo, v2, v7
	v_cndmask_b32_e32 v7, v2, v7, vcc_lo
; %bb.339:
	s_or_b32 exec_lo, exec_lo, s3
	s_delay_alu instid0(VALU_DEP_1)
	v_mov_b32_e32 v2, v7
.LBB219_340:
	s_or_b32 exec_lo, exec_lo, s2
.LBB219_341:
	s_delay_alu instid0(SALU_CYCLE_1) | instskip(NEXT) | instid1(SALU_CYCLE_1)
	s_or_b32 exec_lo, exec_lo, s0
	s_mov_b32 s0, exec_lo
	v_cmpx_eq_u32_e32 0, v1
	s_cbranch_execz .LBB219_343
; %bb.342:
	v_lshlrev_b32_e32 v6, 1, v3
	ds_store_b16 v6, v2
.LBB219_343:
	s_or_b32 exec_lo, exec_lo, s0
	s_delay_alu instid0(SALU_CYCLE_1)
	s_mov_b32 s0, exec_lo
	s_waitcnt lgkmcnt(0)
	s_barrier
	buffer_gl0_inv
	v_cmpx_gt_u32_e32 8, v0
	s_cbranch_execz .LBB219_363
; %bb.344:
	v_lshlrev_b32_e32 v2, 1, v1
	v_and_b32_e32 v6, 7, v1
	s_add_i32 s1, s1, 31
	s_mov_b32 s2, exec_lo
	s_lshr_b32 s1, s1, 5
	ds_load_u16 v2, v2
	v_cmp_ne_u32_e32 vcc_lo, 7, v6
	v_add_nc_u32_e32 v9, 1, v6
	v_add_co_ci_u32_e32 v8, vcc_lo, 0, v1, vcc_lo
	s_delay_alu instid0(VALU_DEP_1)
	v_lshlrev_b32_e32 v8, 2, v8
	s_waitcnt lgkmcnt(0)
	v_and_b32_e32 v7, 0xffff, v2
	ds_bpermute_b32 v8, v8, v7
	v_cmpx_gt_u32_e64 s1, v9
	s_cbranch_execz .LBB219_350
; %bb.345:
	s_mov_b32 s3, exec_lo
	v_cmpx_o_f16_e32 v2, v2
	s_cbranch_execz .LBB219_349
; %bb.346:
	s_mov_b32 s4, exec_lo
	s_waitcnt lgkmcnt(0)
	v_cmpx_o_f16_e32 v8, v8
; %bb.347:
	v_cmp_lt_f16_e32 vcc_lo, v2, v8
	v_cndmask_b32_e32 v8, v2, v8, vcc_lo
; %bb.348:
	s_or_b32 exec_lo, exec_lo, s4
	s_delay_alu instid0(VALU_DEP_1)
	v_mov_b32_e32 v2, v8
.LBB219_349:
	s_or_b32 exec_lo, exec_lo, s3
	s_delay_alu instid0(VALU_DEP_1)
	v_and_b32_e32 v7, 0xffff, v2
.LBB219_350:
	s_or_b32 exec_lo, exec_lo, s2
	v_cmp_gt_u32_e32 vcc_lo, 6, v6
	v_add_nc_u32_e32 v9, 2, v6
	s_mov_b32 s2, exec_lo
	s_waitcnt lgkmcnt(0)
	v_cndmask_b32_e64 v8, 0, 1, vcc_lo
	s_delay_alu instid0(VALU_DEP_1) | instskip(NEXT) | instid1(VALU_DEP_1)
	v_lshlrev_b32_e32 v8, 1, v8
	v_add_lshl_u32 v8, v8, v1, 2
	ds_bpermute_b32 v8, v8, v7
	v_cmpx_gt_u32_e64 s1, v9
	s_cbranch_execz .LBB219_356
; %bb.351:
	s_mov_b32 s3, exec_lo
	v_cmpx_o_f16_e32 v2, v2
	s_cbranch_execz .LBB219_355
; %bb.352:
	s_mov_b32 s4, exec_lo
	s_waitcnt lgkmcnt(0)
	v_cmpx_o_f16_e32 v8, v8
; %bb.353:
	v_cmp_lt_f16_e32 vcc_lo, v2, v8
	v_cndmask_b32_e32 v8, v2, v8, vcc_lo
; %bb.354:
	s_or_b32 exec_lo, exec_lo, s4
	s_delay_alu instid0(VALU_DEP_1)
	v_mov_b32_e32 v2, v8
.LBB219_355:
	s_or_b32 exec_lo, exec_lo, s3
	s_delay_alu instid0(VALU_DEP_1)
	v_and_b32_e32 v7, 0xffff, v2
.LBB219_356:
	s_or_b32 exec_lo, exec_lo, s2
	v_cmp_gt_u32_e32 vcc_lo, 4, v6
	v_add_nc_u32_e32 v6, 4, v6
	s_waitcnt lgkmcnt(0)
	v_cndmask_b32_e64 v8, 0, 1, vcc_lo
	s_delay_alu instid0(VALU_DEP_2) | instskip(NEXT) | instid1(VALU_DEP_2)
	v_cmp_gt_u32_e32 vcc_lo, s1, v6
	v_lshlrev_b32_e32 v8, 2, v8
	s_delay_alu instid0(VALU_DEP_1)
	v_add_lshl_u32 v8, v8, v1, 2
	ds_bpermute_b32 v7, v8, v7
	s_and_saveexec_b32 s1, vcc_lo
	s_cbranch_execz .LBB219_362
; %bb.357:
	s_mov_b32 s2, exec_lo
	v_cmpx_o_f16_e32 v2, v2
	s_cbranch_execz .LBB219_361
; %bb.358:
	s_mov_b32 s3, exec_lo
	s_waitcnt lgkmcnt(0)
	v_cmpx_o_f16_e32 v7, v7
; %bb.359:
	v_cmp_lt_f16_e32 vcc_lo, v2, v7
	v_cndmask_b32_e32 v7, v2, v7, vcc_lo
; %bb.360:
	s_or_b32 exec_lo, exec_lo, s3
	s_delay_alu instid0(VALU_DEP_1)
	v_mov_b32_e32 v2, v7
.LBB219_361:
	s_or_b32 exec_lo, exec_lo, s2
.LBB219_362:
	s_delay_alu instid0(SALU_CYCLE_1)
	s_or_b32 exec_lo, exec_lo, s1
.LBB219_363:
	s_delay_alu instid0(SALU_CYCLE_1)
	s_or_b32 exec_lo, exec_lo, s0
	s_branch .LBB219_402
.LBB219_364:
                                        ; implicit-def: $vgpr2
	s_and_b32 vcc_lo, exec_lo, s0
	s_cbranch_vccz .LBB219_402
; %bb.365:
	v_mov_b32_dpp v2, v4 quad_perm:[1,0,3,2] row_mask:0xf bank_mask:0xf
	s_mov_b32 s0, exec_lo
	s_delay_alu instid0(VALU_DEP_1)
	v_cmpx_o_f16_e32 v2, v2
	s_cbranch_execz .LBB219_369
; %bb.366:
	s_mov_b32 s1, exec_lo
	v_cmpx_o_f16_e32 v5, v5
; %bb.367:
	v_cmp_gt_f16_e32 vcc_lo, v5, v2
	v_cndmask_b32_e32 v5, v2, v5, vcc_lo
; %bb.368:
	s_or_b32 exec_lo, exec_lo, s1
	s_delay_alu instid0(VALU_DEP_1)
	v_mov_b32_e32 v2, v5
.LBB219_369:
	s_or_b32 exec_lo, exec_lo, s0
	s_delay_alu instid0(VALU_DEP_1) | instskip(SKIP_1) | instid1(VALU_DEP_1)
	v_and_b32_e32 v4, 0xffff, v2
	s_mov_b32 s0, exec_lo
	v_mov_b32_dpp v4, v4 quad_perm:[2,3,0,1] row_mask:0xf bank_mask:0xf
	s_delay_alu instid0(VALU_DEP_1)
	v_cmpx_o_f16_e32 v4, v4
	s_cbranch_execz .LBB219_373
; %bb.370:
	s_mov_b32 s1, exec_lo
	v_cmpx_o_f16_e32 v2, v2
; %bb.371:
	v_cmp_gt_f16_e32 vcc_lo, v2, v4
	v_cndmask_b32_e32 v2, v4, v2, vcc_lo
; %bb.372:
	s_or_b32 exec_lo, exec_lo, s1
	s_delay_alu instid0(VALU_DEP_1)
	v_mov_b32_e32 v4, v2
.LBB219_373:
	s_or_b32 exec_lo, exec_lo, s0
	s_delay_alu instid0(VALU_DEP_1) | instskip(SKIP_1) | instid1(VALU_DEP_1)
	v_and_b32_e32 v2, 0xffff, v4
	s_mov_b32 s0, exec_lo
	v_mov_b32_dpp v2, v2 row_ror:4 row_mask:0xf bank_mask:0xf
	s_delay_alu instid0(VALU_DEP_1)
	v_cmpx_o_f16_e32 v2, v2
	s_cbranch_execz .LBB219_377
; %bb.374:
	s_mov_b32 s1, exec_lo
	v_cmpx_o_f16_e32 v4, v4
; %bb.375:
	v_cmp_gt_f16_e32 vcc_lo, v4, v2
	v_cndmask_b32_e32 v4, v2, v4, vcc_lo
; %bb.376:
	s_or_b32 exec_lo, exec_lo, s1
	s_delay_alu instid0(VALU_DEP_1)
	v_mov_b32_e32 v2, v4
.LBB219_377:
	s_or_b32 exec_lo, exec_lo, s0
	s_delay_alu instid0(VALU_DEP_1) | instskip(SKIP_1) | instid1(VALU_DEP_1)
	v_and_b32_e32 v4, 0xffff, v2
	s_mov_b32 s0, exec_lo
	v_mov_b32_dpp v4, v4 row_ror:8 row_mask:0xf bank_mask:0xf
	s_delay_alu instid0(VALU_DEP_1)
	v_cmpx_o_f16_e32 v4, v4
	s_cbranch_execz .LBB219_381
; %bb.378:
	s_mov_b32 s1, exec_lo
	v_cmpx_o_f16_e32 v2, v2
; %bb.379:
	v_cmp_gt_f16_e32 vcc_lo, v2, v4
	v_cndmask_b32_e32 v2, v4, v2, vcc_lo
; %bb.380:
	s_or_b32 exec_lo, exec_lo, s1
	s_delay_alu instid0(VALU_DEP_1)
	v_mov_b32_e32 v4, v2
.LBB219_381:
	s_or_b32 exec_lo, exec_lo, s0
	s_delay_alu instid0(VALU_DEP_1)
	v_and_b32_e32 v2, 0xffff, v4
	s_mov_b32 s0, exec_lo
	ds_swizzle_b32 v2, v2 offset:swizzle(BROADCAST,32,15)
	s_waitcnt lgkmcnt(0)
	v_cmpx_o_f16_e32 v2, v2
	s_cbranch_execz .LBB219_385
; %bb.382:
	s_mov_b32 s1, exec_lo
	v_cmpx_o_f16_e32 v4, v4
; %bb.383:
	v_cmp_gt_f16_e32 vcc_lo, v4, v2
	v_cndmask_b32_e32 v4, v2, v4, vcc_lo
; %bb.384:
	s_or_b32 exec_lo, exec_lo, s1
	s_delay_alu instid0(VALU_DEP_1)
	v_mov_b32_e32 v2, v4
.LBB219_385:
	s_or_b32 exec_lo, exec_lo, s0
	s_delay_alu instid0(VALU_DEP_1)
	v_and_b32_e32 v2, 0xffff, v2
	v_mov_b32_e32 v4, 0
	s_mov_b32 s0, exec_lo
	ds_bpermute_b32 v2, v4, v2 offset:124
	v_cmpx_eq_u32_e32 0, v1
	s_cbranch_execz .LBB219_387
; %bb.386:
	v_lshlrev_b32_e32 v3, 1, v3
	s_waitcnt lgkmcnt(0)
	ds_store_b16 v3, v2
.LBB219_387:
	s_or_b32 exec_lo, exec_lo, s0
	s_delay_alu instid0(SALU_CYCLE_1)
	s_mov_b32 s0, exec_lo
	s_waitcnt lgkmcnt(0)
	s_barrier
	buffer_gl0_inv
	v_cmpx_gt_u32_e32 32, v0
	s_cbranch_execz .LBB219_401
; %bb.388:
	v_and_b32_e32 v3, 7, v1
	s_mov_b32 s1, exec_lo
	s_delay_alu instid0(VALU_DEP_1) | instskip(SKIP_3) | instid1(VALU_DEP_1)
	v_lshlrev_b32_e32 v2, 1, v3
	v_cmp_ne_u32_e32 vcc_lo, 7, v3
	ds_load_u16 v2, v2
	v_add_co_ci_u32_e32 v4, vcc_lo, 0, v1, vcc_lo
	v_lshlrev_b32_e32 v4, 2, v4
	s_waitcnt lgkmcnt(0)
	v_and_b32_e32 v5, 0xffff, v2
	ds_bpermute_b32 v4, v4, v5
	v_cmpx_o_f16_e32 v2, v2
	s_cbranch_execz .LBB219_392
; %bb.389:
	s_mov_b32 s2, exec_lo
	s_waitcnt lgkmcnt(0)
	v_cmpx_o_f16_e32 v4, v4
; %bb.390:
	v_cmp_lt_f16_e32 vcc_lo, v2, v4
	v_cndmask_b32_e32 v4, v2, v4, vcc_lo
; %bb.391:
	s_or_b32 exec_lo, exec_lo, s2
	s_delay_alu instid0(VALU_DEP_1)
	v_mov_b32_e32 v2, v4
.LBB219_392:
	s_or_b32 exec_lo, exec_lo, s1
	v_cmp_gt_u32_e32 vcc_lo, 6, v3
	s_delay_alu instid0(VALU_DEP_2) | instskip(SKIP_3) | instid1(VALU_DEP_1)
	v_and_b32_e32 v5, 0xffff, v2
	s_mov_b32 s1, exec_lo
	s_waitcnt lgkmcnt(0)
	v_cndmask_b32_e64 v4, 0, 1, vcc_lo
	v_lshlrev_b32_e32 v4, 1, v4
	s_delay_alu instid0(VALU_DEP_1)
	v_add_lshl_u32 v4, v4, v1, 2
	ds_bpermute_b32 v4, v4, v5
	v_cmpx_o_f16_e32 v2, v2
	s_cbranch_execz .LBB219_396
; %bb.393:
	s_mov_b32 s2, exec_lo
	s_waitcnt lgkmcnt(0)
	v_cmpx_o_f16_e32 v4, v4
; %bb.394:
	v_cmp_lt_f16_e32 vcc_lo, v2, v4
	v_cndmask_b32_e32 v4, v2, v4, vcc_lo
; %bb.395:
	s_or_b32 exec_lo, exec_lo, s2
	s_delay_alu instid0(VALU_DEP_1)
	v_mov_b32_e32 v2, v4
.LBB219_396:
	s_or_b32 exec_lo, exec_lo, s1
	v_cmp_gt_u32_e32 vcc_lo, 4, v3
	s_waitcnt lgkmcnt(0)
	s_delay_alu instid0(VALU_DEP_2) | instskip(SKIP_2) | instid1(VALU_DEP_1)
	v_and_b32_e32 v4, 0xffff, v2
	s_mov_b32 s1, exec_lo
	v_cndmask_b32_e64 v3, 0, 1, vcc_lo
	v_lshlrev_b32_e32 v3, 2, v3
	s_delay_alu instid0(VALU_DEP_1)
	v_add_lshl_u32 v1, v3, v1, 2
	ds_bpermute_b32 v1, v1, v4
	v_cmpx_o_f16_e32 v2, v2
	s_cbranch_execz .LBB219_400
; %bb.397:
	s_mov_b32 s2, exec_lo
	s_waitcnt lgkmcnt(0)
	v_cmpx_o_f16_e32 v1, v1
; %bb.398:
	v_cmp_lt_f16_e32 vcc_lo, v2, v1
	v_cndmask_b32_e32 v1, v2, v1, vcc_lo
; %bb.399:
	s_or_b32 exec_lo, exec_lo, s2
	s_delay_alu instid0(VALU_DEP_1)
	v_mov_b32_e32 v2, v1
.LBB219_400:
	s_or_b32 exec_lo, exec_lo, s1
.LBB219_401:
	s_delay_alu instid0(SALU_CYCLE_1)
	s_or_b32 exec_lo, exec_lo, s0
.LBB219_402:
	s_delay_alu instid0(SALU_CYCLE_1)
	s_mov_b32 s0, exec_lo
                                        ; implicit-def: $vgpr1
	v_cmpx_eq_u32_e32 0, v0
	s_cbranch_execz .LBB219_408
; %bb.403:
	v_cmp_u_f16_e64 s1, s15, s15
	s_waitcnt lgkmcnt(0)
	v_mov_b32_e32 v1, s15
	s_delay_alu instid0(VALU_DEP_2)
	s_and_b32 vcc_lo, exec_lo, s1
	s_cbranch_vccnz .LBB219_407
; %bb.404:
	s_mov_b32 s1, exec_lo
	v_cmpx_o_f16_e32 v2, v2
; %bb.405:
	v_cmp_lt_f16_e32 vcc_lo, s15, v2
	v_cndmask_b32_e32 v2, s15, v2, vcc_lo
; %bb.406:
	s_or_b32 exec_lo, exec_lo, s1
	s_delay_alu instid0(VALU_DEP_1)
	v_mov_b32_e32 v1, v2
.LBB219_407:
	s_or_b32 s30, s30, exec_lo
.LBB219_408:
	s_or_b32 exec_lo, exec_lo, s0
	s_and_saveexec_b32 s0, s30
	s_cbranch_execz .LBB219_410
.LBB219_409:
	s_lshl_b64 s[0:1], s[20:21], 1
	v_mov_b32_e32 v0, 0
	s_add_u32 s2, s18, s0
	s_addc_u32 s3, s19, s1
	s_lshl_b64 s[0:1], s[24:25], 1
	s_delay_alu instid0(SALU_CYCLE_1)
	s_add_u32 s0, s2, s0
	s_addc_u32 s1, s3, s1
	s_waitcnt lgkmcnt(0)
	global_store_b16 v0, v1, s[0:1]
.LBB219_410:
	s_nop 0
	s_sendmsg sendmsg(MSG_DEALLOC_VGPRS)
	s_endpgm
	.section	.rodata,"a",@progbits
	.p2align	6, 0x0
	.amdhsa_kernel _ZN7rocprim17ROCPRIM_400000_NS6detail17trampoline_kernelINS0_14default_configENS1_32segmented_reduce_config_selectorIN3c104HalfEEEZNS1_21segmented_reduce_implIS3_PKS6_PS6_PKlS6_N6hipcub16HIPCUB_304000_NS6detail27convert_result_type_wrapperISA_SB_N2at6native12_GLOBAL__N_19CustomMaxEEEEE10hipError_tPvRmT0_T1_jT2_SS_T4_T3_P12ihipStream_tbEUlT_E_NS1_11comp_targetILNS1_3genE9ELNS1_11target_archE1100ELNS1_3gpuE3ELNS1_3repE0EEENS1_30default_config_static_selectorELNS0_4arch9wavefront6targetE0EEEvSR_
		.amdhsa_group_segment_fixed_size 16
		.amdhsa_private_segment_fixed_size 0
		.amdhsa_kernarg_size 48
		.amdhsa_user_sgpr_count 15
		.amdhsa_user_sgpr_dispatch_ptr 0
		.amdhsa_user_sgpr_queue_ptr 0
		.amdhsa_user_sgpr_kernarg_segment_ptr 1
		.amdhsa_user_sgpr_dispatch_id 0
		.amdhsa_user_sgpr_private_segment_size 0
		.amdhsa_wavefront_size32 1
		.amdhsa_uses_dynamic_stack 0
		.amdhsa_enable_private_segment 0
		.amdhsa_system_sgpr_workgroup_id_x 1
		.amdhsa_system_sgpr_workgroup_id_y 0
		.amdhsa_system_sgpr_workgroup_id_z 0
		.amdhsa_system_sgpr_workgroup_info 0
		.amdhsa_system_vgpr_workitem_id 0
		.amdhsa_next_free_vgpr 23
		.amdhsa_next_free_sgpr 34
		.amdhsa_reserve_vcc 1
		.amdhsa_float_round_mode_32 0
		.amdhsa_float_round_mode_16_64 0
		.amdhsa_float_denorm_mode_32 3
		.amdhsa_float_denorm_mode_16_64 3
		.amdhsa_dx10_clamp 1
		.amdhsa_ieee_mode 1
		.amdhsa_fp16_overflow 0
		.amdhsa_workgroup_processor_mode 1
		.amdhsa_memory_ordered 1
		.amdhsa_forward_progress 0
		.amdhsa_shared_vgpr_count 0
		.amdhsa_exception_fp_ieee_invalid_op 0
		.amdhsa_exception_fp_denorm_src 0
		.amdhsa_exception_fp_ieee_div_zero 0
		.amdhsa_exception_fp_ieee_overflow 0
		.amdhsa_exception_fp_ieee_underflow 0
		.amdhsa_exception_fp_ieee_inexact 0
		.amdhsa_exception_int_div_zero 0
	.end_amdhsa_kernel
	.section	.text._ZN7rocprim17ROCPRIM_400000_NS6detail17trampoline_kernelINS0_14default_configENS1_32segmented_reduce_config_selectorIN3c104HalfEEEZNS1_21segmented_reduce_implIS3_PKS6_PS6_PKlS6_N6hipcub16HIPCUB_304000_NS6detail27convert_result_type_wrapperISA_SB_N2at6native12_GLOBAL__N_19CustomMaxEEEEE10hipError_tPvRmT0_T1_jT2_SS_T4_T3_P12ihipStream_tbEUlT_E_NS1_11comp_targetILNS1_3genE9ELNS1_11target_archE1100ELNS1_3gpuE3ELNS1_3repE0EEENS1_30default_config_static_selectorELNS0_4arch9wavefront6targetE0EEEvSR_,"axG",@progbits,_ZN7rocprim17ROCPRIM_400000_NS6detail17trampoline_kernelINS0_14default_configENS1_32segmented_reduce_config_selectorIN3c104HalfEEEZNS1_21segmented_reduce_implIS3_PKS6_PS6_PKlS6_N6hipcub16HIPCUB_304000_NS6detail27convert_result_type_wrapperISA_SB_N2at6native12_GLOBAL__N_19CustomMaxEEEEE10hipError_tPvRmT0_T1_jT2_SS_T4_T3_P12ihipStream_tbEUlT_E_NS1_11comp_targetILNS1_3genE9ELNS1_11target_archE1100ELNS1_3gpuE3ELNS1_3repE0EEENS1_30default_config_static_selectorELNS0_4arch9wavefront6targetE0EEEvSR_,comdat
.Lfunc_end219:
	.size	_ZN7rocprim17ROCPRIM_400000_NS6detail17trampoline_kernelINS0_14default_configENS1_32segmented_reduce_config_selectorIN3c104HalfEEEZNS1_21segmented_reduce_implIS3_PKS6_PS6_PKlS6_N6hipcub16HIPCUB_304000_NS6detail27convert_result_type_wrapperISA_SB_N2at6native12_GLOBAL__N_19CustomMaxEEEEE10hipError_tPvRmT0_T1_jT2_SS_T4_T3_P12ihipStream_tbEUlT_E_NS1_11comp_targetILNS1_3genE9ELNS1_11target_archE1100ELNS1_3gpuE3ELNS1_3repE0EEENS1_30default_config_static_selectorELNS0_4arch9wavefront6targetE0EEEvSR_, .Lfunc_end219-_ZN7rocprim17ROCPRIM_400000_NS6detail17trampoline_kernelINS0_14default_configENS1_32segmented_reduce_config_selectorIN3c104HalfEEEZNS1_21segmented_reduce_implIS3_PKS6_PS6_PKlS6_N6hipcub16HIPCUB_304000_NS6detail27convert_result_type_wrapperISA_SB_N2at6native12_GLOBAL__N_19CustomMaxEEEEE10hipError_tPvRmT0_T1_jT2_SS_T4_T3_P12ihipStream_tbEUlT_E_NS1_11comp_targetILNS1_3genE9ELNS1_11target_archE1100ELNS1_3gpuE3ELNS1_3repE0EEENS1_30default_config_static_selectorELNS0_4arch9wavefront6targetE0EEEvSR_
                                        ; -- End function
	.section	.AMDGPU.csdata,"",@progbits
; Kernel info:
; codeLenInByte = 7620
; NumSgprs: 36
; NumVgprs: 23
; ScratchSize: 0
; MemoryBound: 0
; FloatMode: 240
; IeeeMode: 1
; LDSByteSize: 16 bytes/workgroup (compile time only)
; SGPRBlocks: 4
; VGPRBlocks: 2
; NumSGPRsForWavesPerEU: 36
; NumVGPRsForWavesPerEU: 23
; Occupancy: 16
; WaveLimiterHint : 1
; COMPUTE_PGM_RSRC2:SCRATCH_EN: 0
; COMPUTE_PGM_RSRC2:USER_SGPR: 15
; COMPUTE_PGM_RSRC2:TRAP_HANDLER: 0
; COMPUTE_PGM_RSRC2:TGID_X_EN: 1
; COMPUTE_PGM_RSRC2:TGID_Y_EN: 0
; COMPUTE_PGM_RSRC2:TGID_Z_EN: 0
; COMPUTE_PGM_RSRC2:TIDIG_COMP_CNT: 0
	.section	.text._ZN7rocprim17ROCPRIM_400000_NS6detail17trampoline_kernelINS0_14default_configENS1_32segmented_reduce_config_selectorIN3c104HalfEEEZNS1_21segmented_reduce_implIS3_PKS6_PS6_PKlS6_N6hipcub16HIPCUB_304000_NS6detail27convert_result_type_wrapperISA_SB_N2at6native12_GLOBAL__N_19CustomMaxEEEEE10hipError_tPvRmT0_T1_jT2_SS_T4_T3_P12ihipStream_tbEUlT_E_NS1_11comp_targetILNS1_3genE8ELNS1_11target_archE1030ELNS1_3gpuE2ELNS1_3repE0EEENS1_30default_config_static_selectorELNS0_4arch9wavefront6targetE0EEEvSR_,"axG",@progbits,_ZN7rocprim17ROCPRIM_400000_NS6detail17trampoline_kernelINS0_14default_configENS1_32segmented_reduce_config_selectorIN3c104HalfEEEZNS1_21segmented_reduce_implIS3_PKS6_PS6_PKlS6_N6hipcub16HIPCUB_304000_NS6detail27convert_result_type_wrapperISA_SB_N2at6native12_GLOBAL__N_19CustomMaxEEEEE10hipError_tPvRmT0_T1_jT2_SS_T4_T3_P12ihipStream_tbEUlT_E_NS1_11comp_targetILNS1_3genE8ELNS1_11target_archE1030ELNS1_3gpuE2ELNS1_3repE0EEENS1_30default_config_static_selectorELNS0_4arch9wavefront6targetE0EEEvSR_,comdat
	.globl	_ZN7rocprim17ROCPRIM_400000_NS6detail17trampoline_kernelINS0_14default_configENS1_32segmented_reduce_config_selectorIN3c104HalfEEEZNS1_21segmented_reduce_implIS3_PKS6_PS6_PKlS6_N6hipcub16HIPCUB_304000_NS6detail27convert_result_type_wrapperISA_SB_N2at6native12_GLOBAL__N_19CustomMaxEEEEE10hipError_tPvRmT0_T1_jT2_SS_T4_T3_P12ihipStream_tbEUlT_E_NS1_11comp_targetILNS1_3genE8ELNS1_11target_archE1030ELNS1_3gpuE2ELNS1_3repE0EEENS1_30default_config_static_selectorELNS0_4arch9wavefront6targetE0EEEvSR_ ; -- Begin function _ZN7rocprim17ROCPRIM_400000_NS6detail17trampoline_kernelINS0_14default_configENS1_32segmented_reduce_config_selectorIN3c104HalfEEEZNS1_21segmented_reduce_implIS3_PKS6_PS6_PKlS6_N6hipcub16HIPCUB_304000_NS6detail27convert_result_type_wrapperISA_SB_N2at6native12_GLOBAL__N_19CustomMaxEEEEE10hipError_tPvRmT0_T1_jT2_SS_T4_T3_P12ihipStream_tbEUlT_E_NS1_11comp_targetILNS1_3genE8ELNS1_11target_archE1030ELNS1_3gpuE2ELNS1_3repE0EEENS1_30default_config_static_selectorELNS0_4arch9wavefront6targetE0EEEvSR_
	.p2align	8
	.type	_ZN7rocprim17ROCPRIM_400000_NS6detail17trampoline_kernelINS0_14default_configENS1_32segmented_reduce_config_selectorIN3c104HalfEEEZNS1_21segmented_reduce_implIS3_PKS6_PS6_PKlS6_N6hipcub16HIPCUB_304000_NS6detail27convert_result_type_wrapperISA_SB_N2at6native12_GLOBAL__N_19CustomMaxEEEEE10hipError_tPvRmT0_T1_jT2_SS_T4_T3_P12ihipStream_tbEUlT_E_NS1_11comp_targetILNS1_3genE8ELNS1_11target_archE1030ELNS1_3gpuE2ELNS1_3repE0EEENS1_30default_config_static_selectorELNS0_4arch9wavefront6targetE0EEEvSR_,@function
_ZN7rocprim17ROCPRIM_400000_NS6detail17trampoline_kernelINS0_14default_configENS1_32segmented_reduce_config_selectorIN3c104HalfEEEZNS1_21segmented_reduce_implIS3_PKS6_PS6_PKlS6_N6hipcub16HIPCUB_304000_NS6detail27convert_result_type_wrapperISA_SB_N2at6native12_GLOBAL__N_19CustomMaxEEEEE10hipError_tPvRmT0_T1_jT2_SS_T4_T3_P12ihipStream_tbEUlT_E_NS1_11comp_targetILNS1_3genE8ELNS1_11target_archE1030ELNS1_3gpuE2ELNS1_3repE0EEENS1_30default_config_static_selectorELNS0_4arch9wavefront6targetE0EEEvSR_: ; @_ZN7rocprim17ROCPRIM_400000_NS6detail17trampoline_kernelINS0_14default_configENS1_32segmented_reduce_config_selectorIN3c104HalfEEEZNS1_21segmented_reduce_implIS3_PKS6_PS6_PKlS6_N6hipcub16HIPCUB_304000_NS6detail27convert_result_type_wrapperISA_SB_N2at6native12_GLOBAL__N_19CustomMaxEEEEE10hipError_tPvRmT0_T1_jT2_SS_T4_T3_P12ihipStream_tbEUlT_E_NS1_11comp_targetILNS1_3genE8ELNS1_11target_archE1030ELNS1_3gpuE2ELNS1_3repE0EEENS1_30default_config_static_selectorELNS0_4arch9wavefront6targetE0EEEvSR_
; %bb.0:
	.section	.rodata,"a",@progbits
	.p2align	6, 0x0
	.amdhsa_kernel _ZN7rocprim17ROCPRIM_400000_NS6detail17trampoline_kernelINS0_14default_configENS1_32segmented_reduce_config_selectorIN3c104HalfEEEZNS1_21segmented_reduce_implIS3_PKS6_PS6_PKlS6_N6hipcub16HIPCUB_304000_NS6detail27convert_result_type_wrapperISA_SB_N2at6native12_GLOBAL__N_19CustomMaxEEEEE10hipError_tPvRmT0_T1_jT2_SS_T4_T3_P12ihipStream_tbEUlT_E_NS1_11comp_targetILNS1_3genE8ELNS1_11target_archE1030ELNS1_3gpuE2ELNS1_3repE0EEENS1_30default_config_static_selectorELNS0_4arch9wavefront6targetE0EEEvSR_
		.amdhsa_group_segment_fixed_size 0
		.amdhsa_private_segment_fixed_size 0
		.amdhsa_kernarg_size 48
		.amdhsa_user_sgpr_count 15
		.amdhsa_user_sgpr_dispatch_ptr 0
		.amdhsa_user_sgpr_queue_ptr 0
		.amdhsa_user_sgpr_kernarg_segment_ptr 1
		.amdhsa_user_sgpr_dispatch_id 0
		.amdhsa_user_sgpr_private_segment_size 0
		.amdhsa_wavefront_size32 1
		.amdhsa_uses_dynamic_stack 0
		.amdhsa_enable_private_segment 0
		.amdhsa_system_sgpr_workgroup_id_x 1
		.amdhsa_system_sgpr_workgroup_id_y 0
		.amdhsa_system_sgpr_workgroup_id_z 0
		.amdhsa_system_sgpr_workgroup_info 0
		.amdhsa_system_vgpr_workitem_id 0
		.amdhsa_next_free_vgpr 1
		.amdhsa_next_free_sgpr 1
		.amdhsa_reserve_vcc 0
		.amdhsa_float_round_mode_32 0
		.amdhsa_float_round_mode_16_64 0
		.amdhsa_float_denorm_mode_32 3
		.amdhsa_float_denorm_mode_16_64 3
		.amdhsa_dx10_clamp 1
		.amdhsa_ieee_mode 1
		.amdhsa_fp16_overflow 0
		.amdhsa_workgroup_processor_mode 1
		.amdhsa_memory_ordered 1
		.amdhsa_forward_progress 0
		.amdhsa_shared_vgpr_count 0
		.amdhsa_exception_fp_ieee_invalid_op 0
		.amdhsa_exception_fp_denorm_src 0
		.amdhsa_exception_fp_ieee_div_zero 0
		.amdhsa_exception_fp_ieee_overflow 0
		.amdhsa_exception_fp_ieee_underflow 0
		.amdhsa_exception_fp_ieee_inexact 0
		.amdhsa_exception_int_div_zero 0
	.end_amdhsa_kernel
	.section	.text._ZN7rocprim17ROCPRIM_400000_NS6detail17trampoline_kernelINS0_14default_configENS1_32segmented_reduce_config_selectorIN3c104HalfEEEZNS1_21segmented_reduce_implIS3_PKS6_PS6_PKlS6_N6hipcub16HIPCUB_304000_NS6detail27convert_result_type_wrapperISA_SB_N2at6native12_GLOBAL__N_19CustomMaxEEEEE10hipError_tPvRmT0_T1_jT2_SS_T4_T3_P12ihipStream_tbEUlT_E_NS1_11comp_targetILNS1_3genE8ELNS1_11target_archE1030ELNS1_3gpuE2ELNS1_3repE0EEENS1_30default_config_static_selectorELNS0_4arch9wavefront6targetE0EEEvSR_,"axG",@progbits,_ZN7rocprim17ROCPRIM_400000_NS6detail17trampoline_kernelINS0_14default_configENS1_32segmented_reduce_config_selectorIN3c104HalfEEEZNS1_21segmented_reduce_implIS3_PKS6_PS6_PKlS6_N6hipcub16HIPCUB_304000_NS6detail27convert_result_type_wrapperISA_SB_N2at6native12_GLOBAL__N_19CustomMaxEEEEE10hipError_tPvRmT0_T1_jT2_SS_T4_T3_P12ihipStream_tbEUlT_E_NS1_11comp_targetILNS1_3genE8ELNS1_11target_archE1030ELNS1_3gpuE2ELNS1_3repE0EEENS1_30default_config_static_selectorELNS0_4arch9wavefront6targetE0EEEvSR_,comdat
.Lfunc_end220:
	.size	_ZN7rocprim17ROCPRIM_400000_NS6detail17trampoline_kernelINS0_14default_configENS1_32segmented_reduce_config_selectorIN3c104HalfEEEZNS1_21segmented_reduce_implIS3_PKS6_PS6_PKlS6_N6hipcub16HIPCUB_304000_NS6detail27convert_result_type_wrapperISA_SB_N2at6native12_GLOBAL__N_19CustomMaxEEEEE10hipError_tPvRmT0_T1_jT2_SS_T4_T3_P12ihipStream_tbEUlT_E_NS1_11comp_targetILNS1_3genE8ELNS1_11target_archE1030ELNS1_3gpuE2ELNS1_3repE0EEENS1_30default_config_static_selectorELNS0_4arch9wavefront6targetE0EEEvSR_, .Lfunc_end220-_ZN7rocprim17ROCPRIM_400000_NS6detail17trampoline_kernelINS0_14default_configENS1_32segmented_reduce_config_selectorIN3c104HalfEEEZNS1_21segmented_reduce_implIS3_PKS6_PS6_PKlS6_N6hipcub16HIPCUB_304000_NS6detail27convert_result_type_wrapperISA_SB_N2at6native12_GLOBAL__N_19CustomMaxEEEEE10hipError_tPvRmT0_T1_jT2_SS_T4_T3_P12ihipStream_tbEUlT_E_NS1_11comp_targetILNS1_3genE8ELNS1_11target_archE1030ELNS1_3gpuE2ELNS1_3repE0EEENS1_30default_config_static_selectorELNS0_4arch9wavefront6targetE0EEEvSR_
                                        ; -- End function
	.section	.AMDGPU.csdata,"",@progbits
; Kernel info:
; codeLenInByte = 0
; NumSgprs: 0
; NumVgprs: 0
; ScratchSize: 0
; MemoryBound: 0
; FloatMode: 240
; IeeeMode: 1
; LDSByteSize: 0 bytes/workgroup (compile time only)
; SGPRBlocks: 0
; VGPRBlocks: 0
; NumSGPRsForWavesPerEU: 1
; NumVGPRsForWavesPerEU: 1
; Occupancy: 16
; WaveLimiterHint : 0
; COMPUTE_PGM_RSRC2:SCRATCH_EN: 0
; COMPUTE_PGM_RSRC2:USER_SGPR: 15
; COMPUTE_PGM_RSRC2:TRAP_HANDLER: 0
; COMPUTE_PGM_RSRC2:TGID_X_EN: 1
; COMPUTE_PGM_RSRC2:TGID_Y_EN: 0
; COMPUTE_PGM_RSRC2:TGID_Z_EN: 0
; COMPUTE_PGM_RSRC2:TIDIG_COMP_CNT: 0
	.section	.text._ZN7rocprim17ROCPRIM_400000_NS6detail17trampoline_kernelINS0_14default_configENS1_32segmented_reduce_config_selectorIN3c104HalfEEEZNS1_21segmented_reduce_implIS3_PKS6_PS6_PKlS6_N6hipcub16HIPCUB_304000_NS6detail27convert_result_type_wrapperISA_SB_N2at6native12_GLOBAL__N_19CustomSumEEEEE10hipError_tPvRmT0_T1_jT2_SS_T4_T3_P12ihipStream_tbEUlT_E_NS1_11comp_targetILNS1_3genE0ELNS1_11target_archE4294967295ELNS1_3gpuE0ELNS1_3repE0EEENS1_30default_config_static_selectorELNS0_4arch9wavefront6targetE0EEEvSR_,"axG",@progbits,_ZN7rocprim17ROCPRIM_400000_NS6detail17trampoline_kernelINS0_14default_configENS1_32segmented_reduce_config_selectorIN3c104HalfEEEZNS1_21segmented_reduce_implIS3_PKS6_PS6_PKlS6_N6hipcub16HIPCUB_304000_NS6detail27convert_result_type_wrapperISA_SB_N2at6native12_GLOBAL__N_19CustomSumEEEEE10hipError_tPvRmT0_T1_jT2_SS_T4_T3_P12ihipStream_tbEUlT_E_NS1_11comp_targetILNS1_3genE0ELNS1_11target_archE4294967295ELNS1_3gpuE0ELNS1_3repE0EEENS1_30default_config_static_selectorELNS0_4arch9wavefront6targetE0EEEvSR_,comdat
	.globl	_ZN7rocprim17ROCPRIM_400000_NS6detail17trampoline_kernelINS0_14default_configENS1_32segmented_reduce_config_selectorIN3c104HalfEEEZNS1_21segmented_reduce_implIS3_PKS6_PS6_PKlS6_N6hipcub16HIPCUB_304000_NS6detail27convert_result_type_wrapperISA_SB_N2at6native12_GLOBAL__N_19CustomSumEEEEE10hipError_tPvRmT0_T1_jT2_SS_T4_T3_P12ihipStream_tbEUlT_E_NS1_11comp_targetILNS1_3genE0ELNS1_11target_archE4294967295ELNS1_3gpuE0ELNS1_3repE0EEENS1_30default_config_static_selectorELNS0_4arch9wavefront6targetE0EEEvSR_ ; -- Begin function _ZN7rocprim17ROCPRIM_400000_NS6detail17trampoline_kernelINS0_14default_configENS1_32segmented_reduce_config_selectorIN3c104HalfEEEZNS1_21segmented_reduce_implIS3_PKS6_PS6_PKlS6_N6hipcub16HIPCUB_304000_NS6detail27convert_result_type_wrapperISA_SB_N2at6native12_GLOBAL__N_19CustomSumEEEEE10hipError_tPvRmT0_T1_jT2_SS_T4_T3_P12ihipStream_tbEUlT_E_NS1_11comp_targetILNS1_3genE0ELNS1_11target_archE4294967295ELNS1_3gpuE0ELNS1_3repE0EEENS1_30default_config_static_selectorELNS0_4arch9wavefront6targetE0EEEvSR_
	.p2align	8
	.type	_ZN7rocprim17ROCPRIM_400000_NS6detail17trampoline_kernelINS0_14default_configENS1_32segmented_reduce_config_selectorIN3c104HalfEEEZNS1_21segmented_reduce_implIS3_PKS6_PS6_PKlS6_N6hipcub16HIPCUB_304000_NS6detail27convert_result_type_wrapperISA_SB_N2at6native12_GLOBAL__N_19CustomSumEEEEE10hipError_tPvRmT0_T1_jT2_SS_T4_T3_P12ihipStream_tbEUlT_E_NS1_11comp_targetILNS1_3genE0ELNS1_11target_archE4294967295ELNS1_3gpuE0ELNS1_3repE0EEENS1_30default_config_static_selectorELNS0_4arch9wavefront6targetE0EEEvSR_,@function
_ZN7rocprim17ROCPRIM_400000_NS6detail17trampoline_kernelINS0_14default_configENS1_32segmented_reduce_config_selectorIN3c104HalfEEEZNS1_21segmented_reduce_implIS3_PKS6_PS6_PKlS6_N6hipcub16HIPCUB_304000_NS6detail27convert_result_type_wrapperISA_SB_N2at6native12_GLOBAL__N_19CustomSumEEEEE10hipError_tPvRmT0_T1_jT2_SS_T4_T3_P12ihipStream_tbEUlT_E_NS1_11comp_targetILNS1_3genE0ELNS1_11target_archE4294967295ELNS1_3gpuE0ELNS1_3repE0EEENS1_30default_config_static_selectorELNS0_4arch9wavefront6targetE0EEEvSR_: ; @_ZN7rocprim17ROCPRIM_400000_NS6detail17trampoline_kernelINS0_14default_configENS1_32segmented_reduce_config_selectorIN3c104HalfEEEZNS1_21segmented_reduce_implIS3_PKS6_PS6_PKlS6_N6hipcub16HIPCUB_304000_NS6detail27convert_result_type_wrapperISA_SB_N2at6native12_GLOBAL__N_19CustomSumEEEEE10hipError_tPvRmT0_T1_jT2_SS_T4_T3_P12ihipStream_tbEUlT_E_NS1_11comp_targetILNS1_3genE0ELNS1_11target_archE4294967295ELNS1_3gpuE0ELNS1_3repE0EEENS1_30default_config_static_selectorELNS0_4arch9wavefront6targetE0EEEvSR_
; %bb.0:
	.section	.rodata,"a",@progbits
	.p2align	6, 0x0
	.amdhsa_kernel _ZN7rocprim17ROCPRIM_400000_NS6detail17trampoline_kernelINS0_14default_configENS1_32segmented_reduce_config_selectorIN3c104HalfEEEZNS1_21segmented_reduce_implIS3_PKS6_PS6_PKlS6_N6hipcub16HIPCUB_304000_NS6detail27convert_result_type_wrapperISA_SB_N2at6native12_GLOBAL__N_19CustomSumEEEEE10hipError_tPvRmT0_T1_jT2_SS_T4_T3_P12ihipStream_tbEUlT_E_NS1_11comp_targetILNS1_3genE0ELNS1_11target_archE4294967295ELNS1_3gpuE0ELNS1_3repE0EEENS1_30default_config_static_selectorELNS0_4arch9wavefront6targetE0EEEvSR_
		.amdhsa_group_segment_fixed_size 0
		.amdhsa_private_segment_fixed_size 0
		.amdhsa_kernarg_size 48
		.amdhsa_user_sgpr_count 15
		.amdhsa_user_sgpr_dispatch_ptr 0
		.amdhsa_user_sgpr_queue_ptr 0
		.amdhsa_user_sgpr_kernarg_segment_ptr 1
		.amdhsa_user_sgpr_dispatch_id 0
		.amdhsa_user_sgpr_private_segment_size 0
		.amdhsa_wavefront_size32 1
		.amdhsa_uses_dynamic_stack 0
		.amdhsa_enable_private_segment 0
		.amdhsa_system_sgpr_workgroup_id_x 1
		.amdhsa_system_sgpr_workgroup_id_y 0
		.amdhsa_system_sgpr_workgroup_id_z 0
		.amdhsa_system_sgpr_workgroup_info 0
		.amdhsa_system_vgpr_workitem_id 0
		.amdhsa_next_free_vgpr 1
		.amdhsa_next_free_sgpr 1
		.amdhsa_reserve_vcc 0
		.amdhsa_float_round_mode_32 0
		.amdhsa_float_round_mode_16_64 0
		.amdhsa_float_denorm_mode_32 3
		.amdhsa_float_denorm_mode_16_64 3
		.amdhsa_dx10_clamp 1
		.amdhsa_ieee_mode 1
		.amdhsa_fp16_overflow 0
		.amdhsa_workgroup_processor_mode 1
		.amdhsa_memory_ordered 1
		.amdhsa_forward_progress 0
		.amdhsa_shared_vgpr_count 0
		.amdhsa_exception_fp_ieee_invalid_op 0
		.amdhsa_exception_fp_denorm_src 0
		.amdhsa_exception_fp_ieee_div_zero 0
		.amdhsa_exception_fp_ieee_overflow 0
		.amdhsa_exception_fp_ieee_underflow 0
		.amdhsa_exception_fp_ieee_inexact 0
		.amdhsa_exception_int_div_zero 0
	.end_amdhsa_kernel
	.section	.text._ZN7rocprim17ROCPRIM_400000_NS6detail17trampoline_kernelINS0_14default_configENS1_32segmented_reduce_config_selectorIN3c104HalfEEEZNS1_21segmented_reduce_implIS3_PKS6_PS6_PKlS6_N6hipcub16HIPCUB_304000_NS6detail27convert_result_type_wrapperISA_SB_N2at6native12_GLOBAL__N_19CustomSumEEEEE10hipError_tPvRmT0_T1_jT2_SS_T4_T3_P12ihipStream_tbEUlT_E_NS1_11comp_targetILNS1_3genE0ELNS1_11target_archE4294967295ELNS1_3gpuE0ELNS1_3repE0EEENS1_30default_config_static_selectorELNS0_4arch9wavefront6targetE0EEEvSR_,"axG",@progbits,_ZN7rocprim17ROCPRIM_400000_NS6detail17trampoline_kernelINS0_14default_configENS1_32segmented_reduce_config_selectorIN3c104HalfEEEZNS1_21segmented_reduce_implIS3_PKS6_PS6_PKlS6_N6hipcub16HIPCUB_304000_NS6detail27convert_result_type_wrapperISA_SB_N2at6native12_GLOBAL__N_19CustomSumEEEEE10hipError_tPvRmT0_T1_jT2_SS_T4_T3_P12ihipStream_tbEUlT_E_NS1_11comp_targetILNS1_3genE0ELNS1_11target_archE4294967295ELNS1_3gpuE0ELNS1_3repE0EEENS1_30default_config_static_selectorELNS0_4arch9wavefront6targetE0EEEvSR_,comdat
.Lfunc_end221:
	.size	_ZN7rocprim17ROCPRIM_400000_NS6detail17trampoline_kernelINS0_14default_configENS1_32segmented_reduce_config_selectorIN3c104HalfEEEZNS1_21segmented_reduce_implIS3_PKS6_PS6_PKlS6_N6hipcub16HIPCUB_304000_NS6detail27convert_result_type_wrapperISA_SB_N2at6native12_GLOBAL__N_19CustomSumEEEEE10hipError_tPvRmT0_T1_jT2_SS_T4_T3_P12ihipStream_tbEUlT_E_NS1_11comp_targetILNS1_3genE0ELNS1_11target_archE4294967295ELNS1_3gpuE0ELNS1_3repE0EEENS1_30default_config_static_selectorELNS0_4arch9wavefront6targetE0EEEvSR_, .Lfunc_end221-_ZN7rocprim17ROCPRIM_400000_NS6detail17trampoline_kernelINS0_14default_configENS1_32segmented_reduce_config_selectorIN3c104HalfEEEZNS1_21segmented_reduce_implIS3_PKS6_PS6_PKlS6_N6hipcub16HIPCUB_304000_NS6detail27convert_result_type_wrapperISA_SB_N2at6native12_GLOBAL__N_19CustomSumEEEEE10hipError_tPvRmT0_T1_jT2_SS_T4_T3_P12ihipStream_tbEUlT_E_NS1_11comp_targetILNS1_3genE0ELNS1_11target_archE4294967295ELNS1_3gpuE0ELNS1_3repE0EEENS1_30default_config_static_selectorELNS0_4arch9wavefront6targetE0EEEvSR_
                                        ; -- End function
	.section	.AMDGPU.csdata,"",@progbits
; Kernel info:
; codeLenInByte = 0
; NumSgprs: 0
; NumVgprs: 0
; ScratchSize: 0
; MemoryBound: 0
; FloatMode: 240
; IeeeMode: 1
; LDSByteSize: 0 bytes/workgroup (compile time only)
; SGPRBlocks: 0
; VGPRBlocks: 0
; NumSGPRsForWavesPerEU: 1
; NumVGPRsForWavesPerEU: 1
; Occupancy: 16
; WaveLimiterHint : 0
; COMPUTE_PGM_RSRC2:SCRATCH_EN: 0
; COMPUTE_PGM_RSRC2:USER_SGPR: 15
; COMPUTE_PGM_RSRC2:TRAP_HANDLER: 0
; COMPUTE_PGM_RSRC2:TGID_X_EN: 1
; COMPUTE_PGM_RSRC2:TGID_Y_EN: 0
; COMPUTE_PGM_RSRC2:TGID_Z_EN: 0
; COMPUTE_PGM_RSRC2:TIDIG_COMP_CNT: 0
	.section	.text._ZN7rocprim17ROCPRIM_400000_NS6detail17trampoline_kernelINS0_14default_configENS1_32segmented_reduce_config_selectorIN3c104HalfEEEZNS1_21segmented_reduce_implIS3_PKS6_PS6_PKlS6_N6hipcub16HIPCUB_304000_NS6detail27convert_result_type_wrapperISA_SB_N2at6native12_GLOBAL__N_19CustomSumEEEEE10hipError_tPvRmT0_T1_jT2_SS_T4_T3_P12ihipStream_tbEUlT_E_NS1_11comp_targetILNS1_3genE5ELNS1_11target_archE942ELNS1_3gpuE9ELNS1_3repE0EEENS1_30default_config_static_selectorELNS0_4arch9wavefront6targetE0EEEvSR_,"axG",@progbits,_ZN7rocprim17ROCPRIM_400000_NS6detail17trampoline_kernelINS0_14default_configENS1_32segmented_reduce_config_selectorIN3c104HalfEEEZNS1_21segmented_reduce_implIS3_PKS6_PS6_PKlS6_N6hipcub16HIPCUB_304000_NS6detail27convert_result_type_wrapperISA_SB_N2at6native12_GLOBAL__N_19CustomSumEEEEE10hipError_tPvRmT0_T1_jT2_SS_T4_T3_P12ihipStream_tbEUlT_E_NS1_11comp_targetILNS1_3genE5ELNS1_11target_archE942ELNS1_3gpuE9ELNS1_3repE0EEENS1_30default_config_static_selectorELNS0_4arch9wavefront6targetE0EEEvSR_,comdat
	.globl	_ZN7rocprim17ROCPRIM_400000_NS6detail17trampoline_kernelINS0_14default_configENS1_32segmented_reduce_config_selectorIN3c104HalfEEEZNS1_21segmented_reduce_implIS3_PKS6_PS6_PKlS6_N6hipcub16HIPCUB_304000_NS6detail27convert_result_type_wrapperISA_SB_N2at6native12_GLOBAL__N_19CustomSumEEEEE10hipError_tPvRmT0_T1_jT2_SS_T4_T3_P12ihipStream_tbEUlT_E_NS1_11comp_targetILNS1_3genE5ELNS1_11target_archE942ELNS1_3gpuE9ELNS1_3repE0EEENS1_30default_config_static_selectorELNS0_4arch9wavefront6targetE0EEEvSR_ ; -- Begin function _ZN7rocprim17ROCPRIM_400000_NS6detail17trampoline_kernelINS0_14default_configENS1_32segmented_reduce_config_selectorIN3c104HalfEEEZNS1_21segmented_reduce_implIS3_PKS6_PS6_PKlS6_N6hipcub16HIPCUB_304000_NS6detail27convert_result_type_wrapperISA_SB_N2at6native12_GLOBAL__N_19CustomSumEEEEE10hipError_tPvRmT0_T1_jT2_SS_T4_T3_P12ihipStream_tbEUlT_E_NS1_11comp_targetILNS1_3genE5ELNS1_11target_archE942ELNS1_3gpuE9ELNS1_3repE0EEENS1_30default_config_static_selectorELNS0_4arch9wavefront6targetE0EEEvSR_
	.p2align	8
	.type	_ZN7rocprim17ROCPRIM_400000_NS6detail17trampoline_kernelINS0_14default_configENS1_32segmented_reduce_config_selectorIN3c104HalfEEEZNS1_21segmented_reduce_implIS3_PKS6_PS6_PKlS6_N6hipcub16HIPCUB_304000_NS6detail27convert_result_type_wrapperISA_SB_N2at6native12_GLOBAL__N_19CustomSumEEEEE10hipError_tPvRmT0_T1_jT2_SS_T4_T3_P12ihipStream_tbEUlT_E_NS1_11comp_targetILNS1_3genE5ELNS1_11target_archE942ELNS1_3gpuE9ELNS1_3repE0EEENS1_30default_config_static_selectorELNS0_4arch9wavefront6targetE0EEEvSR_,@function
_ZN7rocprim17ROCPRIM_400000_NS6detail17trampoline_kernelINS0_14default_configENS1_32segmented_reduce_config_selectorIN3c104HalfEEEZNS1_21segmented_reduce_implIS3_PKS6_PS6_PKlS6_N6hipcub16HIPCUB_304000_NS6detail27convert_result_type_wrapperISA_SB_N2at6native12_GLOBAL__N_19CustomSumEEEEE10hipError_tPvRmT0_T1_jT2_SS_T4_T3_P12ihipStream_tbEUlT_E_NS1_11comp_targetILNS1_3genE5ELNS1_11target_archE942ELNS1_3gpuE9ELNS1_3repE0EEENS1_30default_config_static_selectorELNS0_4arch9wavefront6targetE0EEEvSR_: ; @_ZN7rocprim17ROCPRIM_400000_NS6detail17trampoline_kernelINS0_14default_configENS1_32segmented_reduce_config_selectorIN3c104HalfEEEZNS1_21segmented_reduce_implIS3_PKS6_PS6_PKlS6_N6hipcub16HIPCUB_304000_NS6detail27convert_result_type_wrapperISA_SB_N2at6native12_GLOBAL__N_19CustomSumEEEEE10hipError_tPvRmT0_T1_jT2_SS_T4_T3_P12ihipStream_tbEUlT_E_NS1_11comp_targetILNS1_3genE5ELNS1_11target_archE942ELNS1_3gpuE9ELNS1_3repE0EEENS1_30default_config_static_selectorELNS0_4arch9wavefront6targetE0EEEvSR_
; %bb.0:
	.section	.rodata,"a",@progbits
	.p2align	6, 0x0
	.amdhsa_kernel _ZN7rocprim17ROCPRIM_400000_NS6detail17trampoline_kernelINS0_14default_configENS1_32segmented_reduce_config_selectorIN3c104HalfEEEZNS1_21segmented_reduce_implIS3_PKS6_PS6_PKlS6_N6hipcub16HIPCUB_304000_NS6detail27convert_result_type_wrapperISA_SB_N2at6native12_GLOBAL__N_19CustomSumEEEEE10hipError_tPvRmT0_T1_jT2_SS_T4_T3_P12ihipStream_tbEUlT_E_NS1_11comp_targetILNS1_3genE5ELNS1_11target_archE942ELNS1_3gpuE9ELNS1_3repE0EEENS1_30default_config_static_selectorELNS0_4arch9wavefront6targetE0EEEvSR_
		.amdhsa_group_segment_fixed_size 0
		.amdhsa_private_segment_fixed_size 0
		.amdhsa_kernarg_size 48
		.amdhsa_user_sgpr_count 15
		.amdhsa_user_sgpr_dispatch_ptr 0
		.amdhsa_user_sgpr_queue_ptr 0
		.amdhsa_user_sgpr_kernarg_segment_ptr 1
		.amdhsa_user_sgpr_dispatch_id 0
		.amdhsa_user_sgpr_private_segment_size 0
		.amdhsa_wavefront_size32 1
		.amdhsa_uses_dynamic_stack 0
		.amdhsa_enable_private_segment 0
		.amdhsa_system_sgpr_workgroup_id_x 1
		.amdhsa_system_sgpr_workgroup_id_y 0
		.amdhsa_system_sgpr_workgroup_id_z 0
		.amdhsa_system_sgpr_workgroup_info 0
		.amdhsa_system_vgpr_workitem_id 0
		.amdhsa_next_free_vgpr 1
		.amdhsa_next_free_sgpr 1
		.amdhsa_reserve_vcc 0
		.amdhsa_float_round_mode_32 0
		.amdhsa_float_round_mode_16_64 0
		.amdhsa_float_denorm_mode_32 3
		.amdhsa_float_denorm_mode_16_64 3
		.amdhsa_dx10_clamp 1
		.amdhsa_ieee_mode 1
		.amdhsa_fp16_overflow 0
		.amdhsa_workgroup_processor_mode 1
		.amdhsa_memory_ordered 1
		.amdhsa_forward_progress 0
		.amdhsa_shared_vgpr_count 0
		.amdhsa_exception_fp_ieee_invalid_op 0
		.amdhsa_exception_fp_denorm_src 0
		.amdhsa_exception_fp_ieee_div_zero 0
		.amdhsa_exception_fp_ieee_overflow 0
		.amdhsa_exception_fp_ieee_underflow 0
		.amdhsa_exception_fp_ieee_inexact 0
		.amdhsa_exception_int_div_zero 0
	.end_amdhsa_kernel
	.section	.text._ZN7rocprim17ROCPRIM_400000_NS6detail17trampoline_kernelINS0_14default_configENS1_32segmented_reduce_config_selectorIN3c104HalfEEEZNS1_21segmented_reduce_implIS3_PKS6_PS6_PKlS6_N6hipcub16HIPCUB_304000_NS6detail27convert_result_type_wrapperISA_SB_N2at6native12_GLOBAL__N_19CustomSumEEEEE10hipError_tPvRmT0_T1_jT2_SS_T4_T3_P12ihipStream_tbEUlT_E_NS1_11comp_targetILNS1_3genE5ELNS1_11target_archE942ELNS1_3gpuE9ELNS1_3repE0EEENS1_30default_config_static_selectorELNS0_4arch9wavefront6targetE0EEEvSR_,"axG",@progbits,_ZN7rocprim17ROCPRIM_400000_NS6detail17trampoline_kernelINS0_14default_configENS1_32segmented_reduce_config_selectorIN3c104HalfEEEZNS1_21segmented_reduce_implIS3_PKS6_PS6_PKlS6_N6hipcub16HIPCUB_304000_NS6detail27convert_result_type_wrapperISA_SB_N2at6native12_GLOBAL__N_19CustomSumEEEEE10hipError_tPvRmT0_T1_jT2_SS_T4_T3_P12ihipStream_tbEUlT_E_NS1_11comp_targetILNS1_3genE5ELNS1_11target_archE942ELNS1_3gpuE9ELNS1_3repE0EEENS1_30default_config_static_selectorELNS0_4arch9wavefront6targetE0EEEvSR_,comdat
.Lfunc_end222:
	.size	_ZN7rocprim17ROCPRIM_400000_NS6detail17trampoline_kernelINS0_14default_configENS1_32segmented_reduce_config_selectorIN3c104HalfEEEZNS1_21segmented_reduce_implIS3_PKS6_PS6_PKlS6_N6hipcub16HIPCUB_304000_NS6detail27convert_result_type_wrapperISA_SB_N2at6native12_GLOBAL__N_19CustomSumEEEEE10hipError_tPvRmT0_T1_jT2_SS_T4_T3_P12ihipStream_tbEUlT_E_NS1_11comp_targetILNS1_3genE5ELNS1_11target_archE942ELNS1_3gpuE9ELNS1_3repE0EEENS1_30default_config_static_selectorELNS0_4arch9wavefront6targetE0EEEvSR_, .Lfunc_end222-_ZN7rocprim17ROCPRIM_400000_NS6detail17trampoline_kernelINS0_14default_configENS1_32segmented_reduce_config_selectorIN3c104HalfEEEZNS1_21segmented_reduce_implIS3_PKS6_PS6_PKlS6_N6hipcub16HIPCUB_304000_NS6detail27convert_result_type_wrapperISA_SB_N2at6native12_GLOBAL__N_19CustomSumEEEEE10hipError_tPvRmT0_T1_jT2_SS_T4_T3_P12ihipStream_tbEUlT_E_NS1_11comp_targetILNS1_3genE5ELNS1_11target_archE942ELNS1_3gpuE9ELNS1_3repE0EEENS1_30default_config_static_selectorELNS0_4arch9wavefront6targetE0EEEvSR_
                                        ; -- End function
	.section	.AMDGPU.csdata,"",@progbits
; Kernel info:
; codeLenInByte = 0
; NumSgprs: 0
; NumVgprs: 0
; ScratchSize: 0
; MemoryBound: 0
; FloatMode: 240
; IeeeMode: 1
; LDSByteSize: 0 bytes/workgroup (compile time only)
; SGPRBlocks: 0
; VGPRBlocks: 0
; NumSGPRsForWavesPerEU: 1
; NumVGPRsForWavesPerEU: 1
; Occupancy: 16
; WaveLimiterHint : 0
; COMPUTE_PGM_RSRC2:SCRATCH_EN: 0
; COMPUTE_PGM_RSRC2:USER_SGPR: 15
; COMPUTE_PGM_RSRC2:TRAP_HANDLER: 0
; COMPUTE_PGM_RSRC2:TGID_X_EN: 1
; COMPUTE_PGM_RSRC2:TGID_Y_EN: 0
; COMPUTE_PGM_RSRC2:TGID_Z_EN: 0
; COMPUTE_PGM_RSRC2:TIDIG_COMP_CNT: 0
	.section	.text._ZN7rocprim17ROCPRIM_400000_NS6detail17trampoline_kernelINS0_14default_configENS1_32segmented_reduce_config_selectorIN3c104HalfEEEZNS1_21segmented_reduce_implIS3_PKS6_PS6_PKlS6_N6hipcub16HIPCUB_304000_NS6detail27convert_result_type_wrapperISA_SB_N2at6native12_GLOBAL__N_19CustomSumEEEEE10hipError_tPvRmT0_T1_jT2_SS_T4_T3_P12ihipStream_tbEUlT_E_NS1_11comp_targetILNS1_3genE10ELNS1_11target_archE1201ELNS1_3gpuE5ELNS1_3repE0EEENS1_30default_config_static_selectorELNS0_4arch9wavefront6targetE0EEEvSR_,"axG",@progbits,_ZN7rocprim17ROCPRIM_400000_NS6detail17trampoline_kernelINS0_14default_configENS1_32segmented_reduce_config_selectorIN3c104HalfEEEZNS1_21segmented_reduce_implIS3_PKS6_PS6_PKlS6_N6hipcub16HIPCUB_304000_NS6detail27convert_result_type_wrapperISA_SB_N2at6native12_GLOBAL__N_19CustomSumEEEEE10hipError_tPvRmT0_T1_jT2_SS_T4_T3_P12ihipStream_tbEUlT_E_NS1_11comp_targetILNS1_3genE10ELNS1_11target_archE1201ELNS1_3gpuE5ELNS1_3repE0EEENS1_30default_config_static_selectorELNS0_4arch9wavefront6targetE0EEEvSR_,comdat
	.globl	_ZN7rocprim17ROCPRIM_400000_NS6detail17trampoline_kernelINS0_14default_configENS1_32segmented_reduce_config_selectorIN3c104HalfEEEZNS1_21segmented_reduce_implIS3_PKS6_PS6_PKlS6_N6hipcub16HIPCUB_304000_NS6detail27convert_result_type_wrapperISA_SB_N2at6native12_GLOBAL__N_19CustomSumEEEEE10hipError_tPvRmT0_T1_jT2_SS_T4_T3_P12ihipStream_tbEUlT_E_NS1_11comp_targetILNS1_3genE10ELNS1_11target_archE1201ELNS1_3gpuE5ELNS1_3repE0EEENS1_30default_config_static_selectorELNS0_4arch9wavefront6targetE0EEEvSR_ ; -- Begin function _ZN7rocprim17ROCPRIM_400000_NS6detail17trampoline_kernelINS0_14default_configENS1_32segmented_reduce_config_selectorIN3c104HalfEEEZNS1_21segmented_reduce_implIS3_PKS6_PS6_PKlS6_N6hipcub16HIPCUB_304000_NS6detail27convert_result_type_wrapperISA_SB_N2at6native12_GLOBAL__N_19CustomSumEEEEE10hipError_tPvRmT0_T1_jT2_SS_T4_T3_P12ihipStream_tbEUlT_E_NS1_11comp_targetILNS1_3genE10ELNS1_11target_archE1201ELNS1_3gpuE5ELNS1_3repE0EEENS1_30default_config_static_selectorELNS0_4arch9wavefront6targetE0EEEvSR_
	.p2align	8
	.type	_ZN7rocprim17ROCPRIM_400000_NS6detail17trampoline_kernelINS0_14default_configENS1_32segmented_reduce_config_selectorIN3c104HalfEEEZNS1_21segmented_reduce_implIS3_PKS6_PS6_PKlS6_N6hipcub16HIPCUB_304000_NS6detail27convert_result_type_wrapperISA_SB_N2at6native12_GLOBAL__N_19CustomSumEEEEE10hipError_tPvRmT0_T1_jT2_SS_T4_T3_P12ihipStream_tbEUlT_E_NS1_11comp_targetILNS1_3genE10ELNS1_11target_archE1201ELNS1_3gpuE5ELNS1_3repE0EEENS1_30default_config_static_selectorELNS0_4arch9wavefront6targetE0EEEvSR_,@function
_ZN7rocprim17ROCPRIM_400000_NS6detail17trampoline_kernelINS0_14default_configENS1_32segmented_reduce_config_selectorIN3c104HalfEEEZNS1_21segmented_reduce_implIS3_PKS6_PS6_PKlS6_N6hipcub16HIPCUB_304000_NS6detail27convert_result_type_wrapperISA_SB_N2at6native12_GLOBAL__N_19CustomSumEEEEE10hipError_tPvRmT0_T1_jT2_SS_T4_T3_P12ihipStream_tbEUlT_E_NS1_11comp_targetILNS1_3genE10ELNS1_11target_archE1201ELNS1_3gpuE5ELNS1_3repE0EEENS1_30default_config_static_selectorELNS0_4arch9wavefront6targetE0EEEvSR_: ; @_ZN7rocprim17ROCPRIM_400000_NS6detail17trampoline_kernelINS0_14default_configENS1_32segmented_reduce_config_selectorIN3c104HalfEEEZNS1_21segmented_reduce_implIS3_PKS6_PS6_PKlS6_N6hipcub16HIPCUB_304000_NS6detail27convert_result_type_wrapperISA_SB_N2at6native12_GLOBAL__N_19CustomSumEEEEE10hipError_tPvRmT0_T1_jT2_SS_T4_T3_P12ihipStream_tbEUlT_E_NS1_11comp_targetILNS1_3genE10ELNS1_11target_archE1201ELNS1_3gpuE5ELNS1_3repE0EEENS1_30default_config_static_selectorELNS0_4arch9wavefront6targetE0EEEvSR_
; %bb.0:
	.section	.rodata,"a",@progbits
	.p2align	6, 0x0
	.amdhsa_kernel _ZN7rocprim17ROCPRIM_400000_NS6detail17trampoline_kernelINS0_14default_configENS1_32segmented_reduce_config_selectorIN3c104HalfEEEZNS1_21segmented_reduce_implIS3_PKS6_PS6_PKlS6_N6hipcub16HIPCUB_304000_NS6detail27convert_result_type_wrapperISA_SB_N2at6native12_GLOBAL__N_19CustomSumEEEEE10hipError_tPvRmT0_T1_jT2_SS_T4_T3_P12ihipStream_tbEUlT_E_NS1_11comp_targetILNS1_3genE10ELNS1_11target_archE1201ELNS1_3gpuE5ELNS1_3repE0EEENS1_30default_config_static_selectorELNS0_4arch9wavefront6targetE0EEEvSR_
		.amdhsa_group_segment_fixed_size 0
		.amdhsa_private_segment_fixed_size 0
		.amdhsa_kernarg_size 48
		.amdhsa_user_sgpr_count 15
		.amdhsa_user_sgpr_dispatch_ptr 0
		.amdhsa_user_sgpr_queue_ptr 0
		.amdhsa_user_sgpr_kernarg_segment_ptr 1
		.amdhsa_user_sgpr_dispatch_id 0
		.amdhsa_user_sgpr_private_segment_size 0
		.amdhsa_wavefront_size32 1
		.amdhsa_uses_dynamic_stack 0
		.amdhsa_enable_private_segment 0
		.amdhsa_system_sgpr_workgroup_id_x 1
		.amdhsa_system_sgpr_workgroup_id_y 0
		.amdhsa_system_sgpr_workgroup_id_z 0
		.amdhsa_system_sgpr_workgroup_info 0
		.amdhsa_system_vgpr_workitem_id 0
		.amdhsa_next_free_vgpr 1
		.amdhsa_next_free_sgpr 1
		.amdhsa_reserve_vcc 0
		.amdhsa_float_round_mode_32 0
		.amdhsa_float_round_mode_16_64 0
		.amdhsa_float_denorm_mode_32 3
		.amdhsa_float_denorm_mode_16_64 3
		.amdhsa_dx10_clamp 1
		.amdhsa_ieee_mode 1
		.amdhsa_fp16_overflow 0
		.amdhsa_workgroup_processor_mode 1
		.amdhsa_memory_ordered 1
		.amdhsa_forward_progress 0
		.amdhsa_shared_vgpr_count 0
		.amdhsa_exception_fp_ieee_invalid_op 0
		.amdhsa_exception_fp_denorm_src 0
		.amdhsa_exception_fp_ieee_div_zero 0
		.amdhsa_exception_fp_ieee_overflow 0
		.amdhsa_exception_fp_ieee_underflow 0
		.amdhsa_exception_fp_ieee_inexact 0
		.amdhsa_exception_int_div_zero 0
	.end_amdhsa_kernel
	.section	.text._ZN7rocprim17ROCPRIM_400000_NS6detail17trampoline_kernelINS0_14default_configENS1_32segmented_reduce_config_selectorIN3c104HalfEEEZNS1_21segmented_reduce_implIS3_PKS6_PS6_PKlS6_N6hipcub16HIPCUB_304000_NS6detail27convert_result_type_wrapperISA_SB_N2at6native12_GLOBAL__N_19CustomSumEEEEE10hipError_tPvRmT0_T1_jT2_SS_T4_T3_P12ihipStream_tbEUlT_E_NS1_11comp_targetILNS1_3genE10ELNS1_11target_archE1201ELNS1_3gpuE5ELNS1_3repE0EEENS1_30default_config_static_selectorELNS0_4arch9wavefront6targetE0EEEvSR_,"axG",@progbits,_ZN7rocprim17ROCPRIM_400000_NS6detail17trampoline_kernelINS0_14default_configENS1_32segmented_reduce_config_selectorIN3c104HalfEEEZNS1_21segmented_reduce_implIS3_PKS6_PS6_PKlS6_N6hipcub16HIPCUB_304000_NS6detail27convert_result_type_wrapperISA_SB_N2at6native12_GLOBAL__N_19CustomSumEEEEE10hipError_tPvRmT0_T1_jT2_SS_T4_T3_P12ihipStream_tbEUlT_E_NS1_11comp_targetILNS1_3genE10ELNS1_11target_archE1201ELNS1_3gpuE5ELNS1_3repE0EEENS1_30default_config_static_selectorELNS0_4arch9wavefront6targetE0EEEvSR_,comdat
.Lfunc_end223:
	.size	_ZN7rocprim17ROCPRIM_400000_NS6detail17trampoline_kernelINS0_14default_configENS1_32segmented_reduce_config_selectorIN3c104HalfEEEZNS1_21segmented_reduce_implIS3_PKS6_PS6_PKlS6_N6hipcub16HIPCUB_304000_NS6detail27convert_result_type_wrapperISA_SB_N2at6native12_GLOBAL__N_19CustomSumEEEEE10hipError_tPvRmT0_T1_jT2_SS_T4_T3_P12ihipStream_tbEUlT_E_NS1_11comp_targetILNS1_3genE10ELNS1_11target_archE1201ELNS1_3gpuE5ELNS1_3repE0EEENS1_30default_config_static_selectorELNS0_4arch9wavefront6targetE0EEEvSR_, .Lfunc_end223-_ZN7rocprim17ROCPRIM_400000_NS6detail17trampoline_kernelINS0_14default_configENS1_32segmented_reduce_config_selectorIN3c104HalfEEEZNS1_21segmented_reduce_implIS3_PKS6_PS6_PKlS6_N6hipcub16HIPCUB_304000_NS6detail27convert_result_type_wrapperISA_SB_N2at6native12_GLOBAL__N_19CustomSumEEEEE10hipError_tPvRmT0_T1_jT2_SS_T4_T3_P12ihipStream_tbEUlT_E_NS1_11comp_targetILNS1_3genE10ELNS1_11target_archE1201ELNS1_3gpuE5ELNS1_3repE0EEENS1_30default_config_static_selectorELNS0_4arch9wavefront6targetE0EEEvSR_
                                        ; -- End function
	.section	.AMDGPU.csdata,"",@progbits
; Kernel info:
; codeLenInByte = 0
; NumSgprs: 0
; NumVgprs: 0
; ScratchSize: 0
; MemoryBound: 0
; FloatMode: 240
; IeeeMode: 1
; LDSByteSize: 0 bytes/workgroup (compile time only)
; SGPRBlocks: 0
; VGPRBlocks: 0
; NumSGPRsForWavesPerEU: 1
; NumVGPRsForWavesPerEU: 1
; Occupancy: 16
; WaveLimiterHint : 0
; COMPUTE_PGM_RSRC2:SCRATCH_EN: 0
; COMPUTE_PGM_RSRC2:USER_SGPR: 15
; COMPUTE_PGM_RSRC2:TRAP_HANDLER: 0
; COMPUTE_PGM_RSRC2:TGID_X_EN: 1
; COMPUTE_PGM_RSRC2:TGID_Y_EN: 0
; COMPUTE_PGM_RSRC2:TGID_Z_EN: 0
; COMPUTE_PGM_RSRC2:TIDIG_COMP_CNT: 0
	.section	.text._ZN7rocprim17ROCPRIM_400000_NS6detail17trampoline_kernelINS0_14default_configENS1_32segmented_reduce_config_selectorIN3c104HalfEEEZNS1_21segmented_reduce_implIS3_PKS6_PS6_PKlS6_N6hipcub16HIPCUB_304000_NS6detail27convert_result_type_wrapperISA_SB_N2at6native12_GLOBAL__N_19CustomSumEEEEE10hipError_tPvRmT0_T1_jT2_SS_T4_T3_P12ihipStream_tbEUlT_E_NS1_11comp_targetILNS1_3genE4ELNS1_11target_archE910ELNS1_3gpuE8ELNS1_3repE0EEENS1_30default_config_static_selectorELNS0_4arch9wavefront6targetE0EEEvSR_,"axG",@progbits,_ZN7rocprim17ROCPRIM_400000_NS6detail17trampoline_kernelINS0_14default_configENS1_32segmented_reduce_config_selectorIN3c104HalfEEEZNS1_21segmented_reduce_implIS3_PKS6_PS6_PKlS6_N6hipcub16HIPCUB_304000_NS6detail27convert_result_type_wrapperISA_SB_N2at6native12_GLOBAL__N_19CustomSumEEEEE10hipError_tPvRmT0_T1_jT2_SS_T4_T3_P12ihipStream_tbEUlT_E_NS1_11comp_targetILNS1_3genE4ELNS1_11target_archE910ELNS1_3gpuE8ELNS1_3repE0EEENS1_30default_config_static_selectorELNS0_4arch9wavefront6targetE0EEEvSR_,comdat
	.globl	_ZN7rocprim17ROCPRIM_400000_NS6detail17trampoline_kernelINS0_14default_configENS1_32segmented_reduce_config_selectorIN3c104HalfEEEZNS1_21segmented_reduce_implIS3_PKS6_PS6_PKlS6_N6hipcub16HIPCUB_304000_NS6detail27convert_result_type_wrapperISA_SB_N2at6native12_GLOBAL__N_19CustomSumEEEEE10hipError_tPvRmT0_T1_jT2_SS_T4_T3_P12ihipStream_tbEUlT_E_NS1_11comp_targetILNS1_3genE4ELNS1_11target_archE910ELNS1_3gpuE8ELNS1_3repE0EEENS1_30default_config_static_selectorELNS0_4arch9wavefront6targetE0EEEvSR_ ; -- Begin function _ZN7rocprim17ROCPRIM_400000_NS6detail17trampoline_kernelINS0_14default_configENS1_32segmented_reduce_config_selectorIN3c104HalfEEEZNS1_21segmented_reduce_implIS3_PKS6_PS6_PKlS6_N6hipcub16HIPCUB_304000_NS6detail27convert_result_type_wrapperISA_SB_N2at6native12_GLOBAL__N_19CustomSumEEEEE10hipError_tPvRmT0_T1_jT2_SS_T4_T3_P12ihipStream_tbEUlT_E_NS1_11comp_targetILNS1_3genE4ELNS1_11target_archE910ELNS1_3gpuE8ELNS1_3repE0EEENS1_30default_config_static_selectorELNS0_4arch9wavefront6targetE0EEEvSR_
	.p2align	8
	.type	_ZN7rocprim17ROCPRIM_400000_NS6detail17trampoline_kernelINS0_14default_configENS1_32segmented_reduce_config_selectorIN3c104HalfEEEZNS1_21segmented_reduce_implIS3_PKS6_PS6_PKlS6_N6hipcub16HIPCUB_304000_NS6detail27convert_result_type_wrapperISA_SB_N2at6native12_GLOBAL__N_19CustomSumEEEEE10hipError_tPvRmT0_T1_jT2_SS_T4_T3_P12ihipStream_tbEUlT_E_NS1_11comp_targetILNS1_3genE4ELNS1_11target_archE910ELNS1_3gpuE8ELNS1_3repE0EEENS1_30default_config_static_selectorELNS0_4arch9wavefront6targetE0EEEvSR_,@function
_ZN7rocprim17ROCPRIM_400000_NS6detail17trampoline_kernelINS0_14default_configENS1_32segmented_reduce_config_selectorIN3c104HalfEEEZNS1_21segmented_reduce_implIS3_PKS6_PS6_PKlS6_N6hipcub16HIPCUB_304000_NS6detail27convert_result_type_wrapperISA_SB_N2at6native12_GLOBAL__N_19CustomSumEEEEE10hipError_tPvRmT0_T1_jT2_SS_T4_T3_P12ihipStream_tbEUlT_E_NS1_11comp_targetILNS1_3genE4ELNS1_11target_archE910ELNS1_3gpuE8ELNS1_3repE0EEENS1_30default_config_static_selectorELNS0_4arch9wavefront6targetE0EEEvSR_: ; @_ZN7rocprim17ROCPRIM_400000_NS6detail17trampoline_kernelINS0_14default_configENS1_32segmented_reduce_config_selectorIN3c104HalfEEEZNS1_21segmented_reduce_implIS3_PKS6_PS6_PKlS6_N6hipcub16HIPCUB_304000_NS6detail27convert_result_type_wrapperISA_SB_N2at6native12_GLOBAL__N_19CustomSumEEEEE10hipError_tPvRmT0_T1_jT2_SS_T4_T3_P12ihipStream_tbEUlT_E_NS1_11comp_targetILNS1_3genE4ELNS1_11target_archE910ELNS1_3gpuE8ELNS1_3repE0EEENS1_30default_config_static_selectorELNS0_4arch9wavefront6targetE0EEEvSR_
; %bb.0:
	.section	.rodata,"a",@progbits
	.p2align	6, 0x0
	.amdhsa_kernel _ZN7rocprim17ROCPRIM_400000_NS6detail17trampoline_kernelINS0_14default_configENS1_32segmented_reduce_config_selectorIN3c104HalfEEEZNS1_21segmented_reduce_implIS3_PKS6_PS6_PKlS6_N6hipcub16HIPCUB_304000_NS6detail27convert_result_type_wrapperISA_SB_N2at6native12_GLOBAL__N_19CustomSumEEEEE10hipError_tPvRmT0_T1_jT2_SS_T4_T3_P12ihipStream_tbEUlT_E_NS1_11comp_targetILNS1_3genE4ELNS1_11target_archE910ELNS1_3gpuE8ELNS1_3repE0EEENS1_30default_config_static_selectorELNS0_4arch9wavefront6targetE0EEEvSR_
		.amdhsa_group_segment_fixed_size 0
		.amdhsa_private_segment_fixed_size 0
		.amdhsa_kernarg_size 48
		.amdhsa_user_sgpr_count 15
		.amdhsa_user_sgpr_dispatch_ptr 0
		.amdhsa_user_sgpr_queue_ptr 0
		.amdhsa_user_sgpr_kernarg_segment_ptr 1
		.amdhsa_user_sgpr_dispatch_id 0
		.amdhsa_user_sgpr_private_segment_size 0
		.amdhsa_wavefront_size32 1
		.amdhsa_uses_dynamic_stack 0
		.amdhsa_enable_private_segment 0
		.amdhsa_system_sgpr_workgroup_id_x 1
		.amdhsa_system_sgpr_workgroup_id_y 0
		.amdhsa_system_sgpr_workgroup_id_z 0
		.amdhsa_system_sgpr_workgroup_info 0
		.amdhsa_system_vgpr_workitem_id 0
		.amdhsa_next_free_vgpr 1
		.amdhsa_next_free_sgpr 1
		.amdhsa_reserve_vcc 0
		.amdhsa_float_round_mode_32 0
		.amdhsa_float_round_mode_16_64 0
		.amdhsa_float_denorm_mode_32 3
		.amdhsa_float_denorm_mode_16_64 3
		.amdhsa_dx10_clamp 1
		.amdhsa_ieee_mode 1
		.amdhsa_fp16_overflow 0
		.amdhsa_workgroup_processor_mode 1
		.amdhsa_memory_ordered 1
		.amdhsa_forward_progress 0
		.amdhsa_shared_vgpr_count 0
		.amdhsa_exception_fp_ieee_invalid_op 0
		.amdhsa_exception_fp_denorm_src 0
		.amdhsa_exception_fp_ieee_div_zero 0
		.amdhsa_exception_fp_ieee_overflow 0
		.amdhsa_exception_fp_ieee_underflow 0
		.amdhsa_exception_fp_ieee_inexact 0
		.amdhsa_exception_int_div_zero 0
	.end_amdhsa_kernel
	.section	.text._ZN7rocprim17ROCPRIM_400000_NS6detail17trampoline_kernelINS0_14default_configENS1_32segmented_reduce_config_selectorIN3c104HalfEEEZNS1_21segmented_reduce_implIS3_PKS6_PS6_PKlS6_N6hipcub16HIPCUB_304000_NS6detail27convert_result_type_wrapperISA_SB_N2at6native12_GLOBAL__N_19CustomSumEEEEE10hipError_tPvRmT0_T1_jT2_SS_T4_T3_P12ihipStream_tbEUlT_E_NS1_11comp_targetILNS1_3genE4ELNS1_11target_archE910ELNS1_3gpuE8ELNS1_3repE0EEENS1_30default_config_static_selectorELNS0_4arch9wavefront6targetE0EEEvSR_,"axG",@progbits,_ZN7rocprim17ROCPRIM_400000_NS6detail17trampoline_kernelINS0_14default_configENS1_32segmented_reduce_config_selectorIN3c104HalfEEEZNS1_21segmented_reduce_implIS3_PKS6_PS6_PKlS6_N6hipcub16HIPCUB_304000_NS6detail27convert_result_type_wrapperISA_SB_N2at6native12_GLOBAL__N_19CustomSumEEEEE10hipError_tPvRmT0_T1_jT2_SS_T4_T3_P12ihipStream_tbEUlT_E_NS1_11comp_targetILNS1_3genE4ELNS1_11target_archE910ELNS1_3gpuE8ELNS1_3repE0EEENS1_30default_config_static_selectorELNS0_4arch9wavefront6targetE0EEEvSR_,comdat
.Lfunc_end224:
	.size	_ZN7rocprim17ROCPRIM_400000_NS6detail17trampoline_kernelINS0_14default_configENS1_32segmented_reduce_config_selectorIN3c104HalfEEEZNS1_21segmented_reduce_implIS3_PKS6_PS6_PKlS6_N6hipcub16HIPCUB_304000_NS6detail27convert_result_type_wrapperISA_SB_N2at6native12_GLOBAL__N_19CustomSumEEEEE10hipError_tPvRmT0_T1_jT2_SS_T4_T3_P12ihipStream_tbEUlT_E_NS1_11comp_targetILNS1_3genE4ELNS1_11target_archE910ELNS1_3gpuE8ELNS1_3repE0EEENS1_30default_config_static_selectorELNS0_4arch9wavefront6targetE0EEEvSR_, .Lfunc_end224-_ZN7rocprim17ROCPRIM_400000_NS6detail17trampoline_kernelINS0_14default_configENS1_32segmented_reduce_config_selectorIN3c104HalfEEEZNS1_21segmented_reduce_implIS3_PKS6_PS6_PKlS6_N6hipcub16HIPCUB_304000_NS6detail27convert_result_type_wrapperISA_SB_N2at6native12_GLOBAL__N_19CustomSumEEEEE10hipError_tPvRmT0_T1_jT2_SS_T4_T3_P12ihipStream_tbEUlT_E_NS1_11comp_targetILNS1_3genE4ELNS1_11target_archE910ELNS1_3gpuE8ELNS1_3repE0EEENS1_30default_config_static_selectorELNS0_4arch9wavefront6targetE0EEEvSR_
                                        ; -- End function
	.section	.AMDGPU.csdata,"",@progbits
; Kernel info:
; codeLenInByte = 0
; NumSgprs: 0
; NumVgprs: 0
; ScratchSize: 0
; MemoryBound: 0
; FloatMode: 240
; IeeeMode: 1
; LDSByteSize: 0 bytes/workgroup (compile time only)
; SGPRBlocks: 0
; VGPRBlocks: 0
; NumSGPRsForWavesPerEU: 1
; NumVGPRsForWavesPerEU: 1
; Occupancy: 16
; WaveLimiterHint : 0
; COMPUTE_PGM_RSRC2:SCRATCH_EN: 0
; COMPUTE_PGM_RSRC2:USER_SGPR: 15
; COMPUTE_PGM_RSRC2:TRAP_HANDLER: 0
; COMPUTE_PGM_RSRC2:TGID_X_EN: 1
; COMPUTE_PGM_RSRC2:TGID_Y_EN: 0
; COMPUTE_PGM_RSRC2:TGID_Z_EN: 0
; COMPUTE_PGM_RSRC2:TIDIG_COMP_CNT: 0
	.section	.text._ZN7rocprim17ROCPRIM_400000_NS6detail17trampoline_kernelINS0_14default_configENS1_32segmented_reduce_config_selectorIN3c104HalfEEEZNS1_21segmented_reduce_implIS3_PKS6_PS6_PKlS6_N6hipcub16HIPCUB_304000_NS6detail27convert_result_type_wrapperISA_SB_N2at6native12_GLOBAL__N_19CustomSumEEEEE10hipError_tPvRmT0_T1_jT2_SS_T4_T3_P12ihipStream_tbEUlT_E_NS1_11comp_targetILNS1_3genE3ELNS1_11target_archE908ELNS1_3gpuE7ELNS1_3repE0EEENS1_30default_config_static_selectorELNS0_4arch9wavefront6targetE0EEEvSR_,"axG",@progbits,_ZN7rocprim17ROCPRIM_400000_NS6detail17trampoline_kernelINS0_14default_configENS1_32segmented_reduce_config_selectorIN3c104HalfEEEZNS1_21segmented_reduce_implIS3_PKS6_PS6_PKlS6_N6hipcub16HIPCUB_304000_NS6detail27convert_result_type_wrapperISA_SB_N2at6native12_GLOBAL__N_19CustomSumEEEEE10hipError_tPvRmT0_T1_jT2_SS_T4_T3_P12ihipStream_tbEUlT_E_NS1_11comp_targetILNS1_3genE3ELNS1_11target_archE908ELNS1_3gpuE7ELNS1_3repE0EEENS1_30default_config_static_selectorELNS0_4arch9wavefront6targetE0EEEvSR_,comdat
	.globl	_ZN7rocprim17ROCPRIM_400000_NS6detail17trampoline_kernelINS0_14default_configENS1_32segmented_reduce_config_selectorIN3c104HalfEEEZNS1_21segmented_reduce_implIS3_PKS6_PS6_PKlS6_N6hipcub16HIPCUB_304000_NS6detail27convert_result_type_wrapperISA_SB_N2at6native12_GLOBAL__N_19CustomSumEEEEE10hipError_tPvRmT0_T1_jT2_SS_T4_T3_P12ihipStream_tbEUlT_E_NS1_11comp_targetILNS1_3genE3ELNS1_11target_archE908ELNS1_3gpuE7ELNS1_3repE0EEENS1_30default_config_static_selectorELNS0_4arch9wavefront6targetE0EEEvSR_ ; -- Begin function _ZN7rocprim17ROCPRIM_400000_NS6detail17trampoline_kernelINS0_14default_configENS1_32segmented_reduce_config_selectorIN3c104HalfEEEZNS1_21segmented_reduce_implIS3_PKS6_PS6_PKlS6_N6hipcub16HIPCUB_304000_NS6detail27convert_result_type_wrapperISA_SB_N2at6native12_GLOBAL__N_19CustomSumEEEEE10hipError_tPvRmT0_T1_jT2_SS_T4_T3_P12ihipStream_tbEUlT_E_NS1_11comp_targetILNS1_3genE3ELNS1_11target_archE908ELNS1_3gpuE7ELNS1_3repE0EEENS1_30default_config_static_selectorELNS0_4arch9wavefront6targetE0EEEvSR_
	.p2align	8
	.type	_ZN7rocprim17ROCPRIM_400000_NS6detail17trampoline_kernelINS0_14default_configENS1_32segmented_reduce_config_selectorIN3c104HalfEEEZNS1_21segmented_reduce_implIS3_PKS6_PS6_PKlS6_N6hipcub16HIPCUB_304000_NS6detail27convert_result_type_wrapperISA_SB_N2at6native12_GLOBAL__N_19CustomSumEEEEE10hipError_tPvRmT0_T1_jT2_SS_T4_T3_P12ihipStream_tbEUlT_E_NS1_11comp_targetILNS1_3genE3ELNS1_11target_archE908ELNS1_3gpuE7ELNS1_3repE0EEENS1_30default_config_static_selectorELNS0_4arch9wavefront6targetE0EEEvSR_,@function
_ZN7rocprim17ROCPRIM_400000_NS6detail17trampoline_kernelINS0_14default_configENS1_32segmented_reduce_config_selectorIN3c104HalfEEEZNS1_21segmented_reduce_implIS3_PKS6_PS6_PKlS6_N6hipcub16HIPCUB_304000_NS6detail27convert_result_type_wrapperISA_SB_N2at6native12_GLOBAL__N_19CustomSumEEEEE10hipError_tPvRmT0_T1_jT2_SS_T4_T3_P12ihipStream_tbEUlT_E_NS1_11comp_targetILNS1_3genE3ELNS1_11target_archE908ELNS1_3gpuE7ELNS1_3repE0EEENS1_30default_config_static_selectorELNS0_4arch9wavefront6targetE0EEEvSR_: ; @_ZN7rocprim17ROCPRIM_400000_NS6detail17trampoline_kernelINS0_14default_configENS1_32segmented_reduce_config_selectorIN3c104HalfEEEZNS1_21segmented_reduce_implIS3_PKS6_PS6_PKlS6_N6hipcub16HIPCUB_304000_NS6detail27convert_result_type_wrapperISA_SB_N2at6native12_GLOBAL__N_19CustomSumEEEEE10hipError_tPvRmT0_T1_jT2_SS_T4_T3_P12ihipStream_tbEUlT_E_NS1_11comp_targetILNS1_3genE3ELNS1_11target_archE908ELNS1_3gpuE7ELNS1_3repE0EEENS1_30default_config_static_selectorELNS0_4arch9wavefront6targetE0EEEvSR_
; %bb.0:
	.section	.rodata,"a",@progbits
	.p2align	6, 0x0
	.amdhsa_kernel _ZN7rocprim17ROCPRIM_400000_NS6detail17trampoline_kernelINS0_14default_configENS1_32segmented_reduce_config_selectorIN3c104HalfEEEZNS1_21segmented_reduce_implIS3_PKS6_PS6_PKlS6_N6hipcub16HIPCUB_304000_NS6detail27convert_result_type_wrapperISA_SB_N2at6native12_GLOBAL__N_19CustomSumEEEEE10hipError_tPvRmT0_T1_jT2_SS_T4_T3_P12ihipStream_tbEUlT_E_NS1_11comp_targetILNS1_3genE3ELNS1_11target_archE908ELNS1_3gpuE7ELNS1_3repE0EEENS1_30default_config_static_selectorELNS0_4arch9wavefront6targetE0EEEvSR_
		.amdhsa_group_segment_fixed_size 0
		.amdhsa_private_segment_fixed_size 0
		.amdhsa_kernarg_size 48
		.amdhsa_user_sgpr_count 15
		.amdhsa_user_sgpr_dispatch_ptr 0
		.amdhsa_user_sgpr_queue_ptr 0
		.amdhsa_user_sgpr_kernarg_segment_ptr 1
		.amdhsa_user_sgpr_dispatch_id 0
		.amdhsa_user_sgpr_private_segment_size 0
		.amdhsa_wavefront_size32 1
		.amdhsa_uses_dynamic_stack 0
		.amdhsa_enable_private_segment 0
		.amdhsa_system_sgpr_workgroup_id_x 1
		.amdhsa_system_sgpr_workgroup_id_y 0
		.amdhsa_system_sgpr_workgroup_id_z 0
		.amdhsa_system_sgpr_workgroup_info 0
		.amdhsa_system_vgpr_workitem_id 0
		.amdhsa_next_free_vgpr 1
		.amdhsa_next_free_sgpr 1
		.amdhsa_reserve_vcc 0
		.amdhsa_float_round_mode_32 0
		.amdhsa_float_round_mode_16_64 0
		.amdhsa_float_denorm_mode_32 3
		.amdhsa_float_denorm_mode_16_64 3
		.amdhsa_dx10_clamp 1
		.amdhsa_ieee_mode 1
		.amdhsa_fp16_overflow 0
		.amdhsa_workgroup_processor_mode 1
		.amdhsa_memory_ordered 1
		.amdhsa_forward_progress 0
		.amdhsa_shared_vgpr_count 0
		.amdhsa_exception_fp_ieee_invalid_op 0
		.amdhsa_exception_fp_denorm_src 0
		.amdhsa_exception_fp_ieee_div_zero 0
		.amdhsa_exception_fp_ieee_overflow 0
		.amdhsa_exception_fp_ieee_underflow 0
		.amdhsa_exception_fp_ieee_inexact 0
		.amdhsa_exception_int_div_zero 0
	.end_amdhsa_kernel
	.section	.text._ZN7rocprim17ROCPRIM_400000_NS6detail17trampoline_kernelINS0_14default_configENS1_32segmented_reduce_config_selectorIN3c104HalfEEEZNS1_21segmented_reduce_implIS3_PKS6_PS6_PKlS6_N6hipcub16HIPCUB_304000_NS6detail27convert_result_type_wrapperISA_SB_N2at6native12_GLOBAL__N_19CustomSumEEEEE10hipError_tPvRmT0_T1_jT2_SS_T4_T3_P12ihipStream_tbEUlT_E_NS1_11comp_targetILNS1_3genE3ELNS1_11target_archE908ELNS1_3gpuE7ELNS1_3repE0EEENS1_30default_config_static_selectorELNS0_4arch9wavefront6targetE0EEEvSR_,"axG",@progbits,_ZN7rocprim17ROCPRIM_400000_NS6detail17trampoline_kernelINS0_14default_configENS1_32segmented_reduce_config_selectorIN3c104HalfEEEZNS1_21segmented_reduce_implIS3_PKS6_PS6_PKlS6_N6hipcub16HIPCUB_304000_NS6detail27convert_result_type_wrapperISA_SB_N2at6native12_GLOBAL__N_19CustomSumEEEEE10hipError_tPvRmT0_T1_jT2_SS_T4_T3_P12ihipStream_tbEUlT_E_NS1_11comp_targetILNS1_3genE3ELNS1_11target_archE908ELNS1_3gpuE7ELNS1_3repE0EEENS1_30default_config_static_selectorELNS0_4arch9wavefront6targetE0EEEvSR_,comdat
.Lfunc_end225:
	.size	_ZN7rocprim17ROCPRIM_400000_NS6detail17trampoline_kernelINS0_14default_configENS1_32segmented_reduce_config_selectorIN3c104HalfEEEZNS1_21segmented_reduce_implIS3_PKS6_PS6_PKlS6_N6hipcub16HIPCUB_304000_NS6detail27convert_result_type_wrapperISA_SB_N2at6native12_GLOBAL__N_19CustomSumEEEEE10hipError_tPvRmT0_T1_jT2_SS_T4_T3_P12ihipStream_tbEUlT_E_NS1_11comp_targetILNS1_3genE3ELNS1_11target_archE908ELNS1_3gpuE7ELNS1_3repE0EEENS1_30default_config_static_selectorELNS0_4arch9wavefront6targetE0EEEvSR_, .Lfunc_end225-_ZN7rocprim17ROCPRIM_400000_NS6detail17trampoline_kernelINS0_14default_configENS1_32segmented_reduce_config_selectorIN3c104HalfEEEZNS1_21segmented_reduce_implIS3_PKS6_PS6_PKlS6_N6hipcub16HIPCUB_304000_NS6detail27convert_result_type_wrapperISA_SB_N2at6native12_GLOBAL__N_19CustomSumEEEEE10hipError_tPvRmT0_T1_jT2_SS_T4_T3_P12ihipStream_tbEUlT_E_NS1_11comp_targetILNS1_3genE3ELNS1_11target_archE908ELNS1_3gpuE7ELNS1_3repE0EEENS1_30default_config_static_selectorELNS0_4arch9wavefront6targetE0EEEvSR_
                                        ; -- End function
	.section	.AMDGPU.csdata,"",@progbits
; Kernel info:
; codeLenInByte = 0
; NumSgprs: 0
; NumVgprs: 0
; ScratchSize: 0
; MemoryBound: 0
; FloatMode: 240
; IeeeMode: 1
; LDSByteSize: 0 bytes/workgroup (compile time only)
; SGPRBlocks: 0
; VGPRBlocks: 0
; NumSGPRsForWavesPerEU: 1
; NumVGPRsForWavesPerEU: 1
; Occupancy: 16
; WaveLimiterHint : 0
; COMPUTE_PGM_RSRC2:SCRATCH_EN: 0
; COMPUTE_PGM_RSRC2:USER_SGPR: 15
; COMPUTE_PGM_RSRC2:TRAP_HANDLER: 0
; COMPUTE_PGM_RSRC2:TGID_X_EN: 1
; COMPUTE_PGM_RSRC2:TGID_Y_EN: 0
; COMPUTE_PGM_RSRC2:TGID_Z_EN: 0
; COMPUTE_PGM_RSRC2:TIDIG_COMP_CNT: 0
	.section	.text._ZN7rocprim17ROCPRIM_400000_NS6detail17trampoline_kernelINS0_14default_configENS1_32segmented_reduce_config_selectorIN3c104HalfEEEZNS1_21segmented_reduce_implIS3_PKS6_PS6_PKlS6_N6hipcub16HIPCUB_304000_NS6detail27convert_result_type_wrapperISA_SB_N2at6native12_GLOBAL__N_19CustomSumEEEEE10hipError_tPvRmT0_T1_jT2_SS_T4_T3_P12ihipStream_tbEUlT_E_NS1_11comp_targetILNS1_3genE2ELNS1_11target_archE906ELNS1_3gpuE6ELNS1_3repE0EEENS1_30default_config_static_selectorELNS0_4arch9wavefront6targetE0EEEvSR_,"axG",@progbits,_ZN7rocprim17ROCPRIM_400000_NS6detail17trampoline_kernelINS0_14default_configENS1_32segmented_reduce_config_selectorIN3c104HalfEEEZNS1_21segmented_reduce_implIS3_PKS6_PS6_PKlS6_N6hipcub16HIPCUB_304000_NS6detail27convert_result_type_wrapperISA_SB_N2at6native12_GLOBAL__N_19CustomSumEEEEE10hipError_tPvRmT0_T1_jT2_SS_T4_T3_P12ihipStream_tbEUlT_E_NS1_11comp_targetILNS1_3genE2ELNS1_11target_archE906ELNS1_3gpuE6ELNS1_3repE0EEENS1_30default_config_static_selectorELNS0_4arch9wavefront6targetE0EEEvSR_,comdat
	.globl	_ZN7rocprim17ROCPRIM_400000_NS6detail17trampoline_kernelINS0_14default_configENS1_32segmented_reduce_config_selectorIN3c104HalfEEEZNS1_21segmented_reduce_implIS3_PKS6_PS6_PKlS6_N6hipcub16HIPCUB_304000_NS6detail27convert_result_type_wrapperISA_SB_N2at6native12_GLOBAL__N_19CustomSumEEEEE10hipError_tPvRmT0_T1_jT2_SS_T4_T3_P12ihipStream_tbEUlT_E_NS1_11comp_targetILNS1_3genE2ELNS1_11target_archE906ELNS1_3gpuE6ELNS1_3repE0EEENS1_30default_config_static_selectorELNS0_4arch9wavefront6targetE0EEEvSR_ ; -- Begin function _ZN7rocprim17ROCPRIM_400000_NS6detail17trampoline_kernelINS0_14default_configENS1_32segmented_reduce_config_selectorIN3c104HalfEEEZNS1_21segmented_reduce_implIS3_PKS6_PS6_PKlS6_N6hipcub16HIPCUB_304000_NS6detail27convert_result_type_wrapperISA_SB_N2at6native12_GLOBAL__N_19CustomSumEEEEE10hipError_tPvRmT0_T1_jT2_SS_T4_T3_P12ihipStream_tbEUlT_E_NS1_11comp_targetILNS1_3genE2ELNS1_11target_archE906ELNS1_3gpuE6ELNS1_3repE0EEENS1_30default_config_static_selectorELNS0_4arch9wavefront6targetE0EEEvSR_
	.p2align	8
	.type	_ZN7rocprim17ROCPRIM_400000_NS6detail17trampoline_kernelINS0_14default_configENS1_32segmented_reduce_config_selectorIN3c104HalfEEEZNS1_21segmented_reduce_implIS3_PKS6_PS6_PKlS6_N6hipcub16HIPCUB_304000_NS6detail27convert_result_type_wrapperISA_SB_N2at6native12_GLOBAL__N_19CustomSumEEEEE10hipError_tPvRmT0_T1_jT2_SS_T4_T3_P12ihipStream_tbEUlT_E_NS1_11comp_targetILNS1_3genE2ELNS1_11target_archE906ELNS1_3gpuE6ELNS1_3repE0EEENS1_30default_config_static_selectorELNS0_4arch9wavefront6targetE0EEEvSR_,@function
_ZN7rocprim17ROCPRIM_400000_NS6detail17trampoline_kernelINS0_14default_configENS1_32segmented_reduce_config_selectorIN3c104HalfEEEZNS1_21segmented_reduce_implIS3_PKS6_PS6_PKlS6_N6hipcub16HIPCUB_304000_NS6detail27convert_result_type_wrapperISA_SB_N2at6native12_GLOBAL__N_19CustomSumEEEEE10hipError_tPvRmT0_T1_jT2_SS_T4_T3_P12ihipStream_tbEUlT_E_NS1_11comp_targetILNS1_3genE2ELNS1_11target_archE906ELNS1_3gpuE6ELNS1_3repE0EEENS1_30default_config_static_selectorELNS0_4arch9wavefront6targetE0EEEvSR_: ; @_ZN7rocprim17ROCPRIM_400000_NS6detail17trampoline_kernelINS0_14default_configENS1_32segmented_reduce_config_selectorIN3c104HalfEEEZNS1_21segmented_reduce_implIS3_PKS6_PS6_PKlS6_N6hipcub16HIPCUB_304000_NS6detail27convert_result_type_wrapperISA_SB_N2at6native12_GLOBAL__N_19CustomSumEEEEE10hipError_tPvRmT0_T1_jT2_SS_T4_T3_P12ihipStream_tbEUlT_E_NS1_11comp_targetILNS1_3genE2ELNS1_11target_archE906ELNS1_3gpuE6ELNS1_3repE0EEENS1_30default_config_static_selectorELNS0_4arch9wavefront6targetE0EEEvSR_
; %bb.0:
	.section	.rodata,"a",@progbits
	.p2align	6, 0x0
	.amdhsa_kernel _ZN7rocprim17ROCPRIM_400000_NS6detail17trampoline_kernelINS0_14default_configENS1_32segmented_reduce_config_selectorIN3c104HalfEEEZNS1_21segmented_reduce_implIS3_PKS6_PS6_PKlS6_N6hipcub16HIPCUB_304000_NS6detail27convert_result_type_wrapperISA_SB_N2at6native12_GLOBAL__N_19CustomSumEEEEE10hipError_tPvRmT0_T1_jT2_SS_T4_T3_P12ihipStream_tbEUlT_E_NS1_11comp_targetILNS1_3genE2ELNS1_11target_archE906ELNS1_3gpuE6ELNS1_3repE0EEENS1_30default_config_static_selectorELNS0_4arch9wavefront6targetE0EEEvSR_
		.amdhsa_group_segment_fixed_size 0
		.amdhsa_private_segment_fixed_size 0
		.amdhsa_kernarg_size 48
		.amdhsa_user_sgpr_count 15
		.amdhsa_user_sgpr_dispatch_ptr 0
		.amdhsa_user_sgpr_queue_ptr 0
		.amdhsa_user_sgpr_kernarg_segment_ptr 1
		.amdhsa_user_sgpr_dispatch_id 0
		.amdhsa_user_sgpr_private_segment_size 0
		.amdhsa_wavefront_size32 1
		.amdhsa_uses_dynamic_stack 0
		.amdhsa_enable_private_segment 0
		.amdhsa_system_sgpr_workgroup_id_x 1
		.amdhsa_system_sgpr_workgroup_id_y 0
		.amdhsa_system_sgpr_workgroup_id_z 0
		.amdhsa_system_sgpr_workgroup_info 0
		.amdhsa_system_vgpr_workitem_id 0
		.amdhsa_next_free_vgpr 1
		.amdhsa_next_free_sgpr 1
		.amdhsa_reserve_vcc 0
		.amdhsa_float_round_mode_32 0
		.amdhsa_float_round_mode_16_64 0
		.amdhsa_float_denorm_mode_32 3
		.amdhsa_float_denorm_mode_16_64 3
		.amdhsa_dx10_clamp 1
		.amdhsa_ieee_mode 1
		.amdhsa_fp16_overflow 0
		.amdhsa_workgroup_processor_mode 1
		.amdhsa_memory_ordered 1
		.amdhsa_forward_progress 0
		.amdhsa_shared_vgpr_count 0
		.amdhsa_exception_fp_ieee_invalid_op 0
		.amdhsa_exception_fp_denorm_src 0
		.amdhsa_exception_fp_ieee_div_zero 0
		.amdhsa_exception_fp_ieee_overflow 0
		.amdhsa_exception_fp_ieee_underflow 0
		.amdhsa_exception_fp_ieee_inexact 0
		.amdhsa_exception_int_div_zero 0
	.end_amdhsa_kernel
	.section	.text._ZN7rocprim17ROCPRIM_400000_NS6detail17trampoline_kernelINS0_14default_configENS1_32segmented_reduce_config_selectorIN3c104HalfEEEZNS1_21segmented_reduce_implIS3_PKS6_PS6_PKlS6_N6hipcub16HIPCUB_304000_NS6detail27convert_result_type_wrapperISA_SB_N2at6native12_GLOBAL__N_19CustomSumEEEEE10hipError_tPvRmT0_T1_jT2_SS_T4_T3_P12ihipStream_tbEUlT_E_NS1_11comp_targetILNS1_3genE2ELNS1_11target_archE906ELNS1_3gpuE6ELNS1_3repE0EEENS1_30default_config_static_selectorELNS0_4arch9wavefront6targetE0EEEvSR_,"axG",@progbits,_ZN7rocprim17ROCPRIM_400000_NS6detail17trampoline_kernelINS0_14default_configENS1_32segmented_reduce_config_selectorIN3c104HalfEEEZNS1_21segmented_reduce_implIS3_PKS6_PS6_PKlS6_N6hipcub16HIPCUB_304000_NS6detail27convert_result_type_wrapperISA_SB_N2at6native12_GLOBAL__N_19CustomSumEEEEE10hipError_tPvRmT0_T1_jT2_SS_T4_T3_P12ihipStream_tbEUlT_E_NS1_11comp_targetILNS1_3genE2ELNS1_11target_archE906ELNS1_3gpuE6ELNS1_3repE0EEENS1_30default_config_static_selectorELNS0_4arch9wavefront6targetE0EEEvSR_,comdat
.Lfunc_end226:
	.size	_ZN7rocprim17ROCPRIM_400000_NS6detail17trampoline_kernelINS0_14default_configENS1_32segmented_reduce_config_selectorIN3c104HalfEEEZNS1_21segmented_reduce_implIS3_PKS6_PS6_PKlS6_N6hipcub16HIPCUB_304000_NS6detail27convert_result_type_wrapperISA_SB_N2at6native12_GLOBAL__N_19CustomSumEEEEE10hipError_tPvRmT0_T1_jT2_SS_T4_T3_P12ihipStream_tbEUlT_E_NS1_11comp_targetILNS1_3genE2ELNS1_11target_archE906ELNS1_3gpuE6ELNS1_3repE0EEENS1_30default_config_static_selectorELNS0_4arch9wavefront6targetE0EEEvSR_, .Lfunc_end226-_ZN7rocprim17ROCPRIM_400000_NS6detail17trampoline_kernelINS0_14default_configENS1_32segmented_reduce_config_selectorIN3c104HalfEEEZNS1_21segmented_reduce_implIS3_PKS6_PS6_PKlS6_N6hipcub16HIPCUB_304000_NS6detail27convert_result_type_wrapperISA_SB_N2at6native12_GLOBAL__N_19CustomSumEEEEE10hipError_tPvRmT0_T1_jT2_SS_T4_T3_P12ihipStream_tbEUlT_E_NS1_11comp_targetILNS1_3genE2ELNS1_11target_archE906ELNS1_3gpuE6ELNS1_3repE0EEENS1_30default_config_static_selectorELNS0_4arch9wavefront6targetE0EEEvSR_
                                        ; -- End function
	.section	.AMDGPU.csdata,"",@progbits
; Kernel info:
; codeLenInByte = 0
; NumSgprs: 0
; NumVgprs: 0
; ScratchSize: 0
; MemoryBound: 0
; FloatMode: 240
; IeeeMode: 1
; LDSByteSize: 0 bytes/workgroup (compile time only)
; SGPRBlocks: 0
; VGPRBlocks: 0
; NumSGPRsForWavesPerEU: 1
; NumVGPRsForWavesPerEU: 1
; Occupancy: 16
; WaveLimiterHint : 0
; COMPUTE_PGM_RSRC2:SCRATCH_EN: 0
; COMPUTE_PGM_RSRC2:USER_SGPR: 15
; COMPUTE_PGM_RSRC2:TRAP_HANDLER: 0
; COMPUTE_PGM_RSRC2:TGID_X_EN: 1
; COMPUTE_PGM_RSRC2:TGID_Y_EN: 0
; COMPUTE_PGM_RSRC2:TGID_Z_EN: 0
; COMPUTE_PGM_RSRC2:TIDIG_COMP_CNT: 0
	.section	.text._ZN7rocprim17ROCPRIM_400000_NS6detail17trampoline_kernelINS0_14default_configENS1_32segmented_reduce_config_selectorIN3c104HalfEEEZNS1_21segmented_reduce_implIS3_PKS6_PS6_PKlS6_N6hipcub16HIPCUB_304000_NS6detail27convert_result_type_wrapperISA_SB_N2at6native12_GLOBAL__N_19CustomSumEEEEE10hipError_tPvRmT0_T1_jT2_SS_T4_T3_P12ihipStream_tbEUlT_E_NS1_11comp_targetILNS1_3genE9ELNS1_11target_archE1100ELNS1_3gpuE3ELNS1_3repE0EEENS1_30default_config_static_selectorELNS0_4arch9wavefront6targetE0EEEvSR_,"axG",@progbits,_ZN7rocprim17ROCPRIM_400000_NS6detail17trampoline_kernelINS0_14default_configENS1_32segmented_reduce_config_selectorIN3c104HalfEEEZNS1_21segmented_reduce_implIS3_PKS6_PS6_PKlS6_N6hipcub16HIPCUB_304000_NS6detail27convert_result_type_wrapperISA_SB_N2at6native12_GLOBAL__N_19CustomSumEEEEE10hipError_tPvRmT0_T1_jT2_SS_T4_T3_P12ihipStream_tbEUlT_E_NS1_11comp_targetILNS1_3genE9ELNS1_11target_archE1100ELNS1_3gpuE3ELNS1_3repE0EEENS1_30default_config_static_selectorELNS0_4arch9wavefront6targetE0EEEvSR_,comdat
	.globl	_ZN7rocprim17ROCPRIM_400000_NS6detail17trampoline_kernelINS0_14default_configENS1_32segmented_reduce_config_selectorIN3c104HalfEEEZNS1_21segmented_reduce_implIS3_PKS6_PS6_PKlS6_N6hipcub16HIPCUB_304000_NS6detail27convert_result_type_wrapperISA_SB_N2at6native12_GLOBAL__N_19CustomSumEEEEE10hipError_tPvRmT0_T1_jT2_SS_T4_T3_P12ihipStream_tbEUlT_E_NS1_11comp_targetILNS1_3genE9ELNS1_11target_archE1100ELNS1_3gpuE3ELNS1_3repE0EEENS1_30default_config_static_selectorELNS0_4arch9wavefront6targetE0EEEvSR_ ; -- Begin function _ZN7rocprim17ROCPRIM_400000_NS6detail17trampoline_kernelINS0_14default_configENS1_32segmented_reduce_config_selectorIN3c104HalfEEEZNS1_21segmented_reduce_implIS3_PKS6_PS6_PKlS6_N6hipcub16HIPCUB_304000_NS6detail27convert_result_type_wrapperISA_SB_N2at6native12_GLOBAL__N_19CustomSumEEEEE10hipError_tPvRmT0_T1_jT2_SS_T4_T3_P12ihipStream_tbEUlT_E_NS1_11comp_targetILNS1_3genE9ELNS1_11target_archE1100ELNS1_3gpuE3ELNS1_3repE0EEENS1_30default_config_static_selectorELNS0_4arch9wavefront6targetE0EEEvSR_
	.p2align	8
	.type	_ZN7rocprim17ROCPRIM_400000_NS6detail17trampoline_kernelINS0_14default_configENS1_32segmented_reduce_config_selectorIN3c104HalfEEEZNS1_21segmented_reduce_implIS3_PKS6_PS6_PKlS6_N6hipcub16HIPCUB_304000_NS6detail27convert_result_type_wrapperISA_SB_N2at6native12_GLOBAL__N_19CustomSumEEEEE10hipError_tPvRmT0_T1_jT2_SS_T4_T3_P12ihipStream_tbEUlT_E_NS1_11comp_targetILNS1_3genE9ELNS1_11target_archE1100ELNS1_3gpuE3ELNS1_3repE0EEENS1_30default_config_static_selectorELNS0_4arch9wavefront6targetE0EEEvSR_,@function
_ZN7rocprim17ROCPRIM_400000_NS6detail17trampoline_kernelINS0_14default_configENS1_32segmented_reduce_config_selectorIN3c104HalfEEEZNS1_21segmented_reduce_implIS3_PKS6_PS6_PKlS6_N6hipcub16HIPCUB_304000_NS6detail27convert_result_type_wrapperISA_SB_N2at6native12_GLOBAL__N_19CustomSumEEEEE10hipError_tPvRmT0_T1_jT2_SS_T4_T3_P12ihipStream_tbEUlT_E_NS1_11comp_targetILNS1_3genE9ELNS1_11target_archE1100ELNS1_3gpuE3ELNS1_3repE0EEENS1_30default_config_static_selectorELNS0_4arch9wavefront6targetE0EEEvSR_: ; @_ZN7rocprim17ROCPRIM_400000_NS6detail17trampoline_kernelINS0_14default_configENS1_32segmented_reduce_config_selectorIN3c104HalfEEEZNS1_21segmented_reduce_implIS3_PKS6_PS6_PKlS6_N6hipcub16HIPCUB_304000_NS6detail27convert_result_type_wrapperISA_SB_N2at6native12_GLOBAL__N_19CustomSumEEEEE10hipError_tPvRmT0_T1_jT2_SS_T4_T3_P12ihipStream_tbEUlT_E_NS1_11comp_targetILNS1_3genE9ELNS1_11target_archE1100ELNS1_3gpuE3ELNS1_3repE0EEENS1_30default_config_static_selectorELNS0_4arch9wavefront6targetE0EEEvSR_
; %bb.0:
	s_clause 0x2
	s_load_b256 s[16:23], s[0:1], 0x0
	s_load_b32 s4, s[0:1], 0x28
	s_load_b64 s[0:1], s[0:1], 0x20
	s_mov_b32 s24, s15
	s_mov_b32 s25, 0
	s_waitcnt lgkmcnt(0)
	s_lshl_b64 s[2:3], s[20:21], 1
	s_lshr_b32 s15, s4, 16
	s_add_u32 s26, s18, s2
	s_addc_u32 s27, s19, s3
	s_lshl_b64 s[2:3], s[20:21], 3
	s_delay_alu instid0(SALU_CYCLE_1) | instskip(SKIP_4) | instid1(SALU_CYCLE_1)
	s_add_u32 s4, s22, s2
	s_addc_u32 s5, s23, s3
	s_add_u32 s6, s0, s2
	s_addc_u32 s7, s1, s3
	s_lshl_b64 s[0:1], s[24:25], 3
	s_add_u32 s2, s4, s0
	s_addc_u32 s3, s5, s1
	s_add_u32 s0, s6, s0
	s_addc_u32 s1, s7, s1
	s_load_b64 s[20:21], s[2:3], 0x0
	s_load_b64 s[18:19], s[0:1], 0x0
	s_mov_b32 s1, -1
	s_waitcnt lgkmcnt(0)
	v_cmp_gt_i64_e64 s0, s[18:19], s[20:21]
	s_delay_alu instid0(VALU_DEP_1)
	s_and_b32 vcc_lo, exec_lo, s0
	v_cmp_eq_u32_e64 s0, 0, v0
	s_cbranch_vccnz .LBB227_4
; %bb.1:
	s_delay_alu instid0(VALU_DEP_1)
	s_and_saveexec_b32 s1, s0
	s_cbranch_execz .LBB227_3
; %bb.2:
	s_lshl_b64 s[2:3], s[24:25], 1
	v_dual_mov_b32 v1, 0 :: v_dual_mov_b32 v2, s15
	s_add_u32 s2, s26, s2
	s_addc_u32 s3, s27, s3
	global_store_b16 v1, v2, s[2:3]
.LBB227_3:
	s_or_b32 exec_lo, exec_lo, s1
	s_mov_b32 s1, 0
.LBB227_4:
	s_delay_alu instid0(SALU_CYCLE_1)
	s_and_not1_b32 vcc_lo, exec_lo, s1
	s_cbranch_vccnz .LBB227_71
; %bb.5:
	s_add_u32 s0, s20, 0x1000
	s_addc_u32 s1, s21, 0
	s_delay_alu instid0(SALU_CYCLE_1) | instskip(NEXT) | instid1(VALU_DEP_1)
	v_cmp_le_i64_e64 s2, s[0:1], s[18:19]
	s_and_b32 vcc_lo, exec_lo, s2
	s_cbranch_vccz .LBB227_46
; %bb.6:
	s_lshl_b64 s[2:3], s[20:21], 1
	v_lshlrev_b32_e32 v20, 1, v0
	s_add_u32 s4, s16, s2
	s_addc_u32 s5, s17, s3
	s_clause 0x7
	global_load_u16 v3, v20, s[4:5]
	global_load_u16 v4, v20, s[4:5] offset:512
	global_load_u16 v5, v20, s[4:5] offset:1024
	;; [unrolled: 1-line block ×7, first 2 shown]
	v_add_co_u32 v1, s6, s4, v20
	s_delay_alu instid0(VALU_DEP_1) | instskip(SKIP_1) | instid1(VALU_DEP_2)
	v_add_co_ci_u32_e64 v2, null, s5, 0, s6
	s_add_u32 s4, s20, 0x2000
	v_add_co_u32 v1, vcc_lo, 0x1000, v1
	s_delay_alu instid0(VALU_DEP_2)
	v_add_co_ci_u32_e32 v2, vcc_lo, 0, v2, vcc_lo
	s_clause 0x7
	global_load_u16 v11, v[1:2], off
	global_load_u16 v12, v[1:2], off offset:512
	global_load_u16 v13, v[1:2], off offset:1024
	;; [unrolled: 1-line block ×7, first 2 shown]
	s_addc_u32 s5, s21, 0
	s_delay_alu instid0(SALU_CYCLE_1) | instskip(NEXT) | instid1(VALU_DEP_1)
	v_cmp_ge_i64_e64 s4, s[4:5], s[18:19]
	s_and_b32 vcc_lo, exec_lo, s4
	s_waitcnt vmcnt(14)
	v_add_f16_e32 v1, v3, v4
	s_waitcnt vmcnt(13)
	s_delay_alu instid0(VALU_DEP_1) | instskip(SKIP_1) | instid1(VALU_DEP_1)
	v_add_f16_e32 v1, v1, v5
	s_waitcnt vmcnt(12)
	v_add_f16_e32 v1, v1, v6
	s_waitcnt vmcnt(11)
	s_delay_alu instid0(VALU_DEP_1) | instskip(SKIP_1) | instid1(VALU_DEP_1)
	v_add_f16_e32 v1, v1, v7
	;; [unrolled: 5-line block ×7, first 2 shown]
	s_waitcnt vmcnt(0)
	v_add_f16_e32 v19, v1, v18
	s_cbranch_vccnz .LBB227_9
; %bb.7:
	s_add_u32 s2, s16, s2
	s_addc_u32 s3, s17, s3
	v_add_co_u32 v1, s2, s2, v20
	s_delay_alu instid0(VALU_DEP_1) | instskip(NEXT) | instid1(VALU_DEP_2)
	v_add_co_ci_u32_e64 v2, null, s3, 0, s2
	v_add_co_u32 v1, vcc_lo, 0x2000, v1
	s_delay_alu instid0(VALU_DEP_2)
	v_add_co_ci_u32_e32 v2, vcc_lo, 0, v2, vcc_lo
.LBB227_8:                              ; =>This Inner Loop Header: Depth=1
	s_clause 0x7
	global_load_u16 v3, v[1:2], off
	global_load_u16 v4, v[1:2], off offset:512
	global_load_u16 v5, v[1:2], off offset:1024
	;; [unrolled: 1-line block ×7, first 2 shown]
	v_add_co_u32 v21, vcc_lo, 0x1000, v1
	v_add_co_ci_u32_e32 v22, vcc_lo, 0, v2, vcc_lo
	s_mov_b64 s[2:3], s[0:1]
	v_add_co_u32 v1, vcc_lo, 0x2000, v1
	s_clause 0x7
	global_load_u16 v11, v[21:22], off
	global_load_u16 v12, v[21:22], off offset:512
	global_load_u16 v13, v[21:22], off offset:1024
	;; [unrolled: 1-line block ×7, first 2 shown]
	s_add_u32 s0, s2, 0x1000
	s_addc_u32 s1, s3, 0
	s_add_u32 s2, s2, 0x2000
	s_addc_u32 s3, s3, 0
	v_add_co_ci_u32_e32 v2, vcc_lo, 0, v2, vcc_lo
	v_cmp_lt_i64_e64 s2, s[2:3], s[18:19]
	s_delay_alu instid0(VALU_DEP_1) | instskip(SKIP_3) | instid1(VALU_DEP_1)
	s_and_b32 vcc_lo, exec_lo, s2
	s_waitcnt vmcnt(15)
	v_add_f16_e32 v19, v19, v3
	s_waitcnt vmcnt(14)
	v_add_f16_e32 v19, v19, v4
	s_waitcnt vmcnt(13)
	s_delay_alu instid0(VALU_DEP_1) | instskip(SKIP_1) | instid1(VALU_DEP_1)
	v_add_f16_e32 v19, v19, v5
	s_waitcnt vmcnt(12)
	v_add_f16_e32 v19, v19, v6
	s_waitcnt vmcnt(11)
	s_delay_alu instid0(VALU_DEP_1) | instskip(SKIP_1) | instid1(VALU_DEP_1)
	;; [unrolled: 5-line block ×7, first 2 shown]
	v_add_f16_e32 v19, v19, v17
	s_waitcnt vmcnt(0)
	v_add_f16_e32 v19, v19, v18
	s_cbranch_vccnz .LBB227_8
.LBB227_9:
	s_sub_i32 s14, s18, s0
	s_lshl_b64 s[0:1], s[0:1], 1
	v_cmp_gt_u32_e32 vcc_lo, s14, v0
	s_add_u32 s22, s16, s0
	s_addc_u32 s23, s17, s1
	s_and_saveexec_b32 s0, vcc_lo
	s_cbranch_execz .LBB227_11
; %bb.10:
	global_load_u16 v3, v20, s[22:23]
.LBB227_11:
	s_or_b32 exec_lo, exec_lo, s0
	v_or_b32_e32 v1, 0x100, v0
	s_delay_alu instid0(VALU_DEP_1) | instskip(NEXT) | instid1(VALU_DEP_1)
	v_cmp_gt_u32_e64 s0, s14, v1
	s_and_saveexec_b32 s1, s0
	s_cbranch_execz .LBB227_13
; %bb.12:
	global_load_u16 v4, v20, s[22:23] offset:512
.LBB227_13:
	s_or_b32 exec_lo, exec_lo, s1
	v_or_b32_e32 v1, 0x200, v0
	s_delay_alu instid0(VALU_DEP_1) | instskip(NEXT) | instid1(VALU_DEP_1)
	v_cmp_gt_u32_e64 s1, s14, v1
	s_and_saveexec_b32 s2, s1
	s_cbranch_execz .LBB227_15
; %bb.14:
	global_load_u16 v5, v20, s[22:23] offset:1024
.LBB227_15:
	;; [unrolled: 9-line block ×7, first 2 shown]
	s_or_b32 exec_lo, exec_lo, s7
	v_or_b32_e32 v1, 0x800, v0
	s_delay_alu instid0(VALU_DEP_1) | instskip(NEXT) | instid1(VALU_DEP_1)
	v_cmp_gt_u32_e64 s7, s14, v1
	s_and_saveexec_b32 s8, s7
	s_cbranch_execz .LBB227_27
; %bb.26:
	v_lshlrev_b32_e32 v1, 1, v1
	global_load_u16 v11, v1, s[22:23]
.LBB227_27:
	s_or_b32 exec_lo, exec_lo, s8
	v_or_b32_e32 v1, 0x900, v0
	s_delay_alu instid0(VALU_DEP_1) | instskip(NEXT) | instid1(VALU_DEP_1)
	v_cmp_gt_u32_e64 s8, s14, v1
	s_and_saveexec_b32 s9, s8
	s_cbranch_execz .LBB227_29
; %bb.28:
	v_lshlrev_b32_e32 v1, 1, v1
	global_load_u16 v12, v1, s[22:23]
.LBB227_29:
	;; [unrolled: 10-line block ×8, first 2 shown]
	s_or_b32 exec_lo, exec_lo, s28
	s_waitcnt vmcnt(0)
	v_add_f16_e32 v1, v19, v3
	s_delay_alu instid0(VALU_DEP_1) | instskip(NEXT) | instid1(VALU_DEP_1)
	v_cndmask_b32_e32 v1, v19, v1, vcc_lo
	v_add_f16_e32 v2, v1, v4
	s_delay_alu instid0(VALU_DEP_1) | instskip(SKIP_1) | instid1(VALU_DEP_1)
	v_cndmask_b32_e64 v1, v1, v2, s0
	s_mov_b32 s0, exec_lo
	v_add_f16_e32 v2, v1, v5
	s_delay_alu instid0(VALU_DEP_1) | instskip(NEXT) | instid1(VALU_DEP_1)
	v_cndmask_b32_e64 v1, v1, v2, s1
	v_add_f16_e32 v2, v1, v6
	s_delay_alu instid0(VALU_DEP_1) | instskip(NEXT) | instid1(VALU_DEP_1)
	v_cndmask_b32_e64 v1, v1, v2, s2
	;; [unrolled: 3-line block ×14, first 2 shown]
	v_and_b32_e32 v2, 0xffff, v1
	s_delay_alu instid0(VALU_DEP_1) | instskip(NEXT) | instid1(VALU_DEP_1)
	v_mov_b32_dpp v2, v2 quad_perm:[1,0,3,2] row_mask:0xf bank_mask:0xf
	v_add_f16_e32 v1, v1, v2
	s_delay_alu instid0(VALU_DEP_1) | instskip(NEXT) | instid1(VALU_DEP_1)
	v_and_b32_e32 v2, 0xffff, v1
	v_mov_b32_dpp v2, v2 quad_perm:[2,3,0,1] row_mask:0xf bank_mask:0xf
	s_delay_alu instid0(VALU_DEP_1) | instskip(NEXT) | instid1(VALU_DEP_1)
	v_add_f16_e32 v1, v1, v2
	v_and_b32_e32 v2, 0xffff, v1
	s_delay_alu instid0(VALU_DEP_1) | instskip(NEXT) | instid1(VALU_DEP_1)
	v_mov_b32_dpp v2, v2 row_ror:4 row_mask:0xf bank_mask:0xf
	v_add_f16_e32 v1, v1, v2
	s_delay_alu instid0(VALU_DEP_1) | instskip(NEXT) | instid1(VALU_DEP_1)
	v_and_b32_e32 v2, 0xffff, v1
	v_mov_b32_dpp v2, v2 row_ror:8 row_mask:0xf bank_mask:0xf
	s_delay_alu instid0(VALU_DEP_1) | instskip(NEXT) | instid1(VALU_DEP_1)
	v_add_f16_e32 v1, v1, v2
	v_and_b32_e32 v2, 0xffff, v1
	ds_swizzle_b32 v2, v2 offset:swizzle(BROADCAST,32,15)
	s_waitcnt lgkmcnt(0)
	v_add_f16_e32 v1, v1, v2
	s_delay_alu instid0(VALU_DEP_1) | instskip(SKIP_2) | instid1(VALU_DEP_1)
	v_dual_mov_b32 v2, 0 :: v_dual_and_b32 v1, 0xffff, v1
	ds_bpermute_b32 v3, v2, v1 offset:124
	v_mbcnt_lo_u32_b32 v1, -1, 0
	v_cmpx_eq_u32_e32 0, v1
	s_cbranch_execz .LBB227_43
; %bb.42:
	v_lshrrev_b32_e32 v2, 4, v0
	s_delay_alu instid0(VALU_DEP_1)
	v_and_b32_e32 v2, 14, v2
	s_waitcnt lgkmcnt(0)
	ds_store_b16 v2, v3
.LBB227_43:
	s_or_b32 exec_lo, exec_lo, s0
	s_delay_alu instid0(SALU_CYCLE_1)
	s_mov_b32 s0, exec_lo
	s_waitcnt lgkmcnt(0)
	s_waitcnt_vscnt null, 0x0
	s_barrier
	buffer_gl0_inv
	v_cmpx_gt_u32_e32 32, v0
	s_cbranch_execz .LBB227_45
; %bb.44:
	v_and_b32_e32 v2, 7, v1
	s_delay_alu instid0(VALU_DEP_1) | instskip(SKIP_4) | instid1(VALU_DEP_2)
	v_lshlrev_b32_e32 v3, 1, v2
	v_cmp_ne_u32_e32 vcc_lo, 7, v2
	ds_load_u16 v3, v3
	v_add_co_ci_u32_e32 v4, vcc_lo, 0, v1, vcc_lo
	v_cmp_gt_u32_e32 vcc_lo, 6, v2
	v_lshlrev_b32_e32 v4, 2, v4
	s_waitcnt lgkmcnt(0)
	v_and_b32_e32 v5, 0xffff, v3
	ds_bpermute_b32 v4, v4, v5
	v_cndmask_b32_e64 v5, 0, 1, vcc_lo
	v_cmp_gt_u32_e32 vcc_lo, 4, v2
	s_delay_alu instid0(VALU_DEP_2) | instskip(SKIP_1) | instid1(VALU_DEP_1)
	v_lshlrev_b32_e32 v5, 1, v5
	v_cndmask_b32_e64 v2, 0, 1, vcc_lo
	v_lshlrev_b32_e32 v2, 2, v2
	s_waitcnt lgkmcnt(0)
	v_add_f16_e32 v3, v3, v4
	v_add_lshl_u32 v4, v5, v1, 2
	s_delay_alu instid0(VALU_DEP_3) | instskip(NEXT) | instid1(VALU_DEP_3)
	v_add_lshl_u32 v1, v2, v1, 2
	v_and_b32_e32 v5, 0xffff, v3
	ds_bpermute_b32 v4, v4, v5
	s_waitcnt lgkmcnt(0)
	v_add_f16_e32 v3, v3, v4
	s_delay_alu instid0(VALU_DEP_1)
	v_and_b32_e32 v4, 0xffff, v3
	ds_bpermute_b32 v1, v1, v4
	s_waitcnt lgkmcnt(0)
	v_add_f16_e32 v3, v3, v1
.LBB227_45:
	s_or_b32 exec_lo, exec_lo, s0
	s_branch .LBB227_69
.LBB227_46:
                                        ; implicit-def: $vgpr3
	s_cbranch_execz .LBB227_69
; %bb.47:
	s_sub_i32 s3, s18, s20
	s_mov_b32 s1, exec_lo
                                        ; implicit-def: $vgpr5
	v_cmpx_gt_u32_e64 s3, v0
	s_cbranch_execz .LBB227_53
; %bb.48:
	v_add_co_u32 v1, s0, s20, v0
	s_delay_alu instid0(VALU_DEP_1) | instskip(SKIP_1) | instid1(VALU_DEP_1)
	v_add_co_ci_u32_e64 v2, null, s21, 0, s0
	s_mov_b32 s2, exec_lo
	v_lshlrev_b64 v[3:4], 1, v[1:2]
	s_delay_alu instid0(VALU_DEP_1) | instskip(NEXT) | instid1(VALU_DEP_2)
	v_add_co_u32 v3, vcc_lo, s16, v3
	v_add_co_ci_u32_e32 v4, vcc_lo, s17, v4, vcc_lo
	v_add_co_u32 v1, vcc_lo, 0x100, v1
	v_add_co_ci_u32_e32 v2, vcc_lo, 0, v2, vcc_lo
	global_load_u16 v5, v[3:4], off
	v_cmpx_gt_i64_e64 s[18:19], v[1:2]
	s_cbranch_execz .LBB227_52
; %bb.49:
	v_add_co_u32 v3, vcc_lo, 0x200, v3
	v_add_co_ci_u32_e32 v4, vcc_lo, 0, v4, vcc_lo
	s_mov_b32 s4, 0
.LBB227_50:                             ; =>This Inner Loop Header: Depth=1
	global_load_u16 v6, v[3:4], off
	v_add_co_u32 v1, vcc_lo, 0x100, v1
	v_add_co_ci_u32_e32 v2, vcc_lo, 0, v2, vcc_lo
	v_add_co_u32 v3, s0, 0x200, v3
	s_delay_alu instid0(VALU_DEP_1) | instskip(NEXT) | instid1(VALU_DEP_3)
	v_add_co_ci_u32_e64 v4, s0, 0, v4, s0
	v_cmp_le_i64_e32 vcc_lo, s[18:19], v[1:2]
	s_or_b32 s4, vcc_lo, s4
	s_waitcnt vmcnt(0)
	v_add_f16_e32 v5, v5, v6
	s_and_not1_b32 exec_lo, exec_lo, s4
	s_cbranch_execnz .LBB227_50
; %bb.51:
	s_or_b32 exec_lo, exec_lo, s4
.LBB227_52:
	s_delay_alu instid0(SALU_CYCLE_1)
	s_or_b32 exec_lo, exec_lo, s2
.LBB227_53:
	s_delay_alu instid0(SALU_CYCLE_1)
	s_or_b32 exec_lo, exec_lo, s1
	v_mbcnt_lo_u32_b32 v1, -1, 0
	s_waitcnt vmcnt(0)
	v_and_b32_e32 v2, 0xffff, v5
	s_cmpk_lt_u32 s3, 0x100
	s_cbranch_scc0 .LBB227_63
; %bb.54:
	v_cmp_ne_u32_e32 vcc_lo, 31, v1
	v_and_b32_e32 v7, 0xe0, v0
	v_add_nc_u32_e32 v10, 2, v1
	v_cmp_gt_u32_e64 s0, 24, v1
	v_cmp_gt_u32_e64 s1, 16, v1
	v_add_co_ci_u32_e32 v3, vcc_lo, 0, v1, vcc_lo
	v_cmp_gt_u32_e32 vcc_lo, 30, v1
	s_delay_alu instid0(VALU_DEP_2)
	v_lshlrev_b32_e32 v3, 2, v3
	v_cndmask_b32_e64 v4, 0, 1, vcc_lo
	v_cmp_gt_u32_e32 vcc_lo, 28, v1
	ds_bpermute_b32 v3, v3, v2
	v_lshlrev_b32_e32 v8, 1, v4
	v_sub_nc_u32_e64 v4, s3, v7 clamp
	v_cndmask_b32_e64 v9, 0, 1, vcc_lo
	s_delay_alu instid0(VALU_DEP_3) | instskip(NEXT) | instid1(VALU_DEP_3)
	v_add_lshl_u32 v8, v8, v1, 2
	v_cmp_lt_u32_e32 vcc_lo, v10, v4
	s_delay_alu instid0(VALU_DEP_3) | instskip(NEXT) | instid1(VALU_DEP_1)
	v_lshlrev_b32_e32 v9, 2, v9
	v_add_lshl_u32 v9, v9, v1, 2
	s_waitcnt lgkmcnt(0)
	v_add_f16_e32 v6, v5, v3
	v_add_nc_u32_e32 v3, 1, v1
	s_delay_alu instid0(VALU_DEP_2) | instskip(NEXT) | instid1(VALU_DEP_2)
	v_and_b32_e32 v7, 0xffff, v6
	v_cmp_lt_u32_e64 s2, v3, v4
	s_delay_alu instid0(VALU_DEP_1) | instskip(SKIP_3) | instid1(VALU_DEP_1)
	v_cndmask_b32_e64 v3, v2, v7, s2
	ds_bpermute_b32 v7, v8, v3
	v_cndmask_b32_e64 v8, v5, v6, s2
	s_waitcnt lgkmcnt(0)
	v_add_f16_e32 v7, v7, v8
	s_delay_alu instid0(VALU_DEP_1) | instskip(SKIP_1) | instid1(VALU_DEP_1)
	v_cndmask_b32_e32 v10, v8, v7, vcc_lo
	v_and_b32_e32 v11, 0xffff, v7
	v_cndmask_b32_e32 v3, v3, v11, vcc_lo
	v_cndmask_b32_e64 v11, 0, 1, s0
	ds_bpermute_b32 v9, v9, v3
	s_waitcnt lgkmcnt(0)
	v_add_f16_e32 v8, v9, v10
	v_lshlrev_b32_e32 v9, 3, v11
	v_add_nc_u32_e32 v11, 4, v1
	s_delay_alu instid0(VALU_DEP_3) | instskip(NEXT) | instid1(VALU_DEP_3)
	v_and_b32_e32 v12, 0xffff, v8
	v_add_lshl_u32 v9, v9, v1, 2
	s_delay_alu instid0(VALU_DEP_3) | instskip(SKIP_1) | instid1(VALU_DEP_2)
	v_cmp_lt_u32_e64 s0, v11, v4
	v_cndmask_b32_e64 v11, 0, 1, s1
	v_cndmask_b32_e64 v3, v3, v12, s0
	;; [unrolled: 1-line block ×3, first 2 shown]
	v_add_nc_u32_e32 v12, 8, v1
	s_delay_alu instid0(VALU_DEP_4)
	v_lshlrev_b32_e32 v11, 4, v11
	ds_bpermute_b32 v9, v9, v3
	v_cmp_lt_u32_e64 s1, v12, v4
	v_add_lshl_u32 v11, v11, v1, 2
	s_waitcnt lgkmcnt(0)
	v_add_f16_e32 v9, v9, v10
	s_delay_alu instid0(VALU_DEP_1) | instskip(NEXT) | instid1(VALU_DEP_1)
	v_and_b32_e32 v13, 0xffff, v9
	v_cndmask_b32_e64 v3, v3, v13, s1
	ds_bpermute_b32 v11, v11, v3
	v_mov_b32_e32 v3, v5
	s_and_saveexec_b32 s4, s2
	s_cbranch_execz .LBB227_56
; %bb.55:
	v_cndmask_b32_e32 v3, v6, v7, vcc_lo
	v_cndmask_b32_e64 v6, v10, v9, s1
	v_add_nc_u32_e32 v7, 16, v1
	s_delay_alu instid0(VALU_DEP_3) | instskip(SKIP_1) | instid1(VALU_DEP_3)
	v_cndmask_b32_e64 v3, v3, v8, s0
	s_waitcnt lgkmcnt(0)
	v_add_f16_e32 v6, v11, v6
	s_delay_alu instid0(VALU_DEP_3) | instskip(NEXT) | instid1(VALU_DEP_3)
	v_cmp_lt_u32_e32 vcc_lo, v7, v4
	v_cndmask_b32_e64 v3, v3, v9, s1
	s_delay_alu instid0(VALU_DEP_1)
	v_cndmask_b32_e32 v3, v3, v6, vcc_lo
.LBB227_56:
	s_or_b32 exec_lo, exec_lo, s4
	s_delay_alu instid0(SALU_CYCLE_1)
	s_mov_b32 s0, exec_lo
	v_cmpx_eq_u32_e32 0, v1
	s_cbranch_execz .LBB227_58
; %bb.57:
	v_lshrrev_b32_e32 v4, 4, v0
	s_delay_alu instid0(VALU_DEP_1)
	v_and_b32_e32 v4, 14, v4
	ds_store_b16 v4, v3
.LBB227_58:
	s_or_b32 exec_lo, exec_lo, s0
	s_delay_alu instid0(SALU_CYCLE_1)
	s_mov_b32 s1, exec_lo
	s_waitcnt lgkmcnt(0)
	s_waitcnt_vscnt null, 0x0
	s_barrier
	buffer_gl0_inv
	v_cmpx_gt_u32_e32 8, v0
	s_cbranch_execz .LBB227_62
; %bb.59:
	v_lshlrev_b32_e32 v3, 1, v1
	v_and_b32_e32 v4, 7, v1
	s_add_i32 s3, s3, 31
	s_delay_alu instid0(SALU_CYCLE_1)
	s_lshr_b32 s2, s3, 5
	ds_load_u16 v3, v3
	v_cmp_ne_u32_e32 vcc_lo, 7, v4
	v_add_nc_u32_e32 v9, 1, v4
	v_add_co_ci_u32_e32 v6, vcc_lo, 0, v1, vcc_lo
	v_cmp_gt_u32_e32 vcc_lo, 6, v4
	s_delay_alu instid0(VALU_DEP_3) | instskip(NEXT) | instid1(VALU_DEP_3)
	v_cmp_gt_u32_e64 s0, s2, v9
	v_lshlrev_b32_e32 v6, 2, v6
	v_cndmask_b32_e64 v8, 0, 1, vcc_lo
	v_cmp_gt_u32_e32 vcc_lo, 4, v4
	s_delay_alu instid0(VALU_DEP_2) | instskip(SKIP_2) | instid1(VALU_DEP_2)
	v_lshlrev_b32_e32 v8, 1, v8
	s_waitcnt lgkmcnt(0)
	v_and_b32_e32 v7, 0xffff, v3
	v_add_lshl_u32 v8, v8, v1, 2
	ds_bpermute_b32 v6, v6, v7
	s_waitcnt lgkmcnt(0)
	v_add_f16_e32 v6, v3, v6
	s_delay_alu instid0(VALU_DEP_1) | instskip(NEXT) | instid1(VALU_DEP_1)
	v_and_b32_e32 v10, 0xffff, v6
	v_cndmask_b32_e64 v9, v7, v10, s0
	v_add_nc_u32_e32 v10, 2, v4
	ds_bpermute_b32 v7, v8, v9
	v_cndmask_b32_e64 v8, v3, v6, s0
	s_waitcnt lgkmcnt(0)
	s_delay_alu instid0(VALU_DEP_1) | instskip(SKIP_2) | instid1(VALU_DEP_3)
	v_add_f16_e32 v7, v7, v8
	v_cndmask_b32_e64 v8, 0, 1, vcc_lo
	v_cmp_gt_u32_e32 vcc_lo, s2, v10
	v_and_b32_e32 v11, 0xffff, v7
	s_delay_alu instid0(VALU_DEP_1) | instskip(NEXT) | instid1(VALU_DEP_1)
	v_dual_cndmask_b32 v9, v9, v11 :: v_dual_lshlrev_b32 v8, 2, v8
	v_add_lshl_u32 v8, v8, v1, 2
	ds_bpermute_b32 v8, v8, v9
	s_and_saveexec_b32 s3, s0
	s_cbranch_execz .LBB227_61
; %bb.60:
	v_dual_cndmask_b32 v3, v6, v7 :: v_dual_add_nc_u32 v4, 4, v4
	s_waitcnt lgkmcnt(0)
	s_delay_alu instid0(VALU_DEP_1) | instskip(NEXT) | instid1(VALU_DEP_2)
	v_add_f16_e32 v6, v8, v3
	v_cmp_gt_u32_e32 vcc_lo, s2, v4
	s_delay_alu instid0(VALU_DEP_2)
	v_cndmask_b32_e32 v3, v3, v6, vcc_lo
.LBB227_61:
	s_or_b32 exec_lo, exec_lo, s3
.LBB227_62:
	s_delay_alu instid0(SALU_CYCLE_1)
	s_or_b32 exec_lo, exec_lo, s1
	s_branch .LBB227_69
.LBB227_63:
                                        ; implicit-def: $vgpr3
	s_cbranch_execz .LBB227_69
; %bb.64:
	s_delay_alu instid0(VALU_DEP_1) | instskip(SKIP_1) | instid1(VALU_DEP_1)
	v_mov_b32_dpp v2, v2 quad_perm:[1,0,3,2] row_mask:0xf bank_mask:0xf
	s_mov_b32 s0, exec_lo
	v_add_f16_e32 v2, v5, v2
	s_delay_alu instid0(VALU_DEP_1) | instskip(NEXT) | instid1(VALU_DEP_1)
	v_and_b32_e32 v3, 0xffff, v2
	v_mov_b32_dpp v3, v3 quad_perm:[2,3,0,1] row_mask:0xf bank_mask:0xf
	s_delay_alu instid0(VALU_DEP_1) | instskip(NEXT) | instid1(VALU_DEP_1)
	v_add_f16_e32 v2, v2, v3
	v_and_b32_e32 v3, 0xffff, v2
	s_delay_alu instid0(VALU_DEP_1) | instskip(NEXT) | instid1(VALU_DEP_1)
	v_mov_b32_dpp v3, v3 row_ror:4 row_mask:0xf bank_mask:0xf
	v_add_f16_e32 v2, v2, v3
	s_delay_alu instid0(VALU_DEP_1) | instskip(NEXT) | instid1(VALU_DEP_1)
	v_and_b32_e32 v3, 0xffff, v2
	v_mov_b32_dpp v3, v3 row_ror:8 row_mask:0xf bank_mask:0xf
	s_delay_alu instid0(VALU_DEP_1) | instskip(NEXT) | instid1(VALU_DEP_1)
	v_add_f16_e32 v2, v2, v3
	v_and_b32_e32 v3, 0xffff, v2
	ds_swizzle_b32 v3, v3 offset:swizzle(BROADCAST,32,15)
	s_waitcnt lgkmcnt(0)
	v_add_f16_e32 v2, v2, v3
	s_delay_alu instid0(VALU_DEP_1)
	v_dual_mov_b32 v3, 0 :: v_dual_and_b32 v2, 0xffff, v2
	ds_bpermute_b32 v3, v3, v2 offset:124
	v_cmpx_eq_u32_e32 0, v1
	s_cbranch_execz .LBB227_66
; %bb.65:
	v_lshrrev_b32_e32 v2, 4, v0
	s_delay_alu instid0(VALU_DEP_1)
	v_and_b32_e32 v2, 14, v2
	s_waitcnt lgkmcnt(0)
	ds_store_b16 v2, v3
.LBB227_66:
	s_or_b32 exec_lo, exec_lo, s0
	s_delay_alu instid0(SALU_CYCLE_1)
	s_mov_b32 s0, exec_lo
	s_waitcnt lgkmcnt(0)
	s_waitcnt_vscnt null, 0x0
	s_barrier
	buffer_gl0_inv
	v_cmpx_gt_u32_e32 32, v0
	s_cbranch_execz .LBB227_68
; %bb.67:
	v_and_b32_e32 v2, 7, v1
	s_delay_alu instid0(VALU_DEP_1) | instskip(SKIP_4) | instid1(VALU_DEP_2)
	v_lshlrev_b32_e32 v3, 1, v2
	v_cmp_ne_u32_e32 vcc_lo, 7, v2
	ds_load_u16 v3, v3
	v_add_co_ci_u32_e32 v4, vcc_lo, 0, v1, vcc_lo
	v_cmp_gt_u32_e32 vcc_lo, 6, v2
	v_lshlrev_b32_e32 v4, 2, v4
	s_waitcnt lgkmcnt(0)
	v_and_b32_e32 v5, 0xffff, v3
	ds_bpermute_b32 v4, v4, v5
	v_cndmask_b32_e64 v5, 0, 1, vcc_lo
	v_cmp_gt_u32_e32 vcc_lo, 4, v2
	s_delay_alu instid0(VALU_DEP_2) | instskip(SKIP_1) | instid1(VALU_DEP_1)
	v_lshlrev_b32_e32 v5, 1, v5
	v_cndmask_b32_e64 v2, 0, 1, vcc_lo
	v_lshlrev_b32_e32 v2, 2, v2
	s_waitcnt lgkmcnt(0)
	v_add_f16_e32 v3, v3, v4
	v_add_lshl_u32 v4, v5, v1, 2
	s_delay_alu instid0(VALU_DEP_3) | instskip(NEXT) | instid1(VALU_DEP_3)
	v_add_lshl_u32 v1, v2, v1, 2
	v_and_b32_e32 v5, 0xffff, v3
	ds_bpermute_b32 v4, v4, v5
	s_waitcnt lgkmcnt(0)
	v_add_f16_e32 v3, v3, v4
	s_delay_alu instid0(VALU_DEP_1)
	v_and_b32_e32 v4, 0xffff, v3
	ds_bpermute_b32 v1, v1, v4
	s_waitcnt lgkmcnt(0)
	v_add_f16_e32 v3, v3, v1
.LBB227_68:
	s_or_b32 exec_lo, exec_lo, s0
.LBB227_69:
	s_delay_alu instid0(SALU_CYCLE_1)
	s_mov_b32 s0, exec_lo
	v_cmpx_eq_u32_e32 0, v0
	s_cbranch_execz .LBB227_71
; %bb.70:
	s_lshl_b64 s[0:1], s[24:25], 1
	v_mov_b32_e32 v0, 0
	v_add_f16_e32 v1, s15, v3
	s_add_u32 s0, s26, s0
	s_addc_u32 s1, s27, s1
	global_store_b16 v0, v1, s[0:1]
.LBB227_71:
	s_nop 0
	s_sendmsg sendmsg(MSG_DEALLOC_VGPRS)
	s_endpgm
	.section	.rodata,"a",@progbits
	.p2align	6, 0x0
	.amdhsa_kernel _ZN7rocprim17ROCPRIM_400000_NS6detail17trampoline_kernelINS0_14default_configENS1_32segmented_reduce_config_selectorIN3c104HalfEEEZNS1_21segmented_reduce_implIS3_PKS6_PS6_PKlS6_N6hipcub16HIPCUB_304000_NS6detail27convert_result_type_wrapperISA_SB_N2at6native12_GLOBAL__N_19CustomSumEEEEE10hipError_tPvRmT0_T1_jT2_SS_T4_T3_P12ihipStream_tbEUlT_E_NS1_11comp_targetILNS1_3genE9ELNS1_11target_archE1100ELNS1_3gpuE3ELNS1_3repE0EEENS1_30default_config_static_selectorELNS0_4arch9wavefront6targetE0EEEvSR_
		.amdhsa_group_segment_fixed_size 16
		.amdhsa_private_segment_fixed_size 0
		.amdhsa_kernarg_size 48
		.amdhsa_user_sgpr_count 15
		.amdhsa_user_sgpr_dispatch_ptr 0
		.amdhsa_user_sgpr_queue_ptr 0
		.amdhsa_user_sgpr_kernarg_segment_ptr 1
		.amdhsa_user_sgpr_dispatch_id 0
		.amdhsa_user_sgpr_private_segment_size 0
		.amdhsa_wavefront_size32 1
		.amdhsa_uses_dynamic_stack 0
		.amdhsa_enable_private_segment 0
		.amdhsa_system_sgpr_workgroup_id_x 1
		.amdhsa_system_sgpr_workgroup_id_y 0
		.amdhsa_system_sgpr_workgroup_id_z 0
		.amdhsa_system_sgpr_workgroup_info 0
		.amdhsa_system_vgpr_workitem_id 0
		.amdhsa_next_free_vgpr 23
		.amdhsa_next_free_sgpr 29
		.amdhsa_reserve_vcc 1
		.amdhsa_float_round_mode_32 0
		.amdhsa_float_round_mode_16_64 0
		.amdhsa_float_denorm_mode_32 3
		.amdhsa_float_denorm_mode_16_64 3
		.amdhsa_dx10_clamp 1
		.amdhsa_ieee_mode 1
		.amdhsa_fp16_overflow 0
		.amdhsa_workgroup_processor_mode 1
		.amdhsa_memory_ordered 1
		.amdhsa_forward_progress 0
		.amdhsa_shared_vgpr_count 0
		.amdhsa_exception_fp_ieee_invalid_op 0
		.amdhsa_exception_fp_denorm_src 0
		.amdhsa_exception_fp_ieee_div_zero 0
		.amdhsa_exception_fp_ieee_overflow 0
		.amdhsa_exception_fp_ieee_underflow 0
		.amdhsa_exception_fp_ieee_inexact 0
		.amdhsa_exception_int_div_zero 0
	.end_amdhsa_kernel
	.section	.text._ZN7rocprim17ROCPRIM_400000_NS6detail17trampoline_kernelINS0_14default_configENS1_32segmented_reduce_config_selectorIN3c104HalfEEEZNS1_21segmented_reduce_implIS3_PKS6_PS6_PKlS6_N6hipcub16HIPCUB_304000_NS6detail27convert_result_type_wrapperISA_SB_N2at6native12_GLOBAL__N_19CustomSumEEEEE10hipError_tPvRmT0_T1_jT2_SS_T4_T3_P12ihipStream_tbEUlT_E_NS1_11comp_targetILNS1_3genE9ELNS1_11target_archE1100ELNS1_3gpuE3ELNS1_3repE0EEENS1_30default_config_static_selectorELNS0_4arch9wavefront6targetE0EEEvSR_,"axG",@progbits,_ZN7rocprim17ROCPRIM_400000_NS6detail17trampoline_kernelINS0_14default_configENS1_32segmented_reduce_config_selectorIN3c104HalfEEEZNS1_21segmented_reduce_implIS3_PKS6_PS6_PKlS6_N6hipcub16HIPCUB_304000_NS6detail27convert_result_type_wrapperISA_SB_N2at6native12_GLOBAL__N_19CustomSumEEEEE10hipError_tPvRmT0_T1_jT2_SS_T4_T3_P12ihipStream_tbEUlT_E_NS1_11comp_targetILNS1_3genE9ELNS1_11target_archE1100ELNS1_3gpuE3ELNS1_3repE0EEENS1_30default_config_static_selectorELNS0_4arch9wavefront6targetE0EEEvSR_,comdat
.Lfunc_end227:
	.size	_ZN7rocprim17ROCPRIM_400000_NS6detail17trampoline_kernelINS0_14default_configENS1_32segmented_reduce_config_selectorIN3c104HalfEEEZNS1_21segmented_reduce_implIS3_PKS6_PS6_PKlS6_N6hipcub16HIPCUB_304000_NS6detail27convert_result_type_wrapperISA_SB_N2at6native12_GLOBAL__N_19CustomSumEEEEE10hipError_tPvRmT0_T1_jT2_SS_T4_T3_P12ihipStream_tbEUlT_E_NS1_11comp_targetILNS1_3genE9ELNS1_11target_archE1100ELNS1_3gpuE3ELNS1_3repE0EEENS1_30default_config_static_selectorELNS0_4arch9wavefront6targetE0EEEvSR_, .Lfunc_end227-_ZN7rocprim17ROCPRIM_400000_NS6detail17trampoline_kernelINS0_14default_configENS1_32segmented_reduce_config_selectorIN3c104HalfEEEZNS1_21segmented_reduce_implIS3_PKS6_PS6_PKlS6_N6hipcub16HIPCUB_304000_NS6detail27convert_result_type_wrapperISA_SB_N2at6native12_GLOBAL__N_19CustomSumEEEEE10hipError_tPvRmT0_T1_jT2_SS_T4_T3_P12ihipStream_tbEUlT_E_NS1_11comp_targetILNS1_3genE9ELNS1_11target_archE1100ELNS1_3gpuE3ELNS1_3repE0EEENS1_30default_config_static_selectorELNS0_4arch9wavefront6targetE0EEEvSR_
                                        ; -- End function
	.section	.AMDGPU.csdata,"",@progbits
; Kernel info:
; codeLenInByte = 3868
; NumSgprs: 31
; NumVgprs: 23
; ScratchSize: 0
; MemoryBound: 0
; FloatMode: 240
; IeeeMode: 1
; LDSByteSize: 16 bytes/workgroup (compile time only)
; SGPRBlocks: 3
; VGPRBlocks: 2
; NumSGPRsForWavesPerEU: 31
; NumVGPRsForWavesPerEU: 23
; Occupancy: 16
; WaveLimiterHint : 1
; COMPUTE_PGM_RSRC2:SCRATCH_EN: 0
; COMPUTE_PGM_RSRC2:USER_SGPR: 15
; COMPUTE_PGM_RSRC2:TRAP_HANDLER: 0
; COMPUTE_PGM_RSRC2:TGID_X_EN: 1
; COMPUTE_PGM_RSRC2:TGID_Y_EN: 0
; COMPUTE_PGM_RSRC2:TGID_Z_EN: 0
; COMPUTE_PGM_RSRC2:TIDIG_COMP_CNT: 0
	.section	.text._ZN7rocprim17ROCPRIM_400000_NS6detail17trampoline_kernelINS0_14default_configENS1_32segmented_reduce_config_selectorIN3c104HalfEEEZNS1_21segmented_reduce_implIS3_PKS6_PS6_PKlS6_N6hipcub16HIPCUB_304000_NS6detail27convert_result_type_wrapperISA_SB_N2at6native12_GLOBAL__N_19CustomSumEEEEE10hipError_tPvRmT0_T1_jT2_SS_T4_T3_P12ihipStream_tbEUlT_E_NS1_11comp_targetILNS1_3genE8ELNS1_11target_archE1030ELNS1_3gpuE2ELNS1_3repE0EEENS1_30default_config_static_selectorELNS0_4arch9wavefront6targetE0EEEvSR_,"axG",@progbits,_ZN7rocprim17ROCPRIM_400000_NS6detail17trampoline_kernelINS0_14default_configENS1_32segmented_reduce_config_selectorIN3c104HalfEEEZNS1_21segmented_reduce_implIS3_PKS6_PS6_PKlS6_N6hipcub16HIPCUB_304000_NS6detail27convert_result_type_wrapperISA_SB_N2at6native12_GLOBAL__N_19CustomSumEEEEE10hipError_tPvRmT0_T1_jT2_SS_T4_T3_P12ihipStream_tbEUlT_E_NS1_11comp_targetILNS1_3genE8ELNS1_11target_archE1030ELNS1_3gpuE2ELNS1_3repE0EEENS1_30default_config_static_selectorELNS0_4arch9wavefront6targetE0EEEvSR_,comdat
	.globl	_ZN7rocprim17ROCPRIM_400000_NS6detail17trampoline_kernelINS0_14default_configENS1_32segmented_reduce_config_selectorIN3c104HalfEEEZNS1_21segmented_reduce_implIS3_PKS6_PS6_PKlS6_N6hipcub16HIPCUB_304000_NS6detail27convert_result_type_wrapperISA_SB_N2at6native12_GLOBAL__N_19CustomSumEEEEE10hipError_tPvRmT0_T1_jT2_SS_T4_T3_P12ihipStream_tbEUlT_E_NS1_11comp_targetILNS1_3genE8ELNS1_11target_archE1030ELNS1_3gpuE2ELNS1_3repE0EEENS1_30default_config_static_selectorELNS0_4arch9wavefront6targetE0EEEvSR_ ; -- Begin function _ZN7rocprim17ROCPRIM_400000_NS6detail17trampoline_kernelINS0_14default_configENS1_32segmented_reduce_config_selectorIN3c104HalfEEEZNS1_21segmented_reduce_implIS3_PKS6_PS6_PKlS6_N6hipcub16HIPCUB_304000_NS6detail27convert_result_type_wrapperISA_SB_N2at6native12_GLOBAL__N_19CustomSumEEEEE10hipError_tPvRmT0_T1_jT2_SS_T4_T3_P12ihipStream_tbEUlT_E_NS1_11comp_targetILNS1_3genE8ELNS1_11target_archE1030ELNS1_3gpuE2ELNS1_3repE0EEENS1_30default_config_static_selectorELNS0_4arch9wavefront6targetE0EEEvSR_
	.p2align	8
	.type	_ZN7rocprim17ROCPRIM_400000_NS6detail17trampoline_kernelINS0_14default_configENS1_32segmented_reduce_config_selectorIN3c104HalfEEEZNS1_21segmented_reduce_implIS3_PKS6_PS6_PKlS6_N6hipcub16HIPCUB_304000_NS6detail27convert_result_type_wrapperISA_SB_N2at6native12_GLOBAL__N_19CustomSumEEEEE10hipError_tPvRmT0_T1_jT2_SS_T4_T3_P12ihipStream_tbEUlT_E_NS1_11comp_targetILNS1_3genE8ELNS1_11target_archE1030ELNS1_3gpuE2ELNS1_3repE0EEENS1_30default_config_static_selectorELNS0_4arch9wavefront6targetE0EEEvSR_,@function
_ZN7rocprim17ROCPRIM_400000_NS6detail17trampoline_kernelINS0_14default_configENS1_32segmented_reduce_config_selectorIN3c104HalfEEEZNS1_21segmented_reduce_implIS3_PKS6_PS6_PKlS6_N6hipcub16HIPCUB_304000_NS6detail27convert_result_type_wrapperISA_SB_N2at6native12_GLOBAL__N_19CustomSumEEEEE10hipError_tPvRmT0_T1_jT2_SS_T4_T3_P12ihipStream_tbEUlT_E_NS1_11comp_targetILNS1_3genE8ELNS1_11target_archE1030ELNS1_3gpuE2ELNS1_3repE0EEENS1_30default_config_static_selectorELNS0_4arch9wavefront6targetE0EEEvSR_: ; @_ZN7rocprim17ROCPRIM_400000_NS6detail17trampoline_kernelINS0_14default_configENS1_32segmented_reduce_config_selectorIN3c104HalfEEEZNS1_21segmented_reduce_implIS3_PKS6_PS6_PKlS6_N6hipcub16HIPCUB_304000_NS6detail27convert_result_type_wrapperISA_SB_N2at6native12_GLOBAL__N_19CustomSumEEEEE10hipError_tPvRmT0_T1_jT2_SS_T4_T3_P12ihipStream_tbEUlT_E_NS1_11comp_targetILNS1_3genE8ELNS1_11target_archE1030ELNS1_3gpuE2ELNS1_3repE0EEENS1_30default_config_static_selectorELNS0_4arch9wavefront6targetE0EEEvSR_
; %bb.0:
	.section	.rodata,"a",@progbits
	.p2align	6, 0x0
	.amdhsa_kernel _ZN7rocprim17ROCPRIM_400000_NS6detail17trampoline_kernelINS0_14default_configENS1_32segmented_reduce_config_selectorIN3c104HalfEEEZNS1_21segmented_reduce_implIS3_PKS6_PS6_PKlS6_N6hipcub16HIPCUB_304000_NS6detail27convert_result_type_wrapperISA_SB_N2at6native12_GLOBAL__N_19CustomSumEEEEE10hipError_tPvRmT0_T1_jT2_SS_T4_T3_P12ihipStream_tbEUlT_E_NS1_11comp_targetILNS1_3genE8ELNS1_11target_archE1030ELNS1_3gpuE2ELNS1_3repE0EEENS1_30default_config_static_selectorELNS0_4arch9wavefront6targetE0EEEvSR_
		.amdhsa_group_segment_fixed_size 0
		.amdhsa_private_segment_fixed_size 0
		.amdhsa_kernarg_size 48
		.amdhsa_user_sgpr_count 15
		.amdhsa_user_sgpr_dispatch_ptr 0
		.amdhsa_user_sgpr_queue_ptr 0
		.amdhsa_user_sgpr_kernarg_segment_ptr 1
		.amdhsa_user_sgpr_dispatch_id 0
		.amdhsa_user_sgpr_private_segment_size 0
		.amdhsa_wavefront_size32 1
		.amdhsa_uses_dynamic_stack 0
		.amdhsa_enable_private_segment 0
		.amdhsa_system_sgpr_workgroup_id_x 1
		.amdhsa_system_sgpr_workgroup_id_y 0
		.amdhsa_system_sgpr_workgroup_id_z 0
		.amdhsa_system_sgpr_workgroup_info 0
		.amdhsa_system_vgpr_workitem_id 0
		.amdhsa_next_free_vgpr 1
		.amdhsa_next_free_sgpr 1
		.amdhsa_reserve_vcc 0
		.amdhsa_float_round_mode_32 0
		.amdhsa_float_round_mode_16_64 0
		.amdhsa_float_denorm_mode_32 3
		.amdhsa_float_denorm_mode_16_64 3
		.amdhsa_dx10_clamp 1
		.amdhsa_ieee_mode 1
		.amdhsa_fp16_overflow 0
		.amdhsa_workgroup_processor_mode 1
		.amdhsa_memory_ordered 1
		.amdhsa_forward_progress 0
		.amdhsa_shared_vgpr_count 0
		.amdhsa_exception_fp_ieee_invalid_op 0
		.amdhsa_exception_fp_denorm_src 0
		.amdhsa_exception_fp_ieee_div_zero 0
		.amdhsa_exception_fp_ieee_overflow 0
		.amdhsa_exception_fp_ieee_underflow 0
		.amdhsa_exception_fp_ieee_inexact 0
		.amdhsa_exception_int_div_zero 0
	.end_amdhsa_kernel
	.section	.text._ZN7rocprim17ROCPRIM_400000_NS6detail17trampoline_kernelINS0_14default_configENS1_32segmented_reduce_config_selectorIN3c104HalfEEEZNS1_21segmented_reduce_implIS3_PKS6_PS6_PKlS6_N6hipcub16HIPCUB_304000_NS6detail27convert_result_type_wrapperISA_SB_N2at6native12_GLOBAL__N_19CustomSumEEEEE10hipError_tPvRmT0_T1_jT2_SS_T4_T3_P12ihipStream_tbEUlT_E_NS1_11comp_targetILNS1_3genE8ELNS1_11target_archE1030ELNS1_3gpuE2ELNS1_3repE0EEENS1_30default_config_static_selectorELNS0_4arch9wavefront6targetE0EEEvSR_,"axG",@progbits,_ZN7rocprim17ROCPRIM_400000_NS6detail17trampoline_kernelINS0_14default_configENS1_32segmented_reduce_config_selectorIN3c104HalfEEEZNS1_21segmented_reduce_implIS3_PKS6_PS6_PKlS6_N6hipcub16HIPCUB_304000_NS6detail27convert_result_type_wrapperISA_SB_N2at6native12_GLOBAL__N_19CustomSumEEEEE10hipError_tPvRmT0_T1_jT2_SS_T4_T3_P12ihipStream_tbEUlT_E_NS1_11comp_targetILNS1_3genE8ELNS1_11target_archE1030ELNS1_3gpuE2ELNS1_3repE0EEENS1_30default_config_static_selectorELNS0_4arch9wavefront6targetE0EEEvSR_,comdat
.Lfunc_end228:
	.size	_ZN7rocprim17ROCPRIM_400000_NS6detail17trampoline_kernelINS0_14default_configENS1_32segmented_reduce_config_selectorIN3c104HalfEEEZNS1_21segmented_reduce_implIS3_PKS6_PS6_PKlS6_N6hipcub16HIPCUB_304000_NS6detail27convert_result_type_wrapperISA_SB_N2at6native12_GLOBAL__N_19CustomSumEEEEE10hipError_tPvRmT0_T1_jT2_SS_T4_T3_P12ihipStream_tbEUlT_E_NS1_11comp_targetILNS1_3genE8ELNS1_11target_archE1030ELNS1_3gpuE2ELNS1_3repE0EEENS1_30default_config_static_selectorELNS0_4arch9wavefront6targetE0EEEvSR_, .Lfunc_end228-_ZN7rocprim17ROCPRIM_400000_NS6detail17trampoline_kernelINS0_14default_configENS1_32segmented_reduce_config_selectorIN3c104HalfEEEZNS1_21segmented_reduce_implIS3_PKS6_PS6_PKlS6_N6hipcub16HIPCUB_304000_NS6detail27convert_result_type_wrapperISA_SB_N2at6native12_GLOBAL__N_19CustomSumEEEEE10hipError_tPvRmT0_T1_jT2_SS_T4_T3_P12ihipStream_tbEUlT_E_NS1_11comp_targetILNS1_3genE8ELNS1_11target_archE1030ELNS1_3gpuE2ELNS1_3repE0EEENS1_30default_config_static_selectorELNS0_4arch9wavefront6targetE0EEEvSR_
                                        ; -- End function
	.section	.AMDGPU.csdata,"",@progbits
; Kernel info:
; codeLenInByte = 0
; NumSgprs: 0
; NumVgprs: 0
; ScratchSize: 0
; MemoryBound: 0
; FloatMode: 240
; IeeeMode: 1
; LDSByteSize: 0 bytes/workgroup (compile time only)
; SGPRBlocks: 0
; VGPRBlocks: 0
; NumSGPRsForWavesPerEU: 1
; NumVGPRsForWavesPerEU: 1
; Occupancy: 16
; WaveLimiterHint : 0
; COMPUTE_PGM_RSRC2:SCRATCH_EN: 0
; COMPUTE_PGM_RSRC2:USER_SGPR: 15
; COMPUTE_PGM_RSRC2:TRAP_HANDLER: 0
; COMPUTE_PGM_RSRC2:TGID_X_EN: 1
; COMPUTE_PGM_RSRC2:TGID_Y_EN: 0
; COMPUTE_PGM_RSRC2:TGID_Z_EN: 0
; COMPUTE_PGM_RSRC2:TIDIG_COMP_CNT: 0
	.section	.text._ZN2at6native12_GLOBAL__N_119post_sum_div_kernelIN3c104HalfElEEvPT_PKT0_lbS5_,"axG",@progbits,_ZN2at6native12_GLOBAL__N_119post_sum_div_kernelIN3c104HalfElEEvPT_PKT0_lbS5_,comdat
	.globl	_ZN2at6native12_GLOBAL__N_119post_sum_div_kernelIN3c104HalfElEEvPT_PKT0_lbS5_ ; -- Begin function _ZN2at6native12_GLOBAL__N_119post_sum_div_kernelIN3c104HalfElEEvPT_PKT0_lbS5_
	.p2align	8
	.type	_ZN2at6native12_GLOBAL__N_119post_sum_div_kernelIN3c104HalfElEEvPT_PKT0_lbS5_,@function
_ZN2at6native12_GLOBAL__N_119post_sum_div_kernelIN3c104HalfElEEvPT_PKT0_lbS5_: ; @_ZN2at6native12_GLOBAL__N_119post_sum_div_kernelIN3c104HalfElEEvPT_PKT0_lbS5_
; %bb.0:
	s_clause 0x1
	s_load_b32 s6, s[0:1], 0x2c
	s_load_b64 s[2:3], s[0:1], 0x10
	v_mov_b32_e32 v1, 0
	s_add_u32 s4, s0, 32
	s_addc_u32 s5, s1, 0
	s_waitcnt lgkmcnt(0)
	s_and_b32 s8, s6, 0xffff
	s_mov_b32 s6, exec_lo
	v_mad_u64_u32 v[2:3], null, s8, s15, v[0:1]
	s_delay_alu instid0(VALU_DEP_1)
	v_cmpx_gt_i64_e64 s[2:3], v[2:3]
	s_cbranch_execz .LBB229_15
; %bb.1:
	s_load_b32 s9, s[0:1], 0x18
	s_load_b32 s10, s[4:5], 0x0
	s_load_b128 s[4:7], s[0:1], 0x0
	v_dual_mov_b32 v0, v1 :: v_dual_mov_b32 v1, v2
	v_mov_b32_e32 v8, 0x7e00
	s_mov_b32 s1, 0
                                        ; implicit-def: $sgpr11
                                        ; implicit-def: $sgpr14
                                        ; implicit-def: $sgpr13
	s_waitcnt lgkmcnt(0)
	s_bitcmp1_b32 s9, 0
	s_mul_i32 s8, s10, s8
	s_cselect_b32 s0, -1, 0
	s_lshr_b32 s9, s9, 16
	s_xor_b32 s10, s0, -1
	s_mov_b32 s12, s8
	s_branch .LBB229_4
.LBB229_2:                              ;   in Loop: Header=BB229_4 Depth=1
	s_or_b32 exec_lo, exec_lo, s0
	v_add_co_u32 v2, vcc_lo, v2, s8
	v_add_co_ci_u32_e32 v3, vcc_lo, 0, v3, vcc_lo
	v_add_co_u32 v0, s0, v0, 0
	s_delay_alu instid0(VALU_DEP_1) | instskip(NEXT) | instid1(VALU_DEP_3)
	v_add_co_ci_u32_e64 v1, s0, s12, v1, s0
	v_cmp_le_i64_e32 vcc_lo, s[2:3], v[2:3]
	s_and_not1_b32 s0, s14, exec_lo
	s_and_not1_b32 s13, s13, exec_lo
	s_and_b32 s14, vcc_lo, exec_lo
	s_delay_alu instid0(SALU_CYCLE_1)
	s_or_b32 s14, s0, s14
.LBB229_3:                              ;   in Loop: Header=BB229_4 Depth=1
	s_or_b32 exec_lo, exec_lo, s15
	s_delay_alu instid0(SALU_CYCLE_1) | instskip(NEXT) | instid1(SALU_CYCLE_1)
	s_and_b32 s0, exec_lo, s14
	s_or_b32 s1, s0, s1
	s_and_not1_b32 s0, s11, exec_lo
	s_and_b32 s11, s13, exec_lo
	s_delay_alu instid0(SALU_CYCLE_1)
	s_or_b32 s11, s0, s11
	s_and_not1_b32 exec_lo, exec_lo, s1
	s_cbranch_execz .LBB229_14
.LBB229_4:                              ; =>This Inner Loop Header: Depth=1
	v_ashrrev_i64 v[4:5], 29, v[0:1]
	s_or_b32 s13, s13, exec_lo
	s_or_b32 s14, s14, exec_lo
	s_mov_b32 s15, exec_lo
	s_delay_alu instid0(VALU_DEP_1) | instskip(NEXT) | instid1(VALU_DEP_2)
	v_add_co_u32 v4, vcc_lo, s6, v4
	v_add_co_ci_u32_e32 v5, vcc_lo, s7, v5, vcc_lo
	global_load_b64 v[6:7], v[4:5], off
	s_waitcnt vmcnt(0)
	v_cmpx_lt_i64_e32 -1, v[6:7]
	s_cbranch_execz .LBB229_3
; %bb.5:                                ;   in Loop: Header=BB229_4 Depth=1
	v_ashrrev_i32_e32 v5, 31, v1
	v_mov_b32_e32 v4, v1
	s_delay_alu instid0(VALU_DEP_1) | instskip(NEXT) | instid1(VALU_DEP_1)
	v_lshlrev_b64 v[4:5], 1, v[4:5]
	v_add_co_u32 v4, s0, s4, v4
	s_delay_alu instid0(VALU_DEP_1)
	v_add_co_ci_u32_e64 v5, s0, s5, v5, s0
	s_mov_b32 s0, exec_lo
	v_cmpx_ne_u64_e32 0, v[6:7]
	s_xor_b32 s0, exec_lo, s0
	s_cbranch_execz .LBB229_9
; %bb.6:                                ;   in Loop: Header=BB229_4 Depth=1
	global_load_u16 v9, v[4:5], off
	s_mov_b32 s16, exec_lo
	s_waitcnt vmcnt(0)
	v_cmpx_o_f16_e32 v9, v9
	s_cbranch_execz .LBB229_8
; %bb.7:                                ;   in Loop: Header=BB229_4 Depth=1
	v_clz_i32_u32_e32 v10, v7
	s_delay_alu instid0(VALU_DEP_1) | instskip(NEXT) | instid1(VALU_DEP_1)
	v_min_u32_e32 v10, 32, v10
	v_lshlrev_b64 v[6:7], v10, v[6:7]
	s_delay_alu instid0(VALU_DEP_1) | instskip(NEXT) | instid1(VALU_DEP_1)
	v_min_u32_e32 v6, 1, v6
	v_or_b32_e32 v6, v7, v6
	v_sub_nc_u32_e32 v7, 32, v10
	v_cvt_f32_f16_e32 v10, v9
	s_delay_alu instid0(VALU_DEP_3) | instskip(NEXT) | instid1(VALU_DEP_1)
	v_cvt_f32_u32_e32 v6, v6
	v_ldexp_f32 v6, v6, v7
	s_delay_alu instid0(VALU_DEP_1) | instskip(NEXT) | instid1(VALU_DEP_1)
	v_cvt_f16_f32_e32 v6, v6
	v_cvt_f32_f16_e32 v7, v6
	s_delay_alu instid0(VALU_DEP_1) | instskip(SKIP_2) | instid1(VALU_DEP_1)
	v_rcp_f32_e32 v7, v7
	s_waitcnt_depctr 0xfff
	v_mul_f32_e32 v10, v10, v7
	v_fma_mix_f32 v11, -v6, v10, v9 op_sel_hi:[1,0,1]
	s_delay_alu instid0(VALU_DEP_1) | instskip(NEXT) | instid1(VALU_DEP_1)
	v_fmac_f32_e32 v10, v11, v7
	v_fma_mix_f32 v11, -v6, v10, v9 op_sel_hi:[1,0,1]
	s_delay_alu instid0(VALU_DEP_1) | instskip(NEXT) | instid1(VALU_DEP_1)
	v_mul_f32_e32 v7, v11, v7
	v_and_b32_e32 v7, 0xff800000, v7
	s_delay_alu instid0(VALU_DEP_1) | instskip(NEXT) | instid1(VALU_DEP_1)
	v_add_f32_e32 v7, v7, v10
	v_cvt_f16_f32_e32 v7, v7
	s_delay_alu instid0(VALU_DEP_1)
	v_div_fixup_f16 v6, v7, v6, v9
	global_store_b16 v[4:5], v6, off
.LBB229_8:                              ;   in Loop: Header=BB229_4 Depth=1
	s_or_b32 exec_lo, exec_lo, s16
                                        ; implicit-def: $vgpr4_vgpr5
.LBB229_9:                              ;   in Loop: Header=BB229_4 Depth=1
	s_and_not1_saveexec_b32 s0, s0
	s_cbranch_execz .LBB229_2
; %bb.10:                               ;   in Loop: Header=BB229_4 Depth=1
	s_and_b32 vcc_lo, exec_lo, s10
	s_mov_b32 s16, -1
	s_cbranch_vccz .LBB229_12
; %bb.11:                               ;   in Loop: Header=BB229_4 Depth=1
	s_mov_b32 s16, 0
	global_store_b16 v[4:5], v8, off
.LBB229_12:                             ;   in Loop: Header=BB229_4 Depth=1
	s_and_not1_b32 vcc_lo, exec_lo, s16
	s_cbranch_vccnz .LBB229_2
; %bb.13:                               ;   in Loop: Header=BB229_4 Depth=1
	v_mov_b32_e32 v6, s9
	global_store_b16 v[4:5], v6, off
	s_branch .LBB229_2
.LBB229_14:
	s_or_b32 exec_lo, exec_lo, s1
	s_and_saveexec_b32 s0, s11
	s_delay_alu instid0(SALU_CYCLE_1)
	s_xor_b32 s0, exec_lo, s0
	s_cbranch_execnz .LBB229_16
.LBB229_15:
	s_nop 0
	s_sendmsg sendmsg(MSG_DEALLOC_VGPRS)
	s_endpgm
.LBB229_16:
	s_cbranch_execnz .LBB229_18
; %bb.17:
	; divergent unreachable
	s_nop 0
	s_sendmsg sendmsg(MSG_DEALLOC_VGPRS)
	s_endpgm
.LBB229_18:
	s_trap 2
	s_sendmsg_rtn_b32 s0, sendmsg(MSG_RTN_GET_DOORBELL)
	s_mov_b32 ttmp2, m0
	s_waitcnt lgkmcnt(0)
	s_and_b32 s0, s0, 0x3ff
	s_delay_alu instid0(SALU_CYCLE_1) | instskip(NEXT) | instid1(SALU_CYCLE_1)
	s_bitset1_b32 s0, 10
	s_mov_b32 m0, s0
	s_sendmsg sendmsg(MSG_INTERRUPT)
	s_mov_b32 m0, ttmp2
.LBB229_19:                             ; =>This Inner Loop Header: Depth=1
	s_sethalt 5
	s_branch .LBB229_19
	.section	.rodata,"a",@progbits
	.p2align	6, 0x0
	.amdhsa_kernel _ZN2at6native12_GLOBAL__N_119post_sum_div_kernelIN3c104HalfElEEvPT_PKT0_lbS5_
		.amdhsa_group_segment_fixed_size 0
		.amdhsa_private_segment_fixed_size 0
		.amdhsa_kernarg_size 288
		.amdhsa_user_sgpr_count 15
		.amdhsa_user_sgpr_dispatch_ptr 0
		.amdhsa_user_sgpr_queue_ptr 0
		.amdhsa_user_sgpr_kernarg_segment_ptr 1
		.amdhsa_user_sgpr_dispatch_id 0
		.amdhsa_user_sgpr_private_segment_size 0
		.amdhsa_wavefront_size32 1
		.amdhsa_uses_dynamic_stack 0
		.amdhsa_enable_private_segment 0
		.amdhsa_system_sgpr_workgroup_id_x 1
		.amdhsa_system_sgpr_workgroup_id_y 0
		.amdhsa_system_sgpr_workgroup_id_z 0
		.amdhsa_system_sgpr_workgroup_info 0
		.amdhsa_system_vgpr_workitem_id 0
		.amdhsa_next_free_vgpr 12
		.amdhsa_next_free_sgpr 17
		.amdhsa_reserve_vcc 1
		.amdhsa_float_round_mode_32 0
		.amdhsa_float_round_mode_16_64 0
		.amdhsa_float_denorm_mode_32 3
		.amdhsa_float_denorm_mode_16_64 3
		.amdhsa_dx10_clamp 1
		.amdhsa_ieee_mode 1
		.amdhsa_fp16_overflow 0
		.amdhsa_workgroup_processor_mode 1
		.amdhsa_memory_ordered 1
		.amdhsa_forward_progress 0
		.amdhsa_shared_vgpr_count 0
		.amdhsa_exception_fp_ieee_invalid_op 0
		.amdhsa_exception_fp_denorm_src 0
		.amdhsa_exception_fp_ieee_div_zero 0
		.amdhsa_exception_fp_ieee_overflow 0
		.amdhsa_exception_fp_ieee_underflow 0
		.amdhsa_exception_fp_ieee_inexact 0
		.amdhsa_exception_int_div_zero 0
	.end_amdhsa_kernel
	.section	.text._ZN2at6native12_GLOBAL__N_119post_sum_div_kernelIN3c104HalfElEEvPT_PKT0_lbS5_,"axG",@progbits,_ZN2at6native12_GLOBAL__N_119post_sum_div_kernelIN3c104HalfElEEvPT_PKT0_lbS5_,comdat
.Lfunc_end229:
	.size	_ZN2at6native12_GLOBAL__N_119post_sum_div_kernelIN3c104HalfElEEvPT_PKT0_lbS5_, .Lfunc_end229-_ZN2at6native12_GLOBAL__N_119post_sum_div_kernelIN3c104HalfElEEvPT_PKT0_lbS5_
                                        ; -- End function
	.section	.AMDGPU.csdata,"",@progbits
; Kernel info:
; codeLenInByte = 700
; NumSgprs: 19
; NumVgprs: 12
; ScratchSize: 0
; MemoryBound: 0
; FloatMode: 240
; IeeeMode: 1
; LDSByteSize: 0 bytes/workgroup (compile time only)
; SGPRBlocks: 2
; VGPRBlocks: 1
; NumSGPRsForWavesPerEU: 19
; NumVGPRsForWavesPerEU: 12
; Occupancy: 16
; WaveLimiterHint : 0
; COMPUTE_PGM_RSRC2:SCRATCH_EN: 0
; COMPUTE_PGM_RSRC2:USER_SGPR: 15
; COMPUTE_PGM_RSRC2:TRAP_HANDLER: 0
; COMPUTE_PGM_RSRC2:TGID_X_EN: 1
; COMPUTE_PGM_RSRC2:TGID_Y_EN: 0
; COMPUTE_PGM_RSRC2:TGID_Z_EN: 0
; COMPUTE_PGM_RSRC2:TIDIG_COMP_CNT: 0
	.section	.text._ZN7rocprim17ROCPRIM_400000_NS6detail17trampoline_kernelINS0_14default_configENS1_32segmented_reduce_config_selectorIN3c104HalfEEEZNS1_21segmented_reduce_implIS3_PKS6_PS6_PKlS6_N6hipcub16HIPCUB_304000_NS6detail27convert_result_type_wrapperISA_SB_N2at6native12_GLOBAL__N_19CustomMinEEEEE10hipError_tPvRmT0_T1_jT2_SS_T4_T3_P12ihipStream_tbEUlT_E_NS1_11comp_targetILNS1_3genE0ELNS1_11target_archE4294967295ELNS1_3gpuE0ELNS1_3repE0EEENS1_30default_config_static_selectorELNS0_4arch9wavefront6targetE0EEEvSR_,"axG",@progbits,_ZN7rocprim17ROCPRIM_400000_NS6detail17trampoline_kernelINS0_14default_configENS1_32segmented_reduce_config_selectorIN3c104HalfEEEZNS1_21segmented_reduce_implIS3_PKS6_PS6_PKlS6_N6hipcub16HIPCUB_304000_NS6detail27convert_result_type_wrapperISA_SB_N2at6native12_GLOBAL__N_19CustomMinEEEEE10hipError_tPvRmT0_T1_jT2_SS_T4_T3_P12ihipStream_tbEUlT_E_NS1_11comp_targetILNS1_3genE0ELNS1_11target_archE4294967295ELNS1_3gpuE0ELNS1_3repE0EEENS1_30default_config_static_selectorELNS0_4arch9wavefront6targetE0EEEvSR_,comdat
	.globl	_ZN7rocprim17ROCPRIM_400000_NS6detail17trampoline_kernelINS0_14default_configENS1_32segmented_reduce_config_selectorIN3c104HalfEEEZNS1_21segmented_reduce_implIS3_PKS6_PS6_PKlS6_N6hipcub16HIPCUB_304000_NS6detail27convert_result_type_wrapperISA_SB_N2at6native12_GLOBAL__N_19CustomMinEEEEE10hipError_tPvRmT0_T1_jT2_SS_T4_T3_P12ihipStream_tbEUlT_E_NS1_11comp_targetILNS1_3genE0ELNS1_11target_archE4294967295ELNS1_3gpuE0ELNS1_3repE0EEENS1_30default_config_static_selectorELNS0_4arch9wavefront6targetE0EEEvSR_ ; -- Begin function _ZN7rocprim17ROCPRIM_400000_NS6detail17trampoline_kernelINS0_14default_configENS1_32segmented_reduce_config_selectorIN3c104HalfEEEZNS1_21segmented_reduce_implIS3_PKS6_PS6_PKlS6_N6hipcub16HIPCUB_304000_NS6detail27convert_result_type_wrapperISA_SB_N2at6native12_GLOBAL__N_19CustomMinEEEEE10hipError_tPvRmT0_T1_jT2_SS_T4_T3_P12ihipStream_tbEUlT_E_NS1_11comp_targetILNS1_3genE0ELNS1_11target_archE4294967295ELNS1_3gpuE0ELNS1_3repE0EEENS1_30default_config_static_selectorELNS0_4arch9wavefront6targetE0EEEvSR_
	.p2align	8
	.type	_ZN7rocprim17ROCPRIM_400000_NS6detail17trampoline_kernelINS0_14default_configENS1_32segmented_reduce_config_selectorIN3c104HalfEEEZNS1_21segmented_reduce_implIS3_PKS6_PS6_PKlS6_N6hipcub16HIPCUB_304000_NS6detail27convert_result_type_wrapperISA_SB_N2at6native12_GLOBAL__N_19CustomMinEEEEE10hipError_tPvRmT0_T1_jT2_SS_T4_T3_P12ihipStream_tbEUlT_E_NS1_11comp_targetILNS1_3genE0ELNS1_11target_archE4294967295ELNS1_3gpuE0ELNS1_3repE0EEENS1_30default_config_static_selectorELNS0_4arch9wavefront6targetE0EEEvSR_,@function
_ZN7rocprim17ROCPRIM_400000_NS6detail17trampoline_kernelINS0_14default_configENS1_32segmented_reduce_config_selectorIN3c104HalfEEEZNS1_21segmented_reduce_implIS3_PKS6_PS6_PKlS6_N6hipcub16HIPCUB_304000_NS6detail27convert_result_type_wrapperISA_SB_N2at6native12_GLOBAL__N_19CustomMinEEEEE10hipError_tPvRmT0_T1_jT2_SS_T4_T3_P12ihipStream_tbEUlT_E_NS1_11comp_targetILNS1_3genE0ELNS1_11target_archE4294967295ELNS1_3gpuE0ELNS1_3repE0EEENS1_30default_config_static_selectorELNS0_4arch9wavefront6targetE0EEEvSR_: ; @_ZN7rocprim17ROCPRIM_400000_NS6detail17trampoline_kernelINS0_14default_configENS1_32segmented_reduce_config_selectorIN3c104HalfEEEZNS1_21segmented_reduce_implIS3_PKS6_PS6_PKlS6_N6hipcub16HIPCUB_304000_NS6detail27convert_result_type_wrapperISA_SB_N2at6native12_GLOBAL__N_19CustomMinEEEEE10hipError_tPvRmT0_T1_jT2_SS_T4_T3_P12ihipStream_tbEUlT_E_NS1_11comp_targetILNS1_3genE0ELNS1_11target_archE4294967295ELNS1_3gpuE0ELNS1_3repE0EEENS1_30default_config_static_selectorELNS0_4arch9wavefront6targetE0EEEvSR_
; %bb.0:
	.section	.rodata,"a",@progbits
	.p2align	6, 0x0
	.amdhsa_kernel _ZN7rocprim17ROCPRIM_400000_NS6detail17trampoline_kernelINS0_14default_configENS1_32segmented_reduce_config_selectorIN3c104HalfEEEZNS1_21segmented_reduce_implIS3_PKS6_PS6_PKlS6_N6hipcub16HIPCUB_304000_NS6detail27convert_result_type_wrapperISA_SB_N2at6native12_GLOBAL__N_19CustomMinEEEEE10hipError_tPvRmT0_T1_jT2_SS_T4_T3_P12ihipStream_tbEUlT_E_NS1_11comp_targetILNS1_3genE0ELNS1_11target_archE4294967295ELNS1_3gpuE0ELNS1_3repE0EEENS1_30default_config_static_selectorELNS0_4arch9wavefront6targetE0EEEvSR_
		.amdhsa_group_segment_fixed_size 0
		.amdhsa_private_segment_fixed_size 0
		.amdhsa_kernarg_size 48
		.amdhsa_user_sgpr_count 15
		.amdhsa_user_sgpr_dispatch_ptr 0
		.amdhsa_user_sgpr_queue_ptr 0
		.amdhsa_user_sgpr_kernarg_segment_ptr 1
		.amdhsa_user_sgpr_dispatch_id 0
		.amdhsa_user_sgpr_private_segment_size 0
		.amdhsa_wavefront_size32 1
		.amdhsa_uses_dynamic_stack 0
		.amdhsa_enable_private_segment 0
		.amdhsa_system_sgpr_workgroup_id_x 1
		.amdhsa_system_sgpr_workgroup_id_y 0
		.amdhsa_system_sgpr_workgroup_id_z 0
		.amdhsa_system_sgpr_workgroup_info 0
		.amdhsa_system_vgpr_workitem_id 0
		.amdhsa_next_free_vgpr 1
		.amdhsa_next_free_sgpr 1
		.amdhsa_reserve_vcc 0
		.amdhsa_float_round_mode_32 0
		.amdhsa_float_round_mode_16_64 0
		.amdhsa_float_denorm_mode_32 3
		.amdhsa_float_denorm_mode_16_64 3
		.amdhsa_dx10_clamp 1
		.amdhsa_ieee_mode 1
		.amdhsa_fp16_overflow 0
		.amdhsa_workgroup_processor_mode 1
		.amdhsa_memory_ordered 1
		.amdhsa_forward_progress 0
		.amdhsa_shared_vgpr_count 0
		.amdhsa_exception_fp_ieee_invalid_op 0
		.amdhsa_exception_fp_denorm_src 0
		.amdhsa_exception_fp_ieee_div_zero 0
		.amdhsa_exception_fp_ieee_overflow 0
		.amdhsa_exception_fp_ieee_underflow 0
		.amdhsa_exception_fp_ieee_inexact 0
		.amdhsa_exception_int_div_zero 0
	.end_amdhsa_kernel
	.section	.text._ZN7rocprim17ROCPRIM_400000_NS6detail17trampoline_kernelINS0_14default_configENS1_32segmented_reduce_config_selectorIN3c104HalfEEEZNS1_21segmented_reduce_implIS3_PKS6_PS6_PKlS6_N6hipcub16HIPCUB_304000_NS6detail27convert_result_type_wrapperISA_SB_N2at6native12_GLOBAL__N_19CustomMinEEEEE10hipError_tPvRmT0_T1_jT2_SS_T4_T3_P12ihipStream_tbEUlT_E_NS1_11comp_targetILNS1_3genE0ELNS1_11target_archE4294967295ELNS1_3gpuE0ELNS1_3repE0EEENS1_30default_config_static_selectorELNS0_4arch9wavefront6targetE0EEEvSR_,"axG",@progbits,_ZN7rocprim17ROCPRIM_400000_NS6detail17trampoline_kernelINS0_14default_configENS1_32segmented_reduce_config_selectorIN3c104HalfEEEZNS1_21segmented_reduce_implIS3_PKS6_PS6_PKlS6_N6hipcub16HIPCUB_304000_NS6detail27convert_result_type_wrapperISA_SB_N2at6native12_GLOBAL__N_19CustomMinEEEEE10hipError_tPvRmT0_T1_jT2_SS_T4_T3_P12ihipStream_tbEUlT_E_NS1_11comp_targetILNS1_3genE0ELNS1_11target_archE4294967295ELNS1_3gpuE0ELNS1_3repE0EEENS1_30default_config_static_selectorELNS0_4arch9wavefront6targetE0EEEvSR_,comdat
.Lfunc_end230:
	.size	_ZN7rocprim17ROCPRIM_400000_NS6detail17trampoline_kernelINS0_14default_configENS1_32segmented_reduce_config_selectorIN3c104HalfEEEZNS1_21segmented_reduce_implIS3_PKS6_PS6_PKlS6_N6hipcub16HIPCUB_304000_NS6detail27convert_result_type_wrapperISA_SB_N2at6native12_GLOBAL__N_19CustomMinEEEEE10hipError_tPvRmT0_T1_jT2_SS_T4_T3_P12ihipStream_tbEUlT_E_NS1_11comp_targetILNS1_3genE0ELNS1_11target_archE4294967295ELNS1_3gpuE0ELNS1_3repE0EEENS1_30default_config_static_selectorELNS0_4arch9wavefront6targetE0EEEvSR_, .Lfunc_end230-_ZN7rocprim17ROCPRIM_400000_NS6detail17trampoline_kernelINS0_14default_configENS1_32segmented_reduce_config_selectorIN3c104HalfEEEZNS1_21segmented_reduce_implIS3_PKS6_PS6_PKlS6_N6hipcub16HIPCUB_304000_NS6detail27convert_result_type_wrapperISA_SB_N2at6native12_GLOBAL__N_19CustomMinEEEEE10hipError_tPvRmT0_T1_jT2_SS_T4_T3_P12ihipStream_tbEUlT_E_NS1_11comp_targetILNS1_3genE0ELNS1_11target_archE4294967295ELNS1_3gpuE0ELNS1_3repE0EEENS1_30default_config_static_selectorELNS0_4arch9wavefront6targetE0EEEvSR_
                                        ; -- End function
	.section	.AMDGPU.csdata,"",@progbits
; Kernel info:
; codeLenInByte = 0
; NumSgprs: 0
; NumVgprs: 0
; ScratchSize: 0
; MemoryBound: 0
; FloatMode: 240
; IeeeMode: 1
; LDSByteSize: 0 bytes/workgroup (compile time only)
; SGPRBlocks: 0
; VGPRBlocks: 0
; NumSGPRsForWavesPerEU: 1
; NumVGPRsForWavesPerEU: 1
; Occupancy: 16
; WaveLimiterHint : 0
; COMPUTE_PGM_RSRC2:SCRATCH_EN: 0
; COMPUTE_PGM_RSRC2:USER_SGPR: 15
; COMPUTE_PGM_RSRC2:TRAP_HANDLER: 0
; COMPUTE_PGM_RSRC2:TGID_X_EN: 1
; COMPUTE_PGM_RSRC2:TGID_Y_EN: 0
; COMPUTE_PGM_RSRC2:TGID_Z_EN: 0
; COMPUTE_PGM_RSRC2:TIDIG_COMP_CNT: 0
	.section	.text._ZN7rocprim17ROCPRIM_400000_NS6detail17trampoline_kernelINS0_14default_configENS1_32segmented_reduce_config_selectorIN3c104HalfEEEZNS1_21segmented_reduce_implIS3_PKS6_PS6_PKlS6_N6hipcub16HIPCUB_304000_NS6detail27convert_result_type_wrapperISA_SB_N2at6native12_GLOBAL__N_19CustomMinEEEEE10hipError_tPvRmT0_T1_jT2_SS_T4_T3_P12ihipStream_tbEUlT_E_NS1_11comp_targetILNS1_3genE5ELNS1_11target_archE942ELNS1_3gpuE9ELNS1_3repE0EEENS1_30default_config_static_selectorELNS0_4arch9wavefront6targetE0EEEvSR_,"axG",@progbits,_ZN7rocprim17ROCPRIM_400000_NS6detail17trampoline_kernelINS0_14default_configENS1_32segmented_reduce_config_selectorIN3c104HalfEEEZNS1_21segmented_reduce_implIS3_PKS6_PS6_PKlS6_N6hipcub16HIPCUB_304000_NS6detail27convert_result_type_wrapperISA_SB_N2at6native12_GLOBAL__N_19CustomMinEEEEE10hipError_tPvRmT0_T1_jT2_SS_T4_T3_P12ihipStream_tbEUlT_E_NS1_11comp_targetILNS1_3genE5ELNS1_11target_archE942ELNS1_3gpuE9ELNS1_3repE0EEENS1_30default_config_static_selectorELNS0_4arch9wavefront6targetE0EEEvSR_,comdat
	.globl	_ZN7rocprim17ROCPRIM_400000_NS6detail17trampoline_kernelINS0_14default_configENS1_32segmented_reduce_config_selectorIN3c104HalfEEEZNS1_21segmented_reduce_implIS3_PKS6_PS6_PKlS6_N6hipcub16HIPCUB_304000_NS6detail27convert_result_type_wrapperISA_SB_N2at6native12_GLOBAL__N_19CustomMinEEEEE10hipError_tPvRmT0_T1_jT2_SS_T4_T3_P12ihipStream_tbEUlT_E_NS1_11comp_targetILNS1_3genE5ELNS1_11target_archE942ELNS1_3gpuE9ELNS1_3repE0EEENS1_30default_config_static_selectorELNS0_4arch9wavefront6targetE0EEEvSR_ ; -- Begin function _ZN7rocprim17ROCPRIM_400000_NS6detail17trampoline_kernelINS0_14default_configENS1_32segmented_reduce_config_selectorIN3c104HalfEEEZNS1_21segmented_reduce_implIS3_PKS6_PS6_PKlS6_N6hipcub16HIPCUB_304000_NS6detail27convert_result_type_wrapperISA_SB_N2at6native12_GLOBAL__N_19CustomMinEEEEE10hipError_tPvRmT0_T1_jT2_SS_T4_T3_P12ihipStream_tbEUlT_E_NS1_11comp_targetILNS1_3genE5ELNS1_11target_archE942ELNS1_3gpuE9ELNS1_3repE0EEENS1_30default_config_static_selectorELNS0_4arch9wavefront6targetE0EEEvSR_
	.p2align	8
	.type	_ZN7rocprim17ROCPRIM_400000_NS6detail17trampoline_kernelINS0_14default_configENS1_32segmented_reduce_config_selectorIN3c104HalfEEEZNS1_21segmented_reduce_implIS3_PKS6_PS6_PKlS6_N6hipcub16HIPCUB_304000_NS6detail27convert_result_type_wrapperISA_SB_N2at6native12_GLOBAL__N_19CustomMinEEEEE10hipError_tPvRmT0_T1_jT2_SS_T4_T3_P12ihipStream_tbEUlT_E_NS1_11comp_targetILNS1_3genE5ELNS1_11target_archE942ELNS1_3gpuE9ELNS1_3repE0EEENS1_30default_config_static_selectorELNS0_4arch9wavefront6targetE0EEEvSR_,@function
_ZN7rocprim17ROCPRIM_400000_NS6detail17trampoline_kernelINS0_14default_configENS1_32segmented_reduce_config_selectorIN3c104HalfEEEZNS1_21segmented_reduce_implIS3_PKS6_PS6_PKlS6_N6hipcub16HIPCUB_304000_NS6detail27convert_result_type_wrapperISA_SB_N2at6native12_GLOBAL__N_19CustomMinEEEEE10hipError_tPvRmT0_T1_jT2_SS_T4_T3_P12ihipStream_tbEUlT_E_NS1_11comp_targetILNS1_3genE5ELNS1_11target_archE942ELNS1_3gpuE9ELNS1_3repE0EEENS1_30default_config_static_selectorELNS0_4arch9wavefront6targetE0EEEvSR_: ; @_ZN7rocprim17ROCPRIM_400000_NS6detail17trampoline_kernelINS0_14default_configENS1_32segmented_reduce_config_selectorIN3c104HalfEEEZNS1_21segmented_reduce_implIS3_PKS6_PS6_PKlS6_N6hipcub16HIPCUB_304000_NS6detail27convert_result_type_wrapperISA_SB_N2at6native12_GLOBAL__N_19CustomMinEEEEE10hipError_tPvRmT0_T1_jT2_SS_T4_T3_P12ihipStream_tbEUlT_E_NS1_11comp_targetILNS1_3genE5ELNS1_11target_archE942ELNS1_3gpuE9ELNS1_3repE0EEENS1_30default_config_static_selectorELNS0_4arch9wavefront6targetE0EEEvSR_
; %bb.0:
	.section	.rodata,"a",@progbits
	.p2align	6, 0x0
	.amdhsa_kernel _ZN7rocprim17ROCPRIM_400000_NS6detail17trampoline_kernelINS0_14default_configENS1_32segmented_reduce_config_selectorIN3c104HalfEEEZNS1_21segmented_reduce_implIS3_PKS6_PS6_PKlS6_N6hipcub16HIPCUB_304000_NS6detail27convert_result_type_wrapperISA_SB_N2at6native12_GLOBAL__N_19CustomMinEEEEE10hipError_tPvRmT0_T1_jT2_SS_T4_T3_P12ihipStream_tbEUlT_E_NS1_11comp_targetILNS1_3genE5ELNS1_11target_archE942ELNS1_3gpuE9ELNS1_3repE0EEENS1_30default_config_static_selectorELNS0_4arch9wavefront6targetE0EEEvSR_
		.amdhsa_group_segment_fixed_size 0
		.amdhsa_private_segment_fixed_size 0
		.amdhsa_kernarg_size 48
		.amdhsa_user_sgpr_count 15
		.amdhsa_user_sgpr_dispatch_ptr 0
		.amdhsa_user_sgpr_queue_ptr 0
		.amdhsa_user_sgpr_kernarg_segment_ptr 1
		.amdhsa_user_sgpr_dispatch_id 0
		.amdhsa_user_sgpr_private_segment_size 0
		.amdhsa_wavefront_size32 1
		.amdhsa_uses_dynamic_stack 0
		.amdhsa_enable_private_segment 0
		.amdhsa_system_sgpr_workgroup_id_x 1
		.amdhsa_system_sgpr_workgroup_id_y 0
		.amdhsa_system_sgpr_workgroup_id_z 0
		.amdhsa_system_sgpr_workgroup_info 0
		.amdhsa_system_vgpr_workitem_id 0
		.amdhsa_next_free_vgpr 1
		.amdhsa_next_free_sgpr 1
		.amdhsa_reserve_vcc 0
		.amdhsa_float_round_mode_32 0
		.amdhsa_float_round_mode_16_64 0
		.amdhsa_float_denorm_mode_32 3
		.amdhsa_float_denorm_mode_16_64 3
		.amdhsa_dx10_clamp 1
		.amdhsa_ieee_mode 1
		.amdhsa_fp16_overflow 0
		.amdhsa_workgroup_processor_mode 1
		.amdhsa_memory_ordered 1
		.amdhsa_forward_progress 0
		.amdhsa_shared_vgpr_count 0
		.amdhsa_exception_fp_ieee_invalid_op 0
		.amdhsa_exception_fp_denorm_src 0
		.amdhsa_exception_fp_ieee_div_zero 0
		.amdhsa_exception_fp_ieee_overflow 0
		.amdhsa_exception_fp_ieee_underflow 0
		.amdhsa_exception_fp_ieee_inexact 0
		.amdhsa_exception_int_div_zero 0
	.end_amdhsa_kernel
	.section	.text._ZN7rocprim17ROCPRIM_400000_NS6detail17trampoline_kernelINS0_14default_configENS1_32segmented_reduce_config_selectorIN3c104HalfEEEZNS1_21segmented_reduce_implIS3_PKS6_PS6_PKlS6_N6hipcub16HIPCUB_304000_NS6detail27convert_result_type_wrapperISA_SB_N2at6native12_GLOBAL__N_19CustomMinEEEEE10hipError_tPvRmT0_T1_jT2_SS_T4_T3_P12ihipStream_tbEUlT_E_NS1_11comp_targetILNS1_3genE5ELNS1_11target_archE942ELNS1_3gpuE9ELNS1_3repE0EEENS1_30default_config_static_selectorELNS0_4arch9wavefront6targetE0EEEvSR_,"axG",@progbits,_ZN7rocprim17ROCPRIM_400000_NS6detail17trampoline_kernelINS0_14default_configENS1_32segmented_reduce_config_selectorIN3c104HalfEEEZNS1_21segmented_reduce_implIS3_PKS6_PS6_PKlS6_N6hipcub16HIPCUB_304000_NS6detail27convert_result_type_wrapperISA_SB_N2at6native12_GLOBAL__N_19CustomMinEEEEE10hipError_tPvRmT0_T1_jT2_SS_T4_T3_P12ihipStream_tbEUlT_E_NS1_11comp_targetILNS1_3genE5ELNS1_11target_archE942ELNS1_3gpuE9ELNS1_3repE0EEENS1_30default_config_static_selectorELNS0_4arch9wavefront6targetE0EEEvSR_,comdat
.Lfunc_end231:
	.size	_ZN7rocprim17ROCPRIM_400000_NS6detail17trampoline_kernelINS0_14default_configENS1_32segmented_reduce_config_selectorIN3c104HalfEEEZNS1_21segmented_reduce_implIS3_PKS6_PS6_PKlS6_N6hipcub16HIPCUB_304000_NS6detail27convert_result_type_wrapperISA_SB_N2at6native12_GLOBAL__N_19CustomMinEEEEE10hipError_tPvRmT0_T1_jT2_SS_T4_T3_P12ihipStream_tbEUlT_E_NS1_11comp_targetILNS1_3genE5ELNS1_11target_archE942ELNS1_3gpuE9ELNS1_3repE0EEENS1_30default_config_static_selectorELNS0_4arch9wavefront6targetE0EEEvSR_, .Lfunc_end231-_ZN7rocprim17ROCPRIM_400000_NS6detail17trampoline_kernelINS0_14default_configENS1_32segmented_reduce_config_selectorIN3c104HalfEEEZNS1_21segmented_reduce_implIS3_PKS6_PS6_PKlS6_N6hipcub16HIPCUB_304000_NS6detail27convert_result_type_wrapperISA_SB_N2at6native12_GLOBAL__N_19CustomMinEEEEE10hipError_tPvRmT0_T1_jT2_SS_T4_T3_P12ihipStream_tbEUlT_E_NS1_11comp_targetILNS1_3genE5ELNS1_11target_archE942ELNS1_3gpuE9ELNS1_3repE0EEENS1_30default_config_static_selectorELNS0_4arch9wavefront6targetE0EEEvSR_
                                        ; -- End function
	.section	.AMDGPU.csdata,"",@progbits
; Kernel info:
; codeLenInByte = 0
; NumSgprs: 0
; NumVgprs: 0
; ScratchSize: 0
; MemoryBound: 0
; FloatMode: 240
; IeeeMode: 1
; LDSByteSize: 0 bytes/workgroup (compile time only)
; SGPRBlocks: 0
; VGPRBlocks: 0
; NumSGPRsForWavesPerEU: 1
; NumVGPRsForWavesPerEU: 1
; Occupancy: 16
; WaveLimiterHint : 0
; COMPUTE_PGM_RSRC2:SCRATCH_EN: 0
; COMPUTE_PGM_RSRC2:USER_SGPR: 15
; COMPUTE_PGM_RSRC2:TRAP_HANDLER: 0
; COMPUTE_PGM_RSRC2:TGID_X_EN: 1
; COMPUTE_PGM_RSRC2:TGID_Y_EN: 0
; COMPUTE_PGM_RSRC2:TGID_Z_EN: 0
; COMPUTE_PGM_RSRC2:TIDIG_COMP_CNT: 0
	.section	.text._ZN7rocprim17ROCPRIM_400000_NS6detail17trampoline_kernelINS0_14default_configENS1_32segmented_reduce_config_selectorIN3c104HalfEEEZNS1_21segmented_reduce_implIS3_PKS6_PS6_PKlS6_N6hipcub16HIPCUB_304000_NS6detail27convert_result_type_wrapperISA_SB_N2at6native12_GLOBAL__N_19CustomMinEEEEE10hipError_tPvRmT0_T1_jT2_SS_T4_T3_P12ihipStream_tbEUlT_E_NS1_11comp_targetILNS1_3genE10ELNS1_11target_archE1201ELNS1_3gpuE5ELNS1_3repE0EEENS1_30default_config_static_selectorELNS0_4arch9wavefront6targetE0EEEvSR_,"axG",@progbits,_ZN7rocprim17ROCPRIM_400000_NS6detail17trampoline_kernelINS0_14default_configENS1_32segmented_reduce_config_selectorIN3c104HalfEEEZNS1_21segmented_reduce_implIS3_PKS6_PS6_PKlS6_N6hipcub16HIPCUB_304000_NS6detail27convert_result_type_wrapperISA_SB_N2at6native12_GLOBAL__N_19CustomMinEEEEE10hipError_tPvRmT0_T1_jT2_SS_T4_T3_P12ihipStream_tbEUlT_E_NS1_11comp_targetILNS1_3genE10ELNS1_11target_archE1201ELNS1_3gpuE5ELNS1_3repE0EEENS1_30default_config_static_selectorELNS0_4arch9wavefront6targetE0EEEvSR_,comdat
	.globl	_ZN7rocprim17ROCPRIM_400000_NS6detail17trampoline_kernelINS0_14default_configENS1_32segmented_reduce_config_selectorIN3c104HalfEEEZNS1_21segmented_reduce_implIS3_PKS6_PS6_PKlS6_N6hipcub16HIPCUB_304000_NS6detail27convert_result_type_wrapperISA_SB_N2at6native12_GLOBAL__N_19CustomMinEEEEE10hipError_tPvRmT0_T1_jT2_SS_T4_T3_P12ihipStream_tbEUlT_E_NS1_11comp_targetILNS1_3genE10ELNS1_11target_archE1201ELNS1_3gpuE5ELNS1_3repE0EEENS1_30default_config_static_selectorELNS0_4arch9wavefront6targetE0EEEvSR_ ; -- Begin function _ZN7rocprim17ROCPRIM_400000_NS6detail17trampoline_kernelINS0_14default_configENS1_32segmented_reduce_config_selectorIN3c104HalfEEEZNS1_21segmented_reduce_implIS3_PKS6_PS6_PKlS6_N6hipcub16HIPCUB_304000_NS6detail27convert_result_type_wrapperISA_SB_N2at6native12_GLOBAL__N_19CustomMinEEEEE10hipError_tPvRmT0_T1_jT2_SS_T4_T3_P12ihipStream_tbEUlT_E_NS1_11comp_targetILNS1_3genE10ELNS1_11target_archE1201ELNS1_3gpuE5ELNS1_3repE0EEENS1_30default_config_static_selectorELNS0_4arch9wavefront6targetE0EEEvSR_
	.p2align	8
	.type	_ZN7rocprim17ROCPRIM_400000_NS6detail17trampoline_kernelINS0_14default_configENS1_32segmented_reduce_config_selectorIN3c104HalfEEEZNS1_21segmented_reduce_implIS3_PKS6_PS6_PKlS6_N6hipcub16HIPCUB_304000_NS6detail27convert_result_type_wrapperISA_SB_N2at6native12_GLOBAL__N_19CustomMinEEEEE10hipError_tPvRmT0_T1_jT2_SS_T4_T3_P12ihipStream_tbEUlT_E_NS1_11comp_targetILNS1_3genE10ELNS1_11target_archE1201ELNS1_3gpuE5ELNS1_3repE0EEENS1_30default_config_static_selectorELNS0_4arch9wavefront6targetE0EEEvSR_,@function
_ZN7rocprim17ROCPRIM_400000_NS6detail17trampoline_kernelINS0_14default_configENS1_32segmented_reduce_config_selectorIN3c104HalfEEEZNS1_21segmented_reduce_implIS3_PKS6_PS6_PKlS6_N6hipcub16HIPCUB_304000_NS6detail27convert_result_type_wrapperISA_SB_N2at6native12_GLOBAL__N_19CustomMinEEEEE10hipError_tPvRmT0_T1_jT2_SS_T4_T3_P12ihipStream_tbEUlT_E_NS1_11comp_targetILNS1_3genE10ELNS1_11target_archE1201ELNS1_3gpuE5ELNS1_3repE0EEENS1_30default_config_static_selectorELNS0_4arch9wavefront6targetE0EEEvSR_: ; @_ZN7rocprim17ROCPRIM_400000_NS6detail17trampoline_kernelINS0_14default_configENS1_32segmented_reduce_config_selectorIN3c104HalfEEEZNS1_21segmented_reduce_implIS3_PKS6_PS6_PKlS6_N6hipcub16HIPCUB_304000_NS6detail27convert_result_type_wrapperISA_SB_N2at6native12_GLOBAL__N_19CustomMinEEEEE10hipError_tPvRmT0_T1_jT2_SS_T4_T3_P12ihipStream_tbEUlT_E_NS1_11comp_targetILNS1_3genE10ELNS1_11target_archE1201ELNS1_3gpuE5ELNS1_3repE0EEENS1_30default_config_static_selectorELNS0_4arch9wavefront6targetE0EEEvSR_
; %bb.0:
	.section	.rodata,"a",@progbits
	.p2align	6, 0x0
	.amdhsa_kernel _ZN7rocprim17ROCPRIM_400000_NS6detail17trampoline_kernelINS0_14default_configENS1_32segmented_reduce_config_selectorIN3c104HalfEEEZNS1_21segmented_reduce_implIS3_PKS6_PS6_PKlS6_N6hipcub16HIPCUB_304000_NS6detail27convert_result_type_wrapperISA_SB_N2at6native12_GLOBAL__N_19CustomMinEEEEE10hipError_tPvRmT0_T1_jT2_SS_T4_T3_P12ihipStream_tbEUlT_E_NS1_11comp_targetILNS1_3genE10ELNS1_11target_archE1201ELNS1_3gpuE5ELNS1_3repE0EEENS1_30default_config_static_selectorELNS0_4arch9wavefront6targetE0EEEvSR_
		.amdhsa_group_segment_fixed_size 0
		.amdhsa_private_segment_fixed_size 0
		.amdhsa_kernarg_size 48
		.amdhsa_user_sgpr_count 15
		.amdhsa_user_sgpr_dispatch_ptr 0
		.amdhsa_user_sgpr_queue_ptr 0
		.amdhsa_user_sgpr_kernarg_segment_ptr 1
		.amdhsa_user_sgpr_dispatch_id 0
		.amdhsa_user_sgpr_private_segment_size 0
		.amdhsa_wavefront_size32 1
		.amdhsa_uses_dynamic_stack 0
		.amdhsa_enable_private_segment 0
		.amdhsa_system_sgpr_workgroup_id_x 1
		.amdhsa_system_sgpr_workgroup_id_y 0
		.amdhsa_system_sgpr_workgroup_id_z 0
		.amdhsa_system_sgpr_workgroup_info 0
		.amdhsa_system_vgpr_workitem_id 0
		.amdhsa_next_free_vgpr 1
		.amdhsa_next_free_sgpr 1
		.amdhsa_reserve_vcc 0
		.amdhsa_float_round_mode_32 0
		.amdhsa_float_round_mode_16_64 0
		.amdhsa_float_denorm_mode_32 3
		.amdhsa_float_denorm_mode_16_64 3
		.amdhsa_dx10_clamp 1
		.amdhsa_ieee_mode 1
		.amdhsa_fp16_overflow 0
		.amdhsa_workgroup_processor_mode 1
		.amdhsa_memory_ordered 1
		.amdhsa_forward_progress 0
		.amdhsa_shared_vgpr_count 0
		.amdhsa_exception_fp_ieee_invalid_op 0
		.amdhsa_exception_fp_denorm_src 0
		.amdhsa_exception_fp_ieee_div_zero 0
		.amdhsa_exception_fp_ieee_overflow 0
		.amdhsa_exception_fp_ieee_underflow 0
		.amdhsa_exception_fp_ieee_inexact 0
		.amdhsa_exception_int_div_zero 0
	.end_amdhsa_kernel
	.section	.text._ZN7rocprim17ROCPRIM_400000_NS6detail17trampoline_kernelINS0_14default_configENS1_32segmented_reduce_config_selectorIN3c104HalfEEEZNS1_21segmented_reduce_implIS3_PKS6_PS6_PKlS6_N6hipcub16HIPCUB_304000_NS6detail27convert_result_type_wrapperISA_SB_N2at6native12_GLOBAL__N_19CustomMinEEEEE10hipError_tPvRmT0_T1_jT2_SS_T4_T3_P12ihipStream_tbEUlT_E_NS1_11comp_targetILNS1_3genE10ELNS1_11target_archE1201ELNS1_3gpuE5ELNS1_3repE0EEENS1_30default_config_static_selectorELNS0_4arch9wavefront6targetE0EEEvSR_,"axG",@progbits,_ZN7rocprim17ROCPRIM_400000_NS6detail17trampoline_kernelINS0_14default_configENS1_32segmented_reduce_config_selectorIN3c104HalfEEEZNS1_21segmented_reduce_implIS3_PKS6_PS6_PKlS6_N6hipcub16HIPCUB_304000_NS6detail27convert_result_type_wrapperISA_SB_N2at6native12_GLOBAL__N_19CustomMinEEEEE10hipError_tPvRmT0_T1_jT2_SS_T4_T3_P12ihipStream_tbEUlT_E_NS1_11comp_targetILNS1_3genE10ELNS1_11target_archE1201ELNS1_3gpuE5ELNS1_3repE0EEENS1_30default_config_static_selectorELNS0_4arch9wavefront6targetE0EEEvSR_,comdat
.Lfunc_end232:
	.size	_ZN7rocprim17ROCPRIM_400000_NS6detail17trampoline_kernelINS0_14default_configENS1_32segmented_reduce_config_selectorIN3c104HalfEEEZNS1_21segmented_reduce_implIS3_PKS6_PS6_PKlS6_N6hipcub16HIPCUB_304000_NS6detail27convert_result_type_wrapperISA_SB_N2at6native12_GLOBAL__N_19CustomMinEEEEE10hipError_tPvRmT0_T1_jT2_SS_T4_T3_P12ihipStream_tbEUlT_E_NS1_11comp_targetILNS1_3genE10ELNS1_11target_archE1201ELNS1_3gpuE5ELNS1_3repE0EEENS1_30default_config_static_selectorELNS0_4arch9wavefront6targetE0EEEvSR_, .Lfunc_end232-_ZN7rocprim17ROCPRIM_400000_NS6detail17trampoline_kernelINS0_14default_configENS1_32segmented_reduce_config_selectorIN3c104HalfEEEZNS1_21segmented_reduce_implIS3_PKS6_PS6_PKlS6_N6hipcub16HIPCUB_304000_NS6detail27convert_result_type_wrapperISA_SB_N2at6native12_GLOBAL__N_19CustomMinEEEEE10hipError_tPvRmT0_T1_jT2_SS_T4_T3_P12ihipStream_tbEUlT_E_NS1_11comp_targetILNS1_3genE10ELNS1_11target_archE1201ELNS1_3gpuE5ELNS1_3repE0EEENS1_30default_config_static_selectorELNS0_4arch9wavefront6targetE0EEEvSR_
                                        ; -- End function
	.section	.AMDGPU.csdata,"",@progbits
; Kernel info:
; codeLenInByte = 0
; NumSgprs: 0
; NumVgprs: 0
; ScratchSize: 0
; MemoryBound: 0
; FloatMode: 240
; IeeeMode: 1
; LDSByteSize: 0 bytes/workgroup (compile time only)
; SGPRBlocks: 0
; VGPRBlocks: 0
; NumSGPRsForWavesPerEU: 1
; NumVGPRsForWavesPerEU: 1
; Occupancy: 16
; WaveLimiterHint : 0
; COMPUTE_PGM_RSRC2:SCRATCH_EN: 0
; COMPUTE_PGM_RSRC2:USER_SGPR: 15
; COMPUTE_PGM_RSRC2:TRAP_HANDLER: 0
; COMPUTE_PGM_RSRC2:TGID_X_EN: 1
; COMPUTE_PGM_RSRC2:TGID_Y_EN: 0
; COMPUTE_PGM_RSRC2:TGID_Z_EN: 0
; COMPUTE_PGM_RSRC2:TIDIG_COMP_CNT: 0
	.section	.text._ZN7rocprim17ROCPRIM_400000_NS6detail17trampoline_kernelINS0_14default_configENS1_32segmented_reduce_config_selectorIN3c104HalfEEEZNS1_21segmented_reduce_implIS3_PKS6_PS6_PKlS6_N6hipcub16HIPCUB_304000_NS6detail27convert_result_type_wrapperISA_SB_N2at6native12_GLOBAL__N_19CustomMinEEEEE10hipError_tPvRmT0_T1_jT2_SS_T4_T3_P12ihipStream_tbEUlT_E_NS1_11comp_targetILNS1_3genE4ELNS1_11target_archE910ELNS1_3gpuE8ELNS1_3repE0EEENS1_30default_config_static_selectorELNS0_4arch9wavefront6targetE0EEEvSR_,"axG",@progbits,_ZN7rocprim17ROCPRIM_400000_NS6detail17trampoline_kernelINS0_14default_configENS1_32segmented_reduce_config_selectorIN3c104HalfEEEZNS1_21segmented_reduce_implIS3_PKS6_PS6_PKlS6_N6hipcub16HIPCUB_304000_NS6detail27convert_result_type_wrapperISA_SB_N2at6native12_GLOBAL__N_19CustomMinEEEEE10hipError_tPvRmT0_T1_jT2_SS_T4_T3_P12ihipStream_tbEUlT_E_NS1_11comp_targetILNS1_3genE4ELNS1_11target_archE910ELNS1_3gpuE8ELNS1_3repE0EEENS1_30default_config_static_selectorELNS0_4arch9wavefront6targetE0EEEvSR_,comdat
	.globl	_ZN7rocprim17ROCPRIM_400000_NS6detail17trampoline_kernelINS0_14default_configENS1_32segmented_reduce_config_selectorIN3c104HalfEEEZNS1_21segmented_reduce_implIS3_PKS6_PS6_PKlS6_N6hipcub16HIPCUB_304000_NS6detail27convert_result_type_wrapperISA_SB_N2at6native12_GLOBAL__N_19CustomMinEEEEE10hipError_tPvRmT0_T1_jT2_SS_T4_T3_P12ihipStream_tbEUlT_E_NS1_11comp_targetILNS1_3genE4ELNS1_11target_archE910ELNS1_3gpuE8ELNS1_3repE0EEENS1_30default_config_static_selectorELNS0_4arch9wavefront6targetE0EEEvSR_ ; -- Begin function _ZN7rocprim17ROCPRIM_400000_NS6detail17trampoline_kernelINS0_14default_configENS1_32segmented_reduce_config_selectorIN3c104HalfEEEZNS1_21segmented_reduce_implIS3_PKS6_PS6_PKlS6_N6hipcub16HIPCUB_304000_NS6detail27convert_result_type_wrapperISA_SB_N2at6native12_GLOBAL__N_19CustomMinEEEEE10hipError_tPvRmT0_T1_jT2_SS_T4_T3_P12ihipStream_tbEUlT_E_NS1_11comp_targetILNS1_3genE4ELNS1_11target_archE910ELNS1_3gpuE8ELNS1_3repE0EEENS1_30default_config_static_selectorELNS0_4arch9wavefront6targetE0EEEvSR_
	.p2align	8
	.type	_ZN7rocprim17ROCPRIM_400000_NS6detail17trampoline_kernelINS0_14default_configENS1_32segmented_reduce_config_selectorIN3c104HalfEEEZNS1_21segmented_reduce_implIS3_PKS6_PS6_PKlS6_N6hipcub16HIPCUB_304000_NS6detail27convert_result_type_wrapperISA_SB_N2at6native12_GLOBAL__N_19CustomMinEEEEE10hipError_tPvRmT0_T1_jT2_SS_T4_T3_P12ihipStream_tbEUlT_E_NS1_11comp_targetILNS1_3genE4ELNS1_11target_archE910ELNS1_3gpuE8ELNS1_3repE0EEENS1_30default_config_static_selectorELNS0_4arch9wavefront6targetE0EEEvSR_,@function
_ZN7rocprim17ROCPRIM_400000_NS6detail17trampoline_kernelINS0_14default_configENS1_32segmented_reduce_config_selectorIN3c104HalfEEEZNS1_21segmented_reduce_implIS3_PKS6_PS6_PKlS6_N6hipcub16HIPCUB_304000_NS6detail27convert_result_type_wrapperISA_SB_N2at6native12_GLOBAL__N_19CustomMinEEEEE10hipError_tPvRmT0_T1_jT2_SS_T4_T3_P12ihipStream_tbEUlT_E_NS1_11comp_targetILNS1_3genE4ELNS1_11target_archE910ELNS1_3gpuE8ELNS1_3repE0EEENS1_30default_config_static_selectorELNS0_4arch9wavefront6targetE0EEEvSR_: ; @_ZN7rocprim17ROCPRIM_400000_NS6detail17trampoline_kernelINS0_14default_configENS1_32segmented_reduce_config_selectorIN3c104HalfEEEZNS1_21segmented_reduce_implIS3_PKS6_PS6_PKlS6_N6hipcub16HIPCUB_304000_NS6detail27convert_result_type_wrapperISA_SB_N2at6native12_GLOBAL__N_19CustomMinEEEEE10hipError_tPvRmT0_T1_jT2_SS_T4_T3_P12ihipStream_tbEUlT_E_NS1_11comp_targetILNS1_3genE4ELNS1_11target_archE910ELNS1_3gpuE8ELNS1_3repE0EEENS1_30default_config_static_selectorELNS0_4arch9wavefront6targetE0EEEvSR_
; %bb.0:
	.section	.rodata,"a",@progbits
	.p2align	6, 0x0
	.amdhsa_kernel _ZN7rocprim17ROCPRIM_400000_NS6detail17trampoline_kernelINS0_14default_configENS1_32segmented_reduce_config_selectorIN3c104HalfEEEZNS1_21segmented_reduce_implIS3_PKS6_PS6_PKlS6_N6hipcub16HIPCUB_304000_NS6detail27convert_result_type_wrapperISA_SB_N2at6native12_GLOBAL__N_19CustomMinEEEEE10hipError_tPvRmT0_T1_jT2_SS_T4_T3_P12ihipStream_tbEUlT_E_NS1_11comp_targetILNS1_3genE4ELNS1_11target_archE910ELNS1_3gpuE8ELNS1_3repE0EEENS1_30default_config_static_selectorELNS0_4arch9wavefront6targetE0EEEvSR_
		.amdhsa_group_segment_fixed_size 0
		.amdhsa_private_segment_fixed_size 0
		.amdhsa_kernarg_size 48
		.amdhsa_user_sgpr_count 15
		.amdhsa_user_sgpr_dispatch_ptr 0
		.amdhsa_user_sgpr_queue_ptr 0
		.amdhsa_user_sgpr_kernarg_segment_ptr 1
		.amdhsa_user_sgpr_dispatch_id 0
		.amdhsa_user_sgpr_private_segment_size 0
		.amdhsa_wavefront_size32 1
		.amdhsa_uses_dynamic_stack 0
		.amdhsa_enable_private_segment 0
		.amdhsa_system_sgpr_workgroup_id_x 1
		.amdhsa_system_sgpr_workgroup_id_y 0
		.amdhsa_system_sgpr_workgroup_id_z 0
		.amdhsa_system_sgpr_workgroup_info 0
		.amdhsa_system_vgpr_workitem_id 0
		.amdhsa_next_free_vgpr 1
		.amdhsa_next_free_sgpr 1
		.amdhsa_reserve_vcc 0
		.amdhsa_float_round_mode_32 0
		.amdhsa_float_round_mode_16_64 0
		.amdhsa_float_denorm_mode_32 3
		.amdhsa_float_denorm_mode_16_64 3
		.amdhsa_dx10_clamp 1
		.amdhsa_ieee_mode 1
		.amdhsa_fp16_overflow 0
		.amdhsa_workgroup_processor_mode 1
		.amdhsa_memory_ordered 1
		.amdhsa_forward_progress 0
		.amdhsa_shared_vgpr_count 0
		.amdhsa_exception_fp_ieee_invalid_op 0
		.amdhsa_exception_fp_denorm_src 0
		.amdhsa_exception_fp_ieee_div_zero 0
		.amdhsa_exception_fp_ieee_overflow 0
		.amdhsa_exception_fp_ieee_underflow 0
		.amdhsa_exception_fp_ieee_inexact 0
		.amdhsa_exception_int_div_zero 0
	.end_amdhsa_kernel
	.section	.text._ZN7rocprim17ROCPRIM_400000_NS6detail17trampoline_kernelINS0_14default_configENS1_32segmented_reduce_config_selectorIN3c104HalfEEEZNS1_21segmented_reduce_implIS3_PKS6_PS6_PKlS6_N6hipcub16HIPCUB_304000_NS6detail27convert_result_type_wrapperISA_SB_N2at6native12_GLOBAL__N_19CustomMinEEEEE10hipError_tPvRmT0_T1_jT2_SS_T4_T3_P12ihipStream_tbEUlT_E_NS1_11comp_targetILNS1_3genE4ELNS1_11target_archE910ELNS1_3gpuE8ELNS1_3repE0EEENS1_30default_config_static_selectorELNS0_4arch9wavefront6targetE0EEEvSR_,"axG",@progbits,_ZN7rocprim17ROCPRIM_400000_NS6detail17trampoline_kernelINS0_14default_configENS1_32segmented_reduce_config_selectorIN3c104HalfEEEZNS1_21segmented_reduce_implIS3_PKS6_PS6_PKlS6_N6hipcub16HIPCUB_304000_NS6detail27convert_result_type_wrapperISA_SB_N2at6native12_GLOBAL__N_19CustomMinEEEEE10hipError_tPvRmT0_T1_jT2_SS_T4_T3_P12ihipStream_tbEUlT_E_NS1_11comp_targetILNS1_3genE4ELNS1_11target_archE910ELNS1_3gpuE8ELNS1_3repE0EEENS1_30default_config_static_selectorELNS0_4arch9wavefront6targetE0EEEvSR_,comdat
.Lfunc_end233:
	.size	_ZN7rocprim17ROCPRIM_400000_NS6detail17trampoline_kernelINS0_14default_configENS1_32segmented_reduce_config_selectorIN3c104HalfEEEZNS1_21segmented_reduce_implIS3_PKS6_PS6_PKlS6_N6hipcub16HIPCUB_304000_NS6detail27convert_result_type_wrapperISA_SB_N2at6native12_GLOBAL__N_19CustomMinEEEEE10hipError_tPvRmT0_T1_jT2_SS_T4_T3_P12ihipStream_tbEUlT_E_NS1_11comp_targetILNS1_3genE4ELNS1_11target_archE910ELNS1_3gpuE8ELNS1_3repE0EEENS1_30default_config_static_selectorELNS0_4arch9wavefront6targetE0EEEvSR_, .Lfunc_end233-_ZN7rocprim17ROCPRIM_400000_NS6detail17trampoline_kernelINS0_14default_configENS1_32segmented_reduce_config_selectorIN3c104HalfEEEZNS1_21segmented_reduce_implIS3_PKS6_PS6_PKlS6_N6hipcub16HIPCUB_304000_NS6detail27convert_result_type_wrapperISA_SB_N2at6native12_GLOBAL__N_19CustomMinEEEEE10hipError_tPvRmT0_T1_jT2_SS_T4_T3_P12ihipStream_tbEUlT_E_NS1_11comp_targetILNS1_3genE4ELNS1_11target_archE910ELNS1_3gpuE8ELNS1_3repE0EEENS1_30default_config_static_selectorELNS0_4arch9wavefront6targetE0EEEvSR_
                                        ; -- End function
	.section	.AMDGPU.csdata,"",@progbits
; Kernel info:
; codeLenInByte = 0
; NumSgprs: 0
; NumVgprs: 0
; ScratchSize: 0
; MemoryBound: 0
; FloatMode: 240
; IeeeMode: 1
; LDSByteSize: 0 bytes/workgroup (compile time only)
; SGPRBlocks: 0
; VGPRBlocks: 0
; NumSGPRsForWavesPerEU: 1
; NumVGPRsForWavesPerEU: 1
; Occupancy: 16
; WaveLimiterHint : 0
; COMPUTE_PGM_RSRC2:SCRATCH_EN: 0
; COMPUTE_PGM_RSRC2:USER_SGPR: 15
; COMPUTE_PGM_RSRC2:TRAP_HANDLER: 0
; COMPUTE_PGM_RSRC2:TGID_X_EN: 1
; COMPUTE_PGM_RSRC2:TGID_Y_EN: 0
; COMPUTE_PGM_RSRC2:TGID_Z_EN: 0
; COMPUTE_PGM_RSRC2:TIDIG_COMP_CNT: 0
	.section	.text._ZN7rocprim17ROCPRIM_400000_NS6detail17trampoline_kernelINS0_14default_configENS1_32segmented_reduce_config_selectorIN3c104HalfEEEZNS1_21segmented_reduce_implIS3_PKS6_PS6_PKlS6_N6hipcub16HIPCUB_304000_NS6detail27convert_result_type_wrapperISA_SB_N2at6native12_GLOBAL__N_19CustomMinEEEEE10hipError_tPvRmT0_T1_jT2_SS_T4_T3_P12ihipStream_tbEUlT_E_NS1_11comp_targetILNS1_3genE3ELNS1_11target_archE908ELNS1_3gpuE7ELNS1_3repE0EEENS1_30default_config_static_selectorELNS0_4arch9wavefront6targetE0EEEvSR_,"axG",@progbits,_ZN7rocprim17ROCPRIM_400000_NS6detail17trampoline_kernelINS0_14default_configENS1_32segmented_reduce_config_selectorIN3c104HalfEEEZNS1_21segmented_reduce_implIS3_PKS6_PS6_PKlS6_N6hipcub16HIPCUB_304000_NS6detail27convert_result_type_wrapperISA_SB_N2at6native12_GLOBAL__N_19CustomMinEEEEE10hipError_tPvRmT0_T1_jT2_SS_T4_T3_P12ihipStream_tbEUlT_E_NS1_11comp_targetILNS1_3genE3ELNS1_11target_archE908ELNS1_3gpuE7ELNS1_3repE0EEENS1_30default_config_static_selectorELNS0_4arch9wavefront6targetE0EEEvSR_,comdat
	.globl	_ZN7rocprim17ROCPRIM_400000_NS6detail17trampoline_kernelINS0_14default_configENS1_32segmented_reduce_config_selectorIN3c104HalfEEEZNS1_21segmented_reduce_implIS3_PKS6_PS6_PKlS6_N6hipcub16HIPCUB_304000_NS6detail27convert_result_type_wrapperISA_SB_N2at6native12_GLOBAL__N_19CustomMinEEEEE10hipError_tPvRmT0_T1_jT2_SS_T4_T3_P12ihipStream_tbEUlT_E_NS1_11comp_targetILNS1_3genE3ELNS1_11target_archE908ELNS1_3gpuE7ELNS1_3repE0EEENS1_30default_config_static_selectorELNS0_4arch9wavefront6targetE0EEEvSR_ ; -- Begin function _ZN7rocprim17ROCPRIM_400000_NS6detail17trampoline_kernelINS0_14default_configENS1_32segmented_reduce_config_selectorIN3c104HalfEEEZNS1_21segmented_reduce_implIS3_PKS6_PS6_PKlS6_N6hipcub16HIPCUB_304000_NS6detail27convert_result_type_wrapperISA_SB_N2at6native12_GLOBAL__N_19CustomMinEEEEE10hipError_tPvRmT0_T1_jT2_SS_T4_T3_P12ihipStream_tbEUlT_E_NS1_11comp_targetILNS1_3genE3ELNS1_11target_archE908ELNS1_3gpuE7ELNS1_3repE0EEENS1_30default_config_static_selectorELNS0_4arch9wavefront6targetE0EEEvSR_
	.p2align	8
	.type	_ZN7rocprim17ROCPRIM_400000_NS6detail17trampoline_kernelINS0_14default_configENS1_32segmented_reduce_config_selectorIN3c104HalfEEEZNS1_21segmented_reduce_implIS3_PKS6_PS6_PKlS6_N6hipcub16HIPCUB_304000_NS6detail27convert_result_type_wrapperISA_SB_N2at6native12_GLOBAL__N_19CustomMinEEEEE10hipError_tPvRmT0_T1_jT2_SS_T4_T3_P12ihipStream_tbEUlT_E_NS1_11comp_targetILNS1_3genE3ELNS1_11target_archE908ELNS1_3gpuE7ELNS1_3repE0EEENS1_30default_config_static_selectorELNS0_4arch9wavefront6targetE0EEEvSR_,@function
_ZN7rocprim17ROCPRIM_400000_NS6detail17trampoline_kernelINS0_14default_configENS1_32segmented_reduce_config_selectorIN3c104HalfEEEZNS1_21segmented_reduce_implIS3_PKS6_PS6_PKlS6_N6hipcub16HIPCUB_304000_NS6detail27convert_result_type_wrapperISA_SB_N2at6native12_GLOBAL__N_19CustomMinEEEEE10hipError_tPvRmT0_T1_jT2_SS_T4_T3_P12ihipStream_tbEUlT_E_NS1_11comp_targetILNS1_3genE3ELNS1_11target_archE908ELNS1_3gpuE7ELNS1_3repE0EEENS1_30default_config_static_selectorELNS0_4arch9wavefront6targetE0EEEvSR_: ; @_ZN7rocprim17ROCPRIM_400000_NS6detail17trampoline_kernelINS0_14default_configENS1_32segmented_reduce_config_selectorIN3c104HalfEEEZNS1_21segmented_reduce_implIS3_PKS6_PS6_PKlS6_N6hipcub16HIPCUB_304000_NS6detail27convert_result_type_wrapperISA_SB_N2at6native12_GLOBAL__N_19CustomMinEEEEE10hipError_tPvRmT0_T1_jT2_SS_T4_T3_P12ihipStream_tbEUlT_E_NS1_11comp_targetILNS1_3genE3ELNS1_11target_archE908ELNS1_3gpuE7ELNS1_3repE0EEENS1_30default_config_static_selectorELNS0_4arch9wavefront6targetE0EEEvSR_
; %bb.0:
	.section	.rodata,"a",@progbits
	.p2align	6, 0x0
	.amdhsa_kernel _ZN7rocprim17ROCPRIM_400000_NS6detail17trampoline_kernelINS0_14default_configENS1_32segmented_reduce_config_selectorIN3c104HalfEEEZNS1_21segmented_reduce_implIS3_PKS6_PS6_PKlS6_N6hipcub16HIPCUB_304000_NS6detail27convert_result_type_wrapperISA_SB_N2at6native12_GLOBAL__N_19CustomMinEEEEE10hipError_tPvRmT0_T1_jT2_SS_T4_T3_P12ihipStream_tbEUlT_E_NS1_11comp_targetILNS1_3genE3ELNS1_11target_archE908ELNS1_3gpuE7ELNS1_3repE0EEENS1_30default_config_static_selectorELNS0_4arch9wavefront6targetE0EEEvSR_
		.amdhsa_group_segment_fixed_size 0
		.amdhsa_private_segment_fixed_size 0
		.amdhsa_kernarg_size 48
		.amdhsa_user_sgpr_count 15
		.amdhsa_user_sgpr_dispatch_ptr 0
		.amdhsa_user_sgpr_queue_ptr 0
		.amdhsa_user_sgpr_kernarg_segment_ptr 1
		.amdhsa_user_sgpr_dispatch_id 0
		.amdhsa_user_sgpr_private_segment_size 0
		.amdhsa_wavefront_size32 1
		.amdhsa_uses_dynamic_stack 0
		.amdhsa_enable_private_segment 0
		.amdhsa_system_sgpr_workgroup_id_x 1
		.amdhsa_system_sgpr_workgroup_id_y 0
		.amdhsa_system_sgpr_workgroup_id_z 0
		.amdhsa_system_sgpr_workgroup_info 0
		.amdhsa_system_vgpr_workitem_id 0
		.amdhsa_next_free_vgpr 1
		.amdhsa_next_free_sgpr 1
		.amdhsa_reserve_vcc 0
		.amdhsa_float_round_mode_32 0
		.amdhsa_float_round_mode_16_64 0
		.amdhsa_float_denorm_mode_32 3
		.amdhsa_float_denorm_mode_16_64 3
		.amdhsa_dx10_clamp 1
		.amdhsa_ieee_mode 1
		.amdhsa_fp16_overflow 0
		.amdhsa_workgroup_processor_mode 1
		.amdhsa_memory_ordered 1
		.amdhsa_forward_progress 0
		.amdhsa_shared_vgpr_count 0
		.amdhsa_exception_fp_ieee_invalid_op 0
		.amdhsa_exception_fp_denorm_src 0
		.amdhsa_exception_fp_ieee_div_zero 0
		.amdhsa_exception_fp_ieee_overflow 0
		.amdhsa_exception_fp_ieee_underflow 0
		.amdhsa_exception_fp_ieee_inexact 0
		.amdhsa_exception_int_div_zero 0
	.end_amdhsa_kernel
	.section	.text._ZN7rocprim17ROCPRIM_400000_NS6detail17trampoline_kernelINS0_14default_configENS1_32segmented_reduce_config_selectorIN3c104HalfEEEZNS1_21segmented_reduce_implIS3_PKS6_PS6_PKlS6_N6hipcub16HIPCUB_304000_NS6detail27convert_result_type_wrapperISA_SB_N2at6native12_GLOBAL__N_19CustomMinEEEEE10hipError_tPvRmT0_T1_jT2_SS_T4_T3_P12ihipStream_tbEUlT_E_NS1_11comp_targetILNS1_3genE3ELNS1_11target_archE908ELNS1_3gpuE7ELNS1_3repE0EEENS1_30default_config_static_selectorELNS0_4arch9wavefront6targetE0EEEvSR_,"axG",@progbits,_ZN7rocprim17ROCPRIM_400000_NS6detail17trampoline_kernelINS0_14default_configENS1_32segmented_reduce_config_selectorIN3c104HalfEEEZNS1_21segmented_reduce_implIS3_PKS6_PS6_PKlS6_N6hipcub16HIPCUB_304000_NS6detail27convert_result_type_wrapperISA_SB_N2at6native12_GLOBAL__N_19CustomMinEEEEE10hipError_tPvRmT0_T1_jT2_SS_T4_T3_P12ihipStream_tbEUlT_E_NS1_11comp_targetILNS1_3genE3ELNS1_11target_archE908ELNS1_3gpuE7ELNS1_3repE0EEENS1_30default_config_static_selectorELNS0_4arch9wavefront6targetE0EEEvSR_,comdat
.Lfunc_end234:
	.size	_ZN7rocprim17ROCPRIM_400000_NS6detail17trampoline_kernelINS0_14default_configENS1_32segmented_reduce_config_selectorIN3c104HalfEEEZNS1_21segmented_reduce_implIS3_PKS6_PS6_PKlS6_N6hipcub16HIPCUB_304000_NS6detail27convert_result_type_wrapperISA_SB_N2at6native12_GLOBAL__N_19CustomMinEEEEE10hipError_tPvRmT0_T1_jT2_SS_T4_T3_P12ihipStream_tbEUlT_E_NS1_11comp_targetILNS1_3genE3ELNS1_11target_archE908ELNS1_3gpuE7ELNS1_3repE0EEENS1_30default_config_static_selectorELNS0_4arch9wavefront6targetE0EEEvSR_, .Lfunc_end234-_ZN7rocprim17ROCPRIM_400000_NS6detail17trampoline_kernelINS0_14default_configENS1_32segmented_reduce_config_selectorIN3c104HalfEEEZNS1_21segmented_reduce_implIS3_PKS6_PS6_PKlS6_N6hipcub16HIPCUB_304000_NS6detail27convert_result_type_wrapperISA_SB_N2at6native12_GLOBAL__N_19CustomMinEEEEE10hipError_tPvRmT0_T1_jT2_SS_T4_T3_P12ihipStream_tbEUlT_E_NS1_11comp_targetILNS1_3genE3ELNS1_11target_archE908ELNS1_3gpuE7ELNS1_3repE0EEENS1_30default_config_static_selectorELNS0_4arch9wavefront6targetE0EEEvSR_
                                        ; -- End function
	.section	.AMDGPU.csdata,"",@progbits
; Kernel info:
; codeLenInByte = 0
; NumSgprs: 0
; NumVgprs: 0
; ScratchSize: 0
; MemoryBound: 0
; FloatMode: 240
; IeeeMode: 1
; LDSByteSize: 0 bytes/workgroup (compile time only)
; SGPRBlocks: 0
; VGPRBlocks: 0
; NumSGPRsForWavesPerEU: 1
; NumVGPRsForWavesPerEU: 1
; Occupancy: 16
; WaveLimiterHint : 0
; COMPUTE_PGM_RSRC2:SCRATCH_EN: 0
; COMPUTE_PGM_RSRC2:USER_SGPR: 15
; COMPUTE_PGM_RSRC2:TRAP_HANDLER: 0
; COMPUTE_PGM_RSRC2:TGID_X_EN: 1
; COMPUTE_PGM_RSRC2:TGID_Y_EN: 0
; COMPUTE_PGM_RSRC2:TGID_Z_EN: 0
; COMPUTE_PGM_RSRC2:TIDIG_COMP_CNT: 0
	.section	.text._ZN7rocprim17ROCPRIM_400000_NS6detail17trampoline_kernelINS0_14default_configENS1_32segmented_reduce_config_selectorIN3c104HalfEEEZNS1_21segmented_reduce_implIS3_PKS6_PS6_PKlS6_N6hipcub16HIPCUB_304000_NS6detail27convert_result_type_wrapperISA_SB_N2at6native12_GLOBAL__N_19CustomMinEEEEE10hipError_tPvRmT0_T1_jT2_SS_T4_T3_P12ihipStream_tbEUlT_E_NS1_11comp_targetILNS1_3genE2ELNS1_11target_archE906ELNS1_3gpuE6ELNS1_3repE0EEENS1_30default_config_static_selectorELNS0_4arch9wavefront6targetE0EEEvSR_,"axG",@progbits,_ZN7rocprim17ROCPRIM_400000_NS6detail17trampoline_kernelINS0_14default_configENS1_32segmented_reduce_config_selectorIN3c104HalfEEEZNS1_21segmented_reduce_implIS3_PKS6_PS6_PKlS6_N6hipcub16HIPCUB_304000_NS6detail27convert_result_type_wrapperISA_SB_N2at6native12_GLOBAL__N_19CustomMinEEEEE10hipError_tPvRmT0_T1_jT2_SS_T4_T3_P12ihipStream_tbEUlT_E_NS1_11comp_targetILNS1_3genE2ELNS1_11target_archE906ELNS1_3gpuE6ELNS1_3repE0EEENS1_30default_config_static_selectorELNS0_4arch9wavefront6targetE0EEEvSR_,comdat
	.globl	_ZN7rocprim17ROCPRIM_400000_NS6detail17trampoline_kernelINS0_14default_configENS1_32segmented_reduce_config_selectorIN3c104HalfEEEZNS1_21segmented_reduce_implIS3_PKS6_PS6_PKlS6_N6hipcub16HIPCUB_304000_NS6detail27convert_result_type_wrapperISA_SB_N2at6native12_GLOBAL__N_19CustomMinEEEEE10hipError_tPvRmT0_T1_jT2_SS_T4_T3_P12ihipStream_tbEUlT_E_NS1_11comp_targetILNS1_3genE2ELNS1_11target_archE906ELNS1_3gpuE6ELNS1_3repE0EEENS1_30default_config_static_selectorELNS0_4arch9wavefront6targetE0EEEvSR_ ; -- Begin function _ZN7rocprim17ROCPRIM_400000_NS6detail17trampoline_kernelINS0_14default_configENS1_32segmented_reduce_config_selectorIN3c104HalfEEEZNS1_21segmented_reduce_implIS3_PKS6_PS6_PKlS6_N6hipcub16HIPCUB_304000_NS6detail27convert_result_type_wrapperISA_SB_N2at6native12_GLOBAL__N_19CustomMinEEEEE10hipError_tPvRmT0_T1_jT2_SS_T4_T3_P12ihipStream_tbEUlT_E_NS1_11comp_targetILNS1_3genE2ELNS1_11target_archE906ELNS1_3gpuE6ELNS1_3repE0EEENS1_30default_config_static_selectorELNS0_4arch9wavefront6targetE0EEEvSR_
	.p2align	8
	.type	_ZN7rocprim17ROCPRIM_400000_NS6detail17trampoline_kernelINS0_14default_configENS1_32segmented_reduce_config_selectorIN3c104HalfEEEZNS1_21segmented_reduce_implIS3_PKS6_PS6_PKlS6_N6hipcub16HIPCUB_304000_NS6detail27convert_result_type_wrapperISA_SB_N2at6native12_GLOBAL__N_19CustomMinEEEEE10hipError_tPvRmT0_T1_jT2_SS_T4_T3_P12ihipStream_tbEUlT_E_NS1_11comp_targetILNS1_3genE2ELNS1_11target_archE906ELNS1_3gpuE6ELNS1_3repE0EEENS1_30default_config_static_selectorELNS0_4arch9wavefront6targetE0EEEvSR_,@function
_ZN7rocprim17ROCPRIM_400000_NS6detail17trampoline_kernelINS0_14default_configENS1_32segmented_reduce_config_selectorIN3c104HalfEEEZNS1_21segmented_reduce_implIS3_PKS6_PS6_PKlS6_N6hipcub16HIPCUB_304000_NS6detail27convert_result_type_wrapperISA_SB_N2at6native12_GLOBAL__N_19CustomMinEEEEE10hipError_tPvRmT0_T1_jT2_SS_T4_T3_P12ihipStream_tbEUlT_E_NS1_11comp_targetILNS1_3genE2ELNS1_11target_archE906ELNS1_3gpuE6ELNS1_3repE0EEENS1_30default_config_static_selectorELNS0_4arch9wavefront6targetE0EEEvSR_: ; @_ZN7rocprim17ROCPRIM_400000_NS6detail17trampoline_kernelINS0_14default_configENS1_32segmented_reduce_config_selectorIN3c104HalfEEEZNS1_21segmented_reduce_implIS3_PKS6_PS6_PKlS6_N6hipcub16HIPCUB_304000_NS6detail27convert_result_type_wrapperISA_SB_N2at6native12_GLOBAL__N_19CustomMinEEEEE10hipError_tPvRmT0_T1_jT2_SS_T4_T3_P12ihipStream_tbEUlT_E_NS1_11comp_targetILNS1_3genE2ELNS1_11target_archE906ELNS1_3gpuE6ELNS1_3repE0EEENS1_30default_config_static_selectorELNS0_4arch9wavefront6targetE0EEEvSR_
; %bb.0:
	.section	.rodata,"a",@progbits
	.p2align	6, 0x0
	.amdhsa_kernel _ZN7rocprim17ROCPRIM_400000_NS6detail17trampoline_kernelINS0_14default_configENS1_32segmented_reduce_config_selectorIN3c104HalfEEEZNS1_21segmented_reduce_implIS3_PKS6_PS6_PKlS6_N6hipcub16HIPCUB_304000_NS6detail27convert_result_type_wrapperISA_SB_N2at6native12_GLOBAL__N_19CustomMinEEEEE10hipError_tPvRmT0_T1_jT2_SS_T4_T3_P12ihipStream_tbEUlT_E_NS1_11comp_targetILNS1_3genE2ELNS1_11target_archE906ELNS1_3gpuE6ELNS1_3repE0EEENS1_30default_config_static_selectorELNS0_4arch9wavefront6targetE0EEEvSR_
		.amdhsa_group_segment_fixed_size 0
		.amdhsa_private_segment_fixed_size 0
		.amdhsa_kernarg_size 48
		.amdhsa_user_sgpr_count 15
		.amdhsa_user_sgpr_dispatch_ptr 0
		.amdhsa_user_sgpr_queue_ptr 0
		.amdhsa_user_sgpr_kernarg_segment_ptr 1
		.amdhsa_user_sgpr_dispatch_id 0
		.amdhsa_user_sgpr_private_segment_size 0
		.amdhsa_wavefront_size32 1
		.amdhsa_uses_dynamic_stack 0
		.amdhsa_enable_private_segment 0
		.amdhsa_system_sgpr_workgroup_id_x 1
		.amdhsa_system_sgpr_workgroup_id_y 0
		.amdhsa_system_sgpr_workgroup_id_z 0
		.amdhsa_system_sgpr_workgroup_info 0
		.amdhsa_system_vgpr_workitem_id 0
		.amdhsa_next_free_vgpr 1
		.amdhsa_next_free_sgpr 1
		.amdhsa_reserve_vcc 0
		.amdhsa_float_round_mode_32 0
		.amdhsa_float_round_mode_16_64 0
		.amdhsa_float_denorm_mode_32 3
		.amdhsa_float_denorm_mode_16_64 3
		.amdhsa_dx10_clamp 1
		.amdhsa_ieee_mode 1
		.amdhsa_fp16_overflow 0
		.amdhsa_workgroup_processor_mode 1
		.amdhsa_memory_ordered 1
		.amdhsa_forward_progress 0
		.amdhsa_shared_vgpr_count 0
		.amdhsa_exception_fp_ieee_invalid_op 0
		.amdhsa_exception_fp_denorm_src 0
		.amdhsa_exception_fp_ieee_div_zero 0
		.amdhsa_exception_fp_ieee_overflow 0
		.amdhsa_exception_fp_ieee_underflow 0
		.amdhsa_exception_fp_ieee_inexact 0
		.amdhsa_exception_int_div_zero 0
	.end_amdhsa_kernel
	.section	.text._ZN7rocprim17ROCPRIM_400000_NS6detail17trampoline_kernelINS0_14default_configENS1_32segmented_reduce_config_selectorIN3c104HalfEEEZNS1_21segmented_reduce_implIS3_PKS6_PS6_PKlS6_N6hipcub16HIPCUB_304000_NS6detail27convert_result_type_wrapperISA_SB_N2at6native12_GLOBAL__N_19CustomMinEEEEE10hipError_tPvRmT0_T1_jT2_SS_T4_T3_P12ihipStream_tbEUlT_E_NS1_11comp_targetILNS1_3genE2ELNS1_11target_archE906ELNS1_3gpuE6ELNS1_3repE0EEENS1_30default_config_static_selectorELNS0_4arch9wavefront6targetE0EEEvSR_,"axG",@progbits,_ZN7rocprim17ROCPRIM_400000_NS6detail17trampoline_kernelINS0_14default_configENS1_32segmented_reduce_config_selectorIN3c104HalfEEEZNS1_21segmented_reduce_implIS3_PKS6_PS6_PKlS6_N6hipcub16HIPCUB_304000_NS6detail27convert_result_type_wrapperISA_SB_N2at6native12_GLOBAL__N_19CustomMinEEEEE10hipError_tPvRmT0_T1_jT2_SS_T4_T3_P12ihipStream_tbEUlT_E_NS1_11comp_targetILNS1_3genE2ELNS1_11target_archE906ELNS1_3gpuE6ELNS1_3repE0EEENS1_30default_config_static_selectorELNS0_4arch9wavefront6targetE0EEEvSR_,comdat
.Lfunc_end235:
	.size	_ZN7rocprim17ROCPRIM_400000_NS6detail17trampoline_kernelINS0_14default_configENS1_32segmented_reduce_config_selectorIN3c104HalfEEEZNS1_21segmented_reduce_implIS3_PKS6_PS6_PKlS6_N6hipcub16HIPCUB_304000_NS6detail27convert_result_type_wrapperISA_SB_N2at6native12_GLOBAL__N_19CustomMinEEEEE10hipError_tPvRmT0_T1_jT2_SS_T4_T3_P12ihipStream_tbEUlT_E_NS1_11comp_targetILNS1_3genE2ELNS1_11target_archE906ELNS1_3gpuE6ELNS1_3repE0EEENS1_30default_config_static_selectorELNS0_4arch9wavefront6targetE0EEEvSR_, .Lfunc_end235-_ZN7rocprim17ROCPRIM_400000_NS6detail17trampoline_kernelINS0_14default_configENS1_32segmented_reduce_config_selectorIN3c104HalfEEEZNS1_21segmented_reduce_implIS3_PKS6_PS6_PKlS6_N6hipcub16HIPCUB_304000_NS6detail27convert_result_type_wrapperISA_SB_N2at6native12_GLOBAL__N_19CustomMinEEEEE10hipError_tPvRmT0_T1_jT2_SS_T4_T3_P12ihipStream_tbEUlT_E_NS1_11comp_targetILNS1_3genE2ELNS1_11target_archE906ELNS1_3gpuE6ELNS1_3repE0EEENS1_30default_config_static_selectorELNS0_4arch9wavefront6targetE0EEEvSR_
                                        ; -- End function
	.section	.AMDGPU.csdata,"",@progbits
; Kernel info:
; codeLenInByte = 0
; NumSgprs: 0
; NumVgprs: 0
; ScratchSize: 0
; MemoryBound: 0
; FloatMode: 240
; IeeeMode: 1
; LDSByteSize: 0 bytes/workgroup (compile time only)
; SGPRBlocks: 0
; VGPRBlocks: 0
; NumSGPRsForWavesPerEU: 1
; NumVGPRsForWavesPerEU: 1
; Occupancy: 16
; WaveLimiterHint : 0
; COMPUTE_PGM_RSRC2:SCRATCH_EN: 0
; COMPUTE_PGM_RSRC2:USER_SGPR: 15
; COMPUTE_PGM_RSRC2:TRAP_HANDLER: 0
; COMPUTE_PGM_RSRC2:TGID_X_EN: 1
; COMPUTE_PGM_RSRC2:TGID_Y_EN: 0
; COMPUTE_PGM_RSRC2:TGID_Z_EN: 0
; COMPUTE_PGM_RSRC2:TIDIG_COMP_CNT: 0
	.section	.text._ZN7rocprim17ROCPRIM_400000_NS6detail17trampoline_kernelINS0_14default_configENS1_32segmented_reduce_config_selectorIN3c104HalfEEEZNS1_21segmented_reduce_implIS3_PKS6_PS6_PKlS6_N6hipcub16HIPCUB_304000_NS6detail27convert_result_type_wrapperISA_SB_N2at6native12_GLOBAL__N_19CustomMinEEEEE10hipError_tPvRmT0_T1_jT2_SS_T4_T3_P12ihipStream_tbEUlT_E_NS1_11comp_targetILNS1_3genE9ELNS1_11target_archE1100ELNS1_3gpuE3ELNS1_3repE0EEENS1_30default_config_static_selectorELNS0_4arch9wavefront6targetE0EEEvSR_,"axG",@progbits,_ZN7rocprim17ROCPRIM_400000_NS6detail17trampoline_kernelINS0_14default_configENS1_32segmented_reduce_config_selectorIN3c104HalfEEEZNS1_21segmented_reduce_implIS3_PKS6_PS6_PKlS6_N6hipcub16HIPCUB_304000_NS6detail27convert_result_type_wrapperISA_SB_N2at6native12_GLOBAL__N_19CustomMinEEEEE10hipError_tPvRmT0_T1_jT2_SS_T4_T3_P12ihipStream_tbEUlT_E_NS1_11comp_targetILNS1_3genE9ELNS1_11target_archE1100ELNS1_3gpuE3ELNS1_3repE0EEENS1_30default_config_static_selectorELNS0_4arch9wavefront6targetE0EEEvSR_,comdat
	.globl	_ZN7rocprim17ROCPRIM_400000_NS6detail17trampoline_kernelINS0_14default_configENS1_32segmented_reduce_config_selectorIN3c104HalfEEEZNS1_21segmented_reduce_implIS3_PKS6_PS6_PKlS6_N6hipcub16HIPCUB_304000_NS6detail27convert_result_type_wrapperISA_SB_N2at6native12_GLOBAL__N_19CustomMinEEEEE10hipError_tPvRmT0_T1_jT2_SS_T4_T3_P12ihipStream_tbEUlT_E_NS1_11comp_targetILNS1_3genE9ELNS1_11target_archE1100ELNS1_3gpuE3ELNS1_3repE0EEENS1_30default_config_static_selectorELNS0_4arch9wavefront6targetE0EEEvSR_ ; -- Begin function _ZN7rocprim17ROCPRIM_400000_NS6detail17trampoline_kernelINS0_14default_configENS1_32segmented_reduce_config_selectorIN3c104HalfEEEZNS1_21segmented_reduce_implIS3_PKS6_PS6_PKlS6_N6hipcub16HIPCUB_304000_NS6detail27convert_result_type_wrapperISA_SB_N2at6native12_GLOBAL__N_19CustomMinEEEEE10hipError_tPvRmT0_T1_jT2_SS_T4_T3_P12ihipStream_tbEUlT_E_NS1_11comp_targetILNS1_3genE9ELNS1_11target_archE1100ELNS1_3gpuE3ELNS1_3repE0EEENS1_30default_config_static_selectorELNS0_4arch9wavefront6targetE0EEEvSR_
	.p2align	8
	.type	_ZN7rocprim17ROCPRIM_400000_NS6detail17trampoline_kernelINS0_14default_configENS1_32segmented_reduce_config_selectorIN3c104HalfEEEZNS1_21segmented_reduce_implIS3_PKS6_PS6_PKlS6_N6hipcub16HIPCUB_304000_NS6detail27convert_result_type_wrapperISA_SB_N2at6native12_GLOBAL__N_19CustomMinEEEEE10hipError_tPvRmT0_T1_jT2_SS_T4_T3_P12ihipStream_tbEUlT_E_NS1_11comp_targetILNS1_3genE9ELNS1_11target_archE1100ELNS1_3gpuE3ELNS1_3repE0EEENS1_30default_config_static_selectorELNS0_4arch9wavefront6targetE0EEEvSR_,@function
_ZN7rocprim17ROCPRIM_400000_NS6detail17trampoline_kernelINS0_14default_configENS1_32segmented_reduce_config_selectorIN3c104HalfEEEZNS1_21segmented_reduce_implIS3_PKS6_PS6_PKlS6_N6hipcub16HIPCUB_304000_NS6detail27convert_result_type_wrapperISA_SB_N2at6native12_GLOBAL__N_19CustomMinEEEEE10hipError_tPvRmT0_T1_jT2_SS_T4_T3_P12ihipStream_tbEUlT_E_NS1_11comp_targetILNS1_3genE9ELNS1_11target_archE1100ELNS1_3gpuE3ELNS1_3repE0EEENS1_30default_config_static_selectorELNS0_4arch9wavefront6targetE0EEEvSR_: ; @_ZN7rocprim17ROCPRIM_400000_NS6detail17trampoline_kernelINS0_14default_configENS1_32segmented_reduce_config_selectorIN3c104HalfEEEZNS1_21segmented_reduce_implIS3_PKS6_PS6_PKlS6_N6hipcub16HIPCUB_304000_NS6detail27convert_result_type_wrapperISA_SB_N2at6native12_GLOBAL__N_19CustomMinEEEEE10hipError_tPvRmT0_T1_jT2_SS_T4_T3_P12ihipStream_tbEUlT_E_NS1_11comp_targetILNS1_3genE9ELNS1_11target_archE1100ELNS1_3gpuE3ELNS1_3repE0EEENS1_30default_config_static_selectorELNS0_4arch9wavefront6targetE0EEEvSR_
; %bb.0:
	s_clause 0x2
	s_load_b256 s[16:23], s[0:1], 0x0
	s_load_b32 s4, s[0:1], 0x28
	s_load_b64 s[0:1], s[0:1], 0x20
	s_mov_b32 s24, s15
	s_mov_b32 s25, 0
	s_waitcnt lgkmcnt(0)
	s_lshl_b64 s[2:3], s[20:21], 3
	s_lshr_b32 s15, s4, 16
	s_add_u32 s4, s22, s2
	s_addc_u32 s5, s23, s3
	s_add_u32 s6, s0, s2
	s_addc_u32 s7, s1, s3
	s_lshl_b64 s[0:1], s[24:25], 3
	s_delay_alu instid0(SALU_CYCLE_1)
	s_add_u32 s2, s4, s0
	s_addc_u32 s3, s5, s1
	s_add_u32 s0, s6, s0
	s_addc_u32 s1, s7, s1
	s_load_b64 s[26:27], s[2:3], 0x0
	s_load_b64 s[22:23], s[0:1], 0x0
	s_waitcnt lgkmcnt(0)
	v_cmp_gt_i64_e64 s0, s[22:23], s[26:27]
	s_delay_alu instid0(VALU_DEP_1)
	s_and_b32 vcc_lo, exec_lo, s0
	v_cmp_eq_u32_e64 s0, 0, v0
	s_cbranch_vccnz .LBB236_3
; %bb.1:
	s_delay_alu instid0(VALU_DEP_1)
	s_and_b32 s30, s0, exec_lo
	s_cbranch_execz .LBB236_4
; %bb.2:
	v_mov_b32_e32 v1, s15
	s_and_saveexec_b32 s0, s30
	s_cbranch_execnz .LBB236_409
	s_branch .LBB236_410
.LBB236_3:
	s_mov_b32 s30, s25
.LBB236_4:
	s_add_u32 s0, s26, 0x1000
	s_addc_u32 s1, s27, 0
	s_delay_alu instid0(SALU_CYCLE_1) | instskip(NEXT) | instid1(VALU_DEP_1)
	v_cmp_le_i64_e64 s2, s[0:1], s[22:23]
	s_and_b32 vcc_lo, exec_lo, s2
	s_cbranch_vccz .LBB236_133
; %bb.5:
	v_lshlrev_b32_e32 v20, 1, v0
	s_lshl_b64 s[2:3], s[26:27], 1
	s_delay_alu instid0(SALU_CYCLE_1) | instskip(SKIP_1) | instid1(VALU_DEP_1)
	s_add_u32 s4, s16, s2
	s_addc_u32 s5, s17, s3
	v_add_co_u32 v1, s6, s4, v20
	s_delay_alu instid0(VALU_DEP_1) | instskip(NEXT) | instid1(VALU_DEP_2)
	v_add_co_ci_u32_e64 v2, null, s5, 0, s6
	v_add_co_u32 v1, vcc_lo, 0x1000, v1
	s_delay_alu instid0(VALU_DEP_2)
	v_add_co_ci_u32_e32 v2, vcc_lo, 0, v2, vcc_lo
	s_clause 0xf
	global_load_u16 v19, v20, s[4:5]
	global_load_u16 v18, v20, s[4:5] offset:512
	global_load_u16 v17, v20, s[4:5] offset:1024
	;; [unrolled: 1-line block ×7, first 2 shown]
	global_load_u16 v10, v[1:2], off
	global_load_u16 v9, v[1:2], off offset:512
	global_load_u16 v8, v[1:2], off offset:1024
	;; [unrolled: 1-line block ×7, first 2 shown]
	s_mov_b32 s4, exec_lo
	s_waitcnt vmcnt(15)
	v_mov_b32_e32 v11, v19
	v_cmpx_o_f16_e32 v19, v19
	s_cbranch_execz .LBB236_9
; %bb.6:
	s_waitcnt vmcnt(14)
	v_mov_b32_e32 v11, v18
	s_mov_b32 s5, exec_lo
	v_cmpx_o_f16_e32 v18, v18
; %bb.7:
	v_cmp_lt_f16_e32 vcc_lo, v18, v19
	v_cndmask_b32_e32 v11, v19, v18, vcc_lo
; %bb.8:
	s_or_b32 exec_lo, exec_lo, s5
.LBB236_9:
	s_delay_alu instid0(SALU_CYCLE_1) | instskip(NEXT) | instid1(SALU_CYCLE_1)
	s_or_b32 exec_lo, exec_lo, s4
	s_mov_b32 s4, exec_lo
	s_delay_alu instid0(VALU_DEP_1)
	v_cmpx_o_f16_e32 v11, v11
	s_cbranch_execz .LBB236_13
; %bb.10:
	s_waitcnt vmcnt(13)
	v_mov_b32_e32 v1, v17
	s_mov_b32 s5, exec_lo
	v_cmpx_o_f16_e32 v17, v17
; %bb.11:
	v_cmp_gt_f16_e32 vcc_lo, v11, v17
	v_cndmask_b32_e32 v1, v11, v17, vcc_lo
; %bb.12:
	s_or_b32 exec_lo, exec_lo, s5
	s_delay_alu instid0(VALU_DEP_1)
	v_mov_b32_e32 v11, v1
.LBB236_13:
	s_or_b32 exec_lo, exec_lo, s4
	s_delay_alu instid0(SALU_CYCLE_1) | instskip(NEXT) | instid1(VALU_DEP_1)
	s_mov_b32 s4, exec_lo
	v_cmpx_o_f16_e32 v11, v11
	s_cbranch_execz .LBB236_17
; %bb.14:
	s_waitcnt vmcnt(12)
	v_mov_b32_e32 v1, v16
	s_mov_b32 s5, exec_lo
	v_cmpx_o_f16_e32 v16, v16
; %bb.15:
	v_cmp_gt_f16_e32 vcc_lo, v11, v16
	v_cndmask_b32_e32 v1, v11, v16, vcc_lo
; %bb.16:
	s_or_b32 exec_lo, exec_lo, s5
	s_delay_alu instid0(VALU_DEP_1)
	v_mov_b32_e32 v11, v1
.LBB236_17:
	s_or_b32 exec_lo, exec_lo, s4
	s_delay_alu instid0(SALU_CYCLE_1) | instskip(NEXT) | instid1(VALU_DEP_1)
	s_mov_b32 s4, exec_lo
	;; [unrolled: 18-line block ×13, first 2 shown]
	v_cmpx_o_f16_e32 v11, v11
	s_cbranch_execz .LBB236_65
; %bb.62:
	s_waitcnt vmcnt(0)
	v_mov_b32_e32 v1, v3
	s_mov_b32 s5, exec_lo
	v_cmpx_o_f16_e32 v3, v3
; %bb.63:
	v_cmp_gt_f16_e32 vcc_lo, v11, v3
	v_cndmask_b32_e32 v1, v11, v3, vcc_lo
; %bb.64:
	s_or_b32 exec_lo, exec_lo, s5
	s_delay_alu instid0(VALU_DEP_1)
	v_mov_b32_e32 v11, v1
.LBB236_65:
	s_or_b32 exec_lo, exec_lo, s4
	s_add_u32 s4, s26, 0x2000
	s_addc_u32 s5, s27, 0
	s_delay_alu instid0(SALU_CYCLE_1) | instskip(NEXT) | instid1(VALU_DEP_1)
	v_cmp_ge_i64_e64 s4, s[4:5], s[22:23]
	s_and_b32 vcc_lo, exec_lo, s4
	s_cbranch_vccnz .LBB236_134
; %bb.66:
	s_add_u32 s2, s16, s2
	s_addc_u32 s3, s17, s3
	v_add_co_u32 v1, s2, s2, v20
	s_delay_alu instid0(VALU_DEP_1) | instskip(NEXT) | instid1(VALU_DEP_2)
	v_add_co_ci_u32_e64 v2, null, s3, 0, s2
	v_add_co_u32 v1, vcc_lo, 0x2000, v1
	s_delay_alu instid0(VALU_DEP_2)
	v_add_co_ci_u32_e32 v2, vcc_lo, 0, v2, vcc_lo
.LBB236_67:                             ; =>This Inner Loop Header: Depth=1
	s_delay_alu instid0(VALU_DEP_2) | instskip(NEXT) | instid1(VALU_DEP_2)
	v_add_co_u32 v21, vcc_lo, 0x1000, v1
	v_add_co_ci_u32_e32 v22, vcc_lo, 0, v2, vcc_lo
	s_clause 0xf
	global_load_u16 v19, v[1:2], off
	global_load_u16 v18, v[1:2], off offset:512
	global_load_u16 v17, v[1:2], off offset:1024
	;; [unrolled: 1-line block ×7, first 2 shown]
	global_load_u16 v10, v[21:22], off
	global_load_u16 v9, v[21:22], off offset:512
	global_load_u16 v8, v[21:22], off offset:1024
	;; [unrolled: 1-line block ×7, first 2 shown]
	v_mov_b32_e32 v21, v11
	s_mov_b32 s2, exec_lo
	v_cmpx_o_f16_e32 v11, v11
	s_cbranch_execz .LBB236_71
; %bb.68:                               ;   in Loop: Header=BB236_67 Depth=1
	s_waitcnt vmcnt(15)
	v_mov_b32_e32 v21, v19
	s_mov_b32 s3, exec_lo
	v_cmpx_o_f16_e32 v19, v19
; %bb.69:                               ;   in Loop: Header=BB236_67 Depth=1
	v_cmp_lt_f16_e32 vcc_lo, v19, v11
	v_cndmask_b32_e32 v21, v11, v19, vcc_lo
; %bb.70:                               ;   in Loop: Header=BB236_67 Depth=1
	s_or_b32 exec_lo, exec_lo, s3
	s_delay_alu instid0(VALU_DEP_1)
	v_mov_b32_e32 v11, v21
.LBB236_71:                             ;   in Loop: Header=BB236_67 Depth=1
	s_or_b32 exec_lo, exec_lo, s2
	s_delay_alu instid0(SALU_CYCLE_1)
	s_mov_b32 s2, exec_lo
	v_cmpx_o_f16_e32 v21, v21
	s_cbranch_execz .LBB236_75
; %bb.72:                               ;   in Loop: Header=BB236_67 Depth=1
	s_waitcnt vmcnt(14)
	v_mov_b32_e32 v22, v18
	s_mov_b32 s3, exec_lo
	v_cmpx_o_f16_e32 v18, v18
; %bb.73:                               ;   in Loop: Header=BB236_67 Depth=1
	v_cmp_gt_f16_e32 vcc_lo, v21, v18
	v_cndmask_b32_e32 v22, v11, v18, vcc_lo
; %bb.74:                               ;   in Loop: Header=BB236_67 Depth=1
	s_or_b32 exec_lo, exec_lo, s3
	s_delay_alu instid0(VALU_DEP_1)
	v_mov_b32_e32 v21, v22
	v_mov_b32_e32 v11, v22
.LBB236_75:                             ;   in Loop: Header=BB236_67 Depth=1
	s_or_b32 exec_lo, exec_lo, s2
	s_delay_alu instid0(SALU_CYCLE_1) | instskip(NEXT) | instid1(VALU_DEP_2)
	s_mov_b32 s2, exec_lo
	v_cmpx_o_f16_e32 v21, v21
	s_cbranch_execz .LBB236_79
; %bb.76:                               ;   in Loop: Header=BB236_67 Depth=1
	s_waitcnt vmcnt(13)
	v_mov_b32_e32 v22, v17
	s_mov_b32 s3, exec_lo
	v_cmpx_o_f16_e32 v17, v17
; %bb.77:                               ;   in Loop: Header=BB236_67 Depth=1
	v_cmp_gt_f16_e32 vcc_lo, v21, v17
	v_cndmask_b32_e32 v22, v11, v17, vcc_lo
; %bb.78:                               ;   in Loop: Header=BB236_67 Depth=1
	s_or_b32 exec_lo, exec_lo, s3
	s_delay_alu instid0(VALU_DEP_1)
	v_mov_b32_e32 v21, v22
	v_mov_b32_e32 v11, v22
.LBB236_79:                             ;   in Loop: Header=BB236_67 Depth=1
	s_or_b32 exec_lo, exec_lo, s2
	s_delay_alu instid0(SALU_CYCLE_1) | instskip(NEXT) | instid1(VALU_DEP_2)
	;; [unrolled: 19-line block ×7, first 2 shown]
	s_mov_b32 s2, exec_lo
	v_cmpx_o_f16_e32 v21, v21
	s_cbranch_execz .LBB236_103
; %bb.100:                              ;   in Loop: Header=BB236_67 Depth=1
	s_waitcnt vmcnt(7)
	v_mov_b32_e32 v22, v10
	s_mov_b32 s3, exec_lo
	v_cmpx_o_f16_e32 v10, v10
; %bb.101:                              ;   in Loop: Header=BB236_67 Depth=1
	v_cmp_gt_f16_e32 vcc_lo, v21, v10
	v_cndmask_b32_e32 v22, v11, v10, vcc_lo
; %bb.102:                              ;   in Loop: Header=BB236_67 Depth=1
	s_or_b32 exec_lo, exec_lo, s3
	s_delay_alu instid0(VALU_DEP_1)
	v_mov_b32_e32 v21, v22
	v_mov_b32_e32 v11, v22
.LBB236_103:                            ;   in Loop: Header=BB236_67 Depth=1
	s_or_b32 exec_lo, exec_lo, s2
	s_delay_alu instid0(SALU_CYCLE_1) | instskip(NEXT) | instid1(VALU_DEP_2)
	s_mov_b32 s2, exec_lo
	v_cmpx_o_f16_e32 v21, v21
	s_cbranch_execz .LBB236_107
; %bb.104:                              ;   in Loop: Header=BB236_67 Depth=1
	s_waitcnt vmcnt(6)
	v_mov_b32_e32 v22, v9
	s_mov_b32 s3, exec_lo
	v_cmpx_o_f16_e32 v9, v9
; %bb.105:                              ;   in Loop: Header=BB236_67 Depth=1
	v_cmp_gt_f16_e32 vcc_lo, v21, v9
	v_cndmask_b32_e32 v22, v11, v9, vcc_lo
; %bb.106:                              ;   in Loop: Header=BB236_67 Depth=1
	s_or_b32 exec_lo, exec_lo, s3
	s_delay_alu instid0(VALU_DEP_1)
	v_mov_b32_e32 v21, v22
	v_mov_b32_e32 v11, v22
.LBB236_107:                            ;   in Loop: Header=BB236_67 Depth=1
	s_or_b32 exec_lo, exec_lo, s2
	s_delay_alu instid0(SALU_CYCLE_1) | instskip(NEXT) | instid1(VALU_DEP_2)
	;; [unrolled: 19-line block ×7, first 2 shown]
	s_mov_b32 s2, exec_lo
	v_cmpx_o_f16_e32 v21, v21
	s_cbranch_execz .LBB236_131
; %bb.128:                              ;   in Loop: Header=BB236_67 Depth=1
	s_waitcnt vmcnt(0)
	v_mov_b32_e32 v22, v3
	s_mov_b32 s3, exec_lo
	v_cmpx_o_f16_e32 v3, v3
; %bb.129:                              ;   in Loop: Header=BB236_67 Depth=1
	v_cmp_gt_f16_e32 vcc_lo, v21, v3
	v_cndmask_b32_e32 v22, v11, v3, vcc_lo
; %bb.130:                              ;   in Loop: Header=BB236_67 Depth=1
	s_or_b32 exec_lo, exec_lo, s3
	s_delay_alu instid0(VALU_DEP_1)
	v_mov_b32_e32 v11, v22
.LBB236_131:                            ;   in Loop: Header=BB236_67 Depth=1
	s_or_b32 exec_lo, exec_lo, s2
	s_add_u32 s2, s0, 0x1000
	s_addc_u32 s3, s1, 0
	s_add_u32 s0, s0, 0x2000
	s_addc_u32 s1, s1, 0
	v_add_co_u32 v1, vcc_lo, 0x2000, v1
	v_cmp_lt_i64_e64 s0, s[0:1], s[22:23]
	v_add_co_ci_u32_e32 v2, vcc_lo, 0, v2, vcc_lo
	s_delay_alu instid0(VALU_DEP_2)
	s_and_b32 vcc_lo, exec_lo, s0
	s_cbranch_vccz .LBB236_135
; %bb.132:                              ;   in Loop: Header=BB236_67 Depth=1
	s_mov_b64 s[0:1], s[2:3]
	s_branch .LBB236_67
.LBB236_133:
                                        ; implicit-def: $vgpr2
	s_cbranch_execnz .LBB236_300
	s_branch .LBB236_402
.LBB236_134:
	s_mov_b64 s[2:3], s[0:1]
.LBB236_135:
	s_delay_alu instid0(SALU_CYCLE_1) | instskip(SKIP_4) | instid1(VALU_DEP_1)
	s_sub_i32 s31, s22, s2
	s_lshl_b64 s[0:1], s[2:3], 1
	v_cmp_gt_u32_e64 s14, s31, v0
	s_add_u32 s28, s16, s0
	s_addc_u32 s29, s17, s1
	s_and_saveexec_b32 s0, s14
	s_cbranch_execz .LBB236_137
; %bb.136:
	global_load_u16 v19, v20, s[28:29]
.LBB236_137:
	s_or_b32 exec_lo, exec_lo, s0
	v_or_b32_e32 v1, 0x100, v0
	s_delay_alu instid0(VALU_DEP_1) | instskip(NEXT) | instid1(VALU_DEP_1)
	v_cmp_gt_u32_e64 s13, s31, v1
	s_and_saveexec_b32 s0, s13
	s_cbranch_execz .LBB236_139
; %bb.138:
	global_load_u16 v18, v20, s[28:29] offset:512
.LBB236_139:
	s_or_b32 exec_lo, exec_lo, s0
	v_or_b32_e32 v1, 0x200, v0
	s_delay_alu instid0(VALU_DEP_1) | instskip(NEXT) | instid1(VALU_DEP_1)
	v_cmp_gt_u32_e64 s12, s31, v1
	s_and_saveexec_b32 s0, s12
	s_cbranch_execz .LBB236_141
; %bb.140:
	global_load_u16 v17, v20, s[28:29] offset:1024
.LBB236_141:
	;; [unrolled: 9-line block ×7, first 2 shown]
	s_or_b32 exec_lo, exec_lo, s0
	v_or_b32_e32 v1, 0x800, v0
	s_delay_alu instid0(VALU_DEP_1) | instskip(NEXT) | instid1(VALU_DEP_1)
	v_cmp_gt_u32_e64 s6, s31, v1
	s_and_saveexec_b32 s0, s6
	s_cbranch_execz .LBB236_153
; %bb.152:
	v_lshlrev_b32_e32 v1, 1, v1
	global_load_u16 v10, v1, s[28:29]
.LBB236_153:
	s_or_b32 exec_lo, exec_lo, s0
	v_or_b32_e32 v1, 0x900, v0
	s_delay_alu instid0(VALU_DEP_1) | instskip(NEXT) | instid1(VALU_DEP_1)
	v_cmp_gt_u32_e64 s5, s31, v1
	s_and_saveexec_b32 s0, s5
	s_cbranch_execz .LBB236_155
; %bb.154:
	v_lshlrev_b32_e32 v1, 1, v1
	global_load_u16 v9, v1, s[28:29]
.LBB236_155:
	;; [unrolled: 10-line block ×7, first 2 shown]
	s_or_b32 exec_lo, exec_lo, s33
	v_or_b32_e32 v1, 0xf00, v0
	s_delay_alu instid0(VALU_DEP_1)
	v_cmp_gt_u32_e32 vcc_lo, s31, v1
	s_and_saveexec_b32 s31, vcc_lo
	s_cbranch_execnz .LBB236_182
; %bb.166:
	s_or_b32 exec_lo, exec_lo, s31
	s_and_saveexec_b32 s28, s14
	s_cbranch_execnz .LBB236_183
.LBB236_167:
	s_or_b32 exec_lo, exec_lo, s28
	s_and_saveexec_b32 s14, s13
	s_cbranch_execnz .LBB236_188
.LBB236_168:
	s_or_b32 exec_lo, exec_lo, s14
	s_and_saveexec_b32 s13, s12
	s_cbranch_execnz .LBB236_193
.LBB236_169:
	s_or_b32 exec_lo, exec_lo, s13
	s_and_saveexec_b32 s12, s11
	s_cbranch_execnz .LBB236_198
.LBB236_170:
	s_or_b32 exec_lo, exec_lo, s12
	s_and_saveexec_b32 s11, s10
	s_cbranch_execnz .LBB236_203
.LBB236_171:
	s_or_b32 exec_lo, exec_lo, s11
	s_and_saveexec_b32 s10, s9
	s_cbranch_execnz .LBB236_208
.LBB236_172:
	s_or_b32 exec_lo, exec_lo, s10
	s_and_saveexec_b32 s9, s8
	s_cbranch_execnz .LBB236_213
.LBB236_173:
	s_or_b32 exec_lo, exec_lo, s9
	s_and_saveexec_b32 s8, s7
	s_cbranch_execnz .LBB236_218
.LBB236_174:
	s_or_b32 exec_lo, exec_lo, s8
	s_and_saveexec_b32 s7, s6
	s_cbranch_execnz .LBB236_223
.LBB236_175:
	s_or_b32 exec_lo, exec_lo, s7
	s_and_saveexec_b32 s6, s5
	s_cbranch_execnz .LBB236_228
.LBB236_176:
	s_or_b32 exec_lo, exec_lo, s6
	s_and_saveexec_b32 s5, s4
	s_cbranch_execnz .LBB236_233
.LBB236_177:
	s_or_b32 exec_lo, exec_lo, s5
	s_and_saveexec_b32 s4, s3
	s_cbranch_execnz .LBB236_238
.LBB236_178:
	s_or_b32 exec_lo, exec_lo, s4
	s_and_saveexec_b32 s3, s2
	s_cbranch_execnz .LBB236_243
.LBB236_179:
	s_or_b32 exec_lo, exec_lo, s3
	s_and_saveexec_b32 s2, s1
	s_cbranch_execnz .LBB236_248
.LBB236_180:
	s_or_b32 exec_lo, exec_lo, s2
	s_and_saveexec_b32 s1, s0
	s_cbranch_execnz .LBB236_253
.LBB236_181:
	s_or_b32 exec_lo, exec_lo, s1
	s_and_saveexec_b32 s0, vcc_lo
	s_cbranch_execnz .LBB236_258
	s_branch .LBB236_263
.LBB236_182:
	v_lshlrev_b32_e32 v1, 1, v1
	global_load_u16 v3, v1, s[28:29]
	s_or_b32 exec_lo, exec_lo, s31
	s_and_saveexec_b32 s28, s14
	s_cbranch_execz .LBB236_167
.LBB236_183:
	s_mov_b32 s29, exec_lo
	v_cmpx_o_f16_e32 v11, v11
	s_cbranch_execz .LBB236_187
; %bb.184:
	s_mov_b32 s31, exec_lo
	s_waitcnt vmcnt(0)
	v_cmpx_o_f16_e32 v19, v19
; %bb.185:
	v_cmp_lt_f16_e64 s14, v19, v11
	s_delay_alu instid0(VALU_DEP_1)
	v_cndmask_b32_e64 v19, v11, v19, s14
; %bb.186:
	s_or_b32 exec_lo, exec_lo, s31
	s_delay_alu instid0(VALU_DEP_1)
	v_mov_b32_e32 v11, v19
.LBB236_187:
	s_or_b32 exec_lo, exec_lo, s29
	s_delay_alu instid0(SALU_CYCLE_1)
	s_or_b32 exec_lo, exec_lo, s28
	s_and_saveexec_b32 s14, s13
	s_cbranch_execz .LBB236_168
.LBB236_188:
	s_mov_b32 s28, exec_lo
	v_cmpx_o_f16_e32 v11, v11
	s_cbranch_execz .LBB236_192
; %bb.189:
	s_mov_b32 s29, exec_lo
	s_waitcnt vmcnt(0)
	v_cmpx_o_f16_e32 v18, v18
; %bb.190:
	v_cmp_lt_f16_e64 s13, v18, v11
	s_delay_alu instid0(VALU_DEP_1)
	v_cndmask_b32_e64 v18, v11, v18, s13
; %bb.191:
	s_or_b32 exec_lo, exec_lo, s29
	s_delay_alu instid0(VALU_DEP_1)
	v_mov_b32_e32 v11, v18
.LBB236_192:
	s_or_b32 exec_lo, exec_lo, s28
	s_delay_alu instid0(SALU_CYCLE_1)
	s_or_b32 exec_lo, exec_lo, s14
	s_and_saveexec_b32 s13, s12
	s_cbranch_execz .LBB236_169
.LBB236_193:
	s_mov_b32 s14, exec_lo
	v_cmpx_o_f16_e32 v11, v11
	s_cbranch_execz .LBB236_197
; %bb.194:
	s_mov_b32 s28, exec_lo
	s_waitcnt vmcnt(0)
	v_cmpx_o_f16_e32 v17, v17
; %bb.195:
	v_cmp_lt_f16_e64 s12, v17, v11
	s_delay_alu instid0(VALU_DEP_1)
	v_cndmask_b32_e64 v17, v11, v17, s12
; %bb.196:
	s_or_b32 exec_lo, exec_lo, s28
	s_delay_alu instid0(VALU_DEP_1)
	v_mov_b32_e32 v11, v17
.LBB236_197:
	s_or_b32 exec_lo, exec_lo, s14
	s_delay_alu instid0(SALU_CYCLE_1)
	s_or_b32 exec_lo, exec_lo, s13
	s_and_saveexec_b32 s12, s11
	s_cbranch_execz .LBB236_170
.LBB236_198:
	s_mov_b32 s13, exec_lo
	v_cmpx_o_f16_e32 v11, v11
	s_cbranch_execz .LBB236_202
; %bb.199:
	s_mov_b32 s14, exec_lo
	s_waitcnt vmcnt(0)
	v_cmpx_o_f16_e32 v16, v16
; %bb.200:
	v_cmp_lt_f16_e64 s11, v16, v11
	s_delay_alu instid0(VALU_DEP_1)
	v_cndmask_b32_e64 v16, v11, v16, s11
; %bb.201:
	s_or_b32 exec_lo, exec_lo, s14
	s_delay_alu instid0(VALU_DEP_1)
	v_mov_b32_e32 v11, v16
.LBB236_202:
	s_or_b32 exec_lo, exec_lo, s13
	s_delay_alu instid0(SALU_CYCLE_1)
	s_or_b32 exec_lo, exec_lo, s12
	s_and_saveexec_b32 s11, s10
	s_cbranch_execz .LBB236_171
.LBB236_203:
	s_mov_b32 s12, exec_lo
	v_cmpx_o_f16_e32 v11, v11
	s_cbranch_execz .LBB236_207
; %bb.204:
	s_mov_b32 s13, exec_lo
	s_waitcnt vmcnt(0)
	v_cmpx_o_f16_e32 v15, v15
; %bb.205:
	v_cmp_lt_f16_e64 s10, v15, v11
	s_delay_alu instid0(VALU_DEP_1)
	v_cndmask_b32_e64 v15, v11, v15, s10
; %bb.206:
	s_or_b32 exec_lo, exec_lo, s13
	s_delay_alu instid0(VALU_DEP_1)
	v_mov_b32_e32 v11, v15
.LBB236_207:
	s_or_b32 exec_lo, exec_lo, s12
	s_delay_alu instid0(SALU_CYCLE_1)
	s_or_b32 exec_lo, exec_lo, s11
	s_and_saveexec_b32 s10, s9
	s_cbranch_execz .LBB236_172
.LBB236_208:
	s_mov_b32 s11, exec_lo
	v_cmpx_o_f16_e32 v11, v11
	s_cbranch_execz .LBB236_212
; %bb.209:
	s_mov_b32 s12, exec_lo
	s_waitcnt vmcnt(0)
	v_cmpx_o_f16_e32 v14, v14
; %bb.210:
	v_cmp_lt_f16_e64 s9, v14, v11
	s_delay_alu instid0(VALU_DEP_1)
	v_cndmask_b32_e64 v14, v11, v14, s9
; %bb.211:
	s_or_b32 exec_lo, exec_lo, s12
	s_delay_alu instid0(VALU_DEP_1)
	v_mov_b32_e32 v11, v14
.LBB236_212:
	s_or_b32 exec_lo, exec_lo, s11
	s_delay_alu instid0(SALU_CYCLE_1)
	s_or_b32 exec_lo, exec_lo, s10
	s_and_saveexec_b32 s9, s8
	s_cbranch_execz .LBB236_173
.LBB236_213:
	s_mov_b32 s10, exec_lo
	v_cmpx_o_f16_e32 v11, v11
	s_cbranch_execz .LBB236_217
; %bb.214:
	s_mov_b32 s11, exec_lo
	s_waitcnt vmcnt(0)
	v_cmpx_o_f16_e32 v13, v13
; %bb.215:
	v_cmp_lt_f16_e64 s8, v13, v11
	s_delay_alu instid0(VALU_DEP_1)
	v_cndmask_b32_e64 v13, v11, v13, s8
; %bb.216:
	s_or_b32 exec_lo, exec_lo, s11
	s_delay_alu instid0(VALU_DEP_1)
	v_mov_b32_e32 v11, v13
.LBB236_217:
	s_or_b32 exec_lo, exec_lo, s10
	s_delay_alu instid0(SALU_CYCLE_1)
	s_or_b32 exec_lo, exec_lo, s9
	s_and_saveexec_b32 s8, s7
	s_cbranch_execz .LBB236_174
.LBB236_218:
	s_mov_b32 s9, exec_lo
	v_cmpx_o_f16_e32 v11, v11
	s_cbranch_execz .LBB236_222
; %bb.219:
	s_mov_b32 s10, exec_lo
	s_waitcnt vmcnt(0)
	v_cmpx_o_f16_e32 v12, v12
; %bb.220:
	v_cmp_lt_f16_e64 s7, v12, v11
	s_delay_alu instid0(VALU_DEP_1)
	v_cndmask_b32_e64 v12, v11, v12, s7
; %bb.221:
	s_or_b32 exec_lo, exec_lo, s10
	s_delay_alu instid0(VALU_DEP_1)
	v_mov_b32_e32 v11, v12
.LBB236_222:
	s_or_b32 exec_lo, exec_lo, s9
	s_delay_alu instid0(SALU_CYCLE_1)
	s_or_b32 exec_lo, exec_lo, s8
	s_and_saveexec_b32 s7, s6
	s_cbranch_execz .LBB236_175
.LBB236_223:
	s_mov_b32 s8, exec_lo
	v_cmpx_o_f16_e32 v11, v11
	s_cbranch_execz .LBB236_227
; %bb.224:
	s_mov_b32 s9, exec_lo
	s_waitcnt vmcnt(0)
	v_cmpx_o_f16_e32 v10, v10
; %bb.225:
	v_cmp_lt_f16_e64 s6, v10, v11
	s_delay_alu instid0(VALU_DEP_1)
	v_cndmask_b32_e64 v10, v11, v10, s6
; %bb.226:
	s_or_b32 exec_lo, exec_lo, s9
	s_delay_alu instid0(VALU_DEP_1)
	v_mov_b32_e32 v11, v10
.LBB236_227:
	s_or_b32 exec_lo, exec_lo, s8
	s_delay_alu instid0(SALU_CYCLE_1)
	s_or_b32 exec_lo, exec_lo, s7
	s_and_saveexec_b32 s6, s5
	s_cbranch_execz .LBB236_176
.LBB236_228:
	s_mov_b32 s7, exec_lo
	v_cmpx_o_f16_e32 v11, v11
	s_cbranch_execz .LBB236_232
; %bb.229:
	s_mov_b32 s8, exec_lo
	s_waitcnt vmcnt(0)
	v_cmpx_o_f16_e32 v9, v9
; %bb.230:
	v_cmp_lt_f16_e64 s5, v9, v11
	s_delay_alu instid0(VALU_DEP_1)
	v_cndmask_b32_e64 v9, v11, v9, s5
; %bb.231:
	s_or_b32 exec_lo, exec_lo, s8
	s_delay_alu instid0(VALU_DEP_1)
	v_mov_b32_e32 v11, v9
.LBB236_232:
	s_or_b32 exec_lo, exec_lo, s7
	s_delay_alu instid0(SALU_CYCLE_1)
	s_or_b32 exec_lo, exec_lo, s6
	s_and_saveexec_b32 s5, s4
	s_cbranch_execz .LBB236_177
.LBB236_233:
	s_mov_b32 s6, exec_lo
	v_cmpx_o_f16_e32 v11, v11
	s_cbranch_execz .LBB236_237
; %bb.234:
	s_mov_b32 s7, exec_lo
	s_waitcnt vmcnt(0)
	v_cmpx_o_f16_e32 v8, v8
; %bb.235:
	v_cmp_lt_f16_e64 s4, v8, v11
	s_delay_alu instid0(VALU_DEP_1)
	v_cndmask_b32_e64 v8, v11, v8, s4
; %bb.236:
	s_or_b32 exec_lo, exec_lo, s7
	s_delay_alu instid0(VALU_DEP_1)
	v_mov_b32_e32 v11, v8
.LBB236_237:
	s_or_b32 exec_lo, exec_lo, s6
	s_delay_alu instid0(SALU_CYCLE_1)
	s_or_b32 exec_lo, exec_lo, s5
	s_and_saveexec_b32 s4, s3
	s_cbranch_execz .LBB236_178
.LBB236_238:
	s_mov_b32 s5, exec_lo
	v_cmpx_o_f16_e32 v11, v11
	s_cbranch_execz .LBB236_242
; %bb.239:
	s_mov_b32 s6, exec_lo
	s_waitcnt vmcnt(0)
	v_cmpx_o_f16_e32 v7, v7
; %bb.240:
	v_cmp_lt_f16_e64 s3, v7, v11
	s_delay_alu instid0(VALU_DEP_1)
	v_cndmask_b32_e64 v7, v11, v7, s3
; %bb.241:
	s_or_b32 exec_lo, exec_lo, s6
	s_delay_alu instid0(VALU_DEP_1)
	v_mov_b32_e32 v11, v7
.LBB236_242:
	s_or_b32 exec_lo, exec_lo, s5
	s_delay_alu instid0(SALU_CYCLE_1)
	s_or_b32 exec_lo, exec_lo, s4
	s_and_saveexec_b32 s3, s2
	s_cbranch_execz .LBB236_179
.LBB236_243:
	s_mov_b32 s4, exec_lo
	v_cmpx_o_f16_e32 v11, v11
	s_cbranch_execz .LBB236_247
; %bb.244:
	s_mov_b32 s5, exec_lo
	s_waitcnt vmcnt(0)
	v_cmpx_o_f16_e32 v6, v6
; %bb.245:
	v_cmp_lt_f16_e64 s2, v6, v11
	s_delay_alu instid0(VALU_DEP_1)
	v_cndmask_b32_e64 v6, v11, v6, s2
; %bb.246:
	s_or_b32 exec_lo, exec_lo, s5
	s_delay_alu instid0(VALU_DEP_1)
	v_mov_b32_e32 v11, v6
.LBB236_247:
	s_or_b32 exec_lo, exec_lo, s4
	s_delay_alu instid0(SALU_CYCLE_1)
	s_or_b32 exec_lo, exec_lo, s3
	s_and_saveexec_b32 s2, s1
	s_cbranch_execz .LBB236_180
.LBB236_248:
	s_mov_b32 s3, exec_lo
	v_cmpx_o_f16_e32 v11, v11
	s_cbranch_execz .LBB236_252
; %bb.249:
	s_mov_b32 s4, exec_lo
	s_waitcnt vmcnt(0)
	v_cmpx_o_f16_e32 v5, v5
; %bb.250:
	v_cmp_lt_f16_e64 s1, v5, v11
	s_delay_alu instid0(VALU_DEP_1)
	v_cndmask_b32_e64 v5, v11, v5, s1
; %bb.251:
	s_or_b32 exec_lo, exec_lo, s4
	s_delay_alu instid0(VALU_DEP_1)
	v_mov_b32_e32 v11, v5
.LBB236_252:
	s_or_b32 exec_lo, exec_lo, s3
	s_delay_alu instid0(SALU_CYCLE_1)
	s_or_b32 exec_lo, exec_lo, s2
	s_and_saveexec_b32 s1, s0
	s_cbranch_execz .LBB236_181
.LBB236_253:
	s_mov_b32 s2, exec_lo
	v_cmpx_o_f16_e32 v11, v11
	s_cbranch_execz .LBB236_257
; %bb.254:
	s_mov_b32 s3, exec_lo
	s_waitcnt vmcnt(0)
	v_cmpx_o_f16_e32 v4, v4
; %bb.255:
	v_cmp_lt_f16_e64 s0, v4, v11
	s_delay_alu instid0(VALU_DEP_1)
	v_cndmask_b32_e64 v4, v11, v4, s0
; %bb.256:
	s_or_b32 exec_lo, exec_lo, s3
	s_delay_alu instid0(VALU_DEP_1)
	v_mov_b32_e32 v11, v4
.LBB236_257:
	s_or_b32 exec_lo, exec_lo, s2
	s_delay_alu instid0(SALU_CYCLE_1)
	s_or_b32 exec_lo, exec_lo, s1
	s_and_saveexec_b32 s0, vcc_lo
	s_cbranch_execz .LBB236_263
.LBB236_258:
	s_mov_b32 s1, exec_lo
	v_cmpx_o_f16_e32 v11, v11
	s_cbranch_execz .LBB236_262
; %bb.259:
	s_mov_b32 s2, exec_lo
	s_waitcnt vmcnt(0)
	v_cmpx_o_f16_e32 v3, v3
; %bb.260:
	v_cmp_lt_f16_e32 vcc_lo, v3, v11
	v_cndmask_b32_e32 v3, v11, v3, vcc_lo
; %bb.261:
	s_or_b32 exec_lo, exec_lo, s2
	s_delay_alu instid0(VALU_DEP_1)
	v_mov_b32_e32 v11, v3
.LBB236_262:
	s_or_b32 exec_lo, exec_lo, s1
.LBB236_263:
	s_delay_alu instid0(SALU_CYCLE_1) | instskip(NEXT) | instid1(VALU_DEP_1)
	s_or_b32 exec_lo, exec_lo, s0
	v_and_b32_e32 v1, 0xffff, v11
	s_mov_b32 s0, exec_lo
	s_delay_alu instid0(VALU_DEP_1) | instskip(NEXT) | instid1(VALU_DEP_1)
	v_mov_b32_dpp v1, v1 quad_perm:[1,0,3,2] row_mask:0xf bank_mask:0xf
	v_cmpx_o_f16_e32 v1, v1
	s_xor_b32 s0, exec_lo, s0
	s_cbranch_execz .LBB236_267
; %bb.264:
	s_mov_b32 s1, exec_lo
	v_cmpx_o_f16_e32 v11, v11
; %bb.265:
	v_cmp_lt_f16_e32 vcc_lo, v11, v1
	v_cndmask_b32_e32 v11, v1, v11, vcc_lo
; %bb.266:
	s_or_b32 exec_lo, exec_lo, s1
	s_delay_alu instid0(VALU_DEP_1)
	v_mov_b32_e32 v1, v11
.LBB236_267:
	s_or_b32 exec_lo, exec_lo, s0
	s_delay_alu instid0(VALU_DEP_1) | instskip(SKIP_1) | instid1(VALU_DEP_1)
	v_and_b32_e32 v2, 0xffff, v1
	s_mov_b32 s0, exec_lo
	v_mov_b32_dpp v2, v2 quad_perm:[2,3,0,1] row_mask:0xf bank_mask:0xf
	s_delay_alu instid0(VALU_DEP_1)
	v_cmpx_o_f16_e32 v2, v2
	s_cbranch_execz .LBB236_271
; %bb.268:
	s_mov_b32 s1, exec_lo
	v_cmpx_o_f16_e32 v1, v1
; %bb.269:
	v_cmp_lt_f16_e32 vcc_lo, v1, v2
	v_cndmask_b32_e32 v1, v2, v1, vcc_lo
; %bb.270:
	s_or_b32 exec_lo, exec_lo, s1
	s_delay_alu instid0(VALU_DEP_1)
	v_mov_b32_e32 v2, v1
.LBB236_271:
	s_or_b32 exec_lo, exec_lo, s0
	s_delay_alu instid0(VALU_DEP_1) | instskip(SKIP_1) | instid1(VALU_DEP_1)
	v_and_b32_e32 v1, 0xffff, v2
	s_mov_b32 s0, exec_lo
	v_mov_b32_dpp v1, v1 row_ror:4 row_mask:0xf bank_mask:0xf
	s_delay_alu instid0(VALU_DEP_1)
	v_cmpx_o_f16_e32 v1, v1
	s_cbranch_execz .LBB236_275
; %bb.272:
	s_mov_b32 s1, exec_lo
	v_cmpx_o_f16_e32 v2, v2
; %bb.273:
	v_cmp_lt_f16_e32 vcc_lo, v2, v1
	v_cndmask_b32_e32 v2, v1, v2, vcc_lo
; %bb.274:
	s_or_b32 exec_lo, exec_lo, s1
	s_delay_alu instid0(VALU_DEP_1)
	v_mov_b32_e32 v1, v2
.LBB236_275:
	s_or_b32 exec_lo, exec_lo, s0
	s_delay_alu instid0(VALU_DEP_1) | instskip(SKIP_1) | instid1(VALU_DEP_1)
	v_and_b32_e32 v2, 0xffff, v1
	s_mov_b32 s0, exec_lo
	v_mov_b32_dpp v2, v2 row_ror:8 row_mask:0xf bank_mask:0xf
	s_delay_alu instid0(VALU_DEP_1)
	v_cmpx_o_f16_e32 v2, v2
	s_cbranch_execz .LBB236_279
; %bb.276:
	s_mov_b32 s1, exec_lo
	v_cmpx_o_f16_e32 v1, v1
; %bb.277:
	v_cmp_lt_f16_e32 vcc_lo, v1, v2
	v_cndmask_b32_e32 v1, v2, v1, vcc_lo
; %bb.278:
	s_or_b32 exec_lo, exec_lo, s1
	s_delay_alu instid0(VALU_DEP_1)
	v_mov_b32_e32 v2, v1
.LBB236_279:
	s_or_b32 exec_lo, exec_lo, s0
	s_delay_alu instid0(VALU_DEP_1)
	v_and_b32_e32 v1, 0xffff, v2
	s_mov_b32 s0, exec_lo
	ds_swizzle_b32 v1, v1 offset:swizzle(BROADCAST,32,15)
	s_waitcnt lgkmcnt(0)
	v_cmpx_o_f16_e32 v1, v1
	s_cbranch_execz .LBB236_283
; %bb.280:
	s_mov_b32 s1, exec_lo
	v_cmpx_o_f16_e32 v2, v2
; %bb.281:
	v_cmp_lt_f16_e32 vcc_lo, v2, v1
	v_cndmask_b32_e32 v2, v1, v2, vcc_lo
; %bb.282:
	s_or_b32 exec_lo, exec_lo, s1
	s_delay_alu instid0(VALU_DEP_1)
	v_mov_b32_e32 v1, v2
.LBB236_283:
	s_or_b32 exec_lo, exec_lo, s0
	s_delay_alu instid0(VALU_DEP_1) | instskip(SKIP_3) | instid1(VALU_DEP_1)
	v_dual_mov_b32 v2, 0 :: v_dual_and_b32 v1, 0xffff, v1
	s_mov_b32 s0, exec_lo
	ds_bpermute_b32 v2, v2, v1 offset:124
	v_mbcnt_lo_u32_b32 v1, -1, 0
	v_cmpx_eq_u32_e32 0, v1
	s_cbranch_execz .LBB236_285
; %bb.284:
	s_waitcnt vmcnt(0)
	v_lshrrev_b32_e32 v3, 4, v0
	s_delay_alu instid0(VALU_DEP_1)
	v_and_b32_e32 v3, 14, v3
	s_waitcnt lgkmcnt(0)
	ds_store_b16 v3, v2
.LBB236_285:
	s_or_b32 exec_lo, exec_lo, s0
	s_delay_alu instid0(SALU_CYCLE_1)
	s_mov_b32 s0, exec_lo
	s_waitcnt vmcnt(0) lgkmcnt(0)
	s_barrier
	buffer_gl0_inv
	v_cmpx_gt_u32_e32 32, v0
	s_cbranch_execz .LBB236_299
; %bb.286:
	v_and_b32_e32 v3, 7, v1
	s_mov_b32 s1, exec_lo
	s_delay_alu instid0(VALU_DEP_1) | instskip(SKIP_3) | instid1(VALU_DEP_1)
	v_lshlrev_b32_e32 v2, 1, v3
	v_cmp_ne_u32_e32 vcc_lo, 7, v3
	ds_load_u16 v2, v2
	v_add_co_ci_u32_e32 v4, vcc_lo, 0, v1, vcc_lo
	v_lshlrev_b32_e32 v4, 2, v4
	s_waitcnt lgkmcnt(0)
	v_and_b32_e32 v5, 0xffff, v2
	ds_bpermute_b32 v4, v4, v5
	v_cmpx_o_f16_e32 v2, v2
	s_cbranch_execz .LBB236_290
; %bb.287:
	s_mov_b32 s2, exec_lo
	s_waitcnt lgkmcnt(0)
	v_cmpx_o_f16_e32 v4, v4
; %bb.288:
	v_cmp_gt_f16_e32 vcc_lo, v2, v4
	v_cndmask_b32_e32 v4, v2, v4, vcc_lo
; %bb.289:
	s_or_b32 exec_lo, exec_lo, s2
	s_delay_alu instid0(VALU_DEP_1)
	v_mov_b32_e32 v2, v4
.LBB236_290:
	s_or_b32 exec_lo, exec_lo, s1
	v_cmp_gt_u32_e32 vcc_lo, 6, v3
	s_delay_alu instid0(VALU_DEP_2) | instskip(SKIP_3) | instid1(VALU_DEP_1)
	v_and_b32_e32 v5, 0xffff, v2
	s_mov_b32 s1, exec_lo
	s_waitcnt lgkmcnt(0)
	v_cndmask_b32_e64 v4, 0, 1, vcc_lo
	v_lshlrev_b32_e32 v4, 1, v4
	s_delay_alu instid0(VALU_DEP_1)
	v_add_lshl_u32 v4, v4, v1, 2
	ds_bpermute_b32 v4, v4, v5
	v_cmpx_o_f16_e32 v2, v2
	s_cbranch_execz .LBB236_294
; %bb.291:
	s_mov_b32 s2, exec_lo
	s_waitcnt lgkmcnt(0)
	v_cmpx_o_f16_e32 v4, v4
; %bb.292:
	v_cmp_gt_f16_e32 vcc_lo, v2, v4
	v_cndmask_b32_e32 v4, v2, v4, vcc_lo
; %bb.293:
	s_or_b32 exec_lo, exec_lo, s2
	s_delay_alu instid0(VALU_DEP_1)
	v_mov_b32_e32 v2, v4
.LBB236_294:
	s_or_b32 exec_lo, exec_lo, s1
	v_cmp_gt_u32_e32 vcc_lo, 4, v3
	s_waitcnt lgkmcnt(0)
	s_delay_alu instid0(VALU_DEP_2) | instskip(SKIP_2) | instid1(VALU_DEP_1)
	v_and_b32_e32 v4, 0xffff, v2
	s_mov_b32 s1, exec_lo
	v_cndmask_b32_e64 v3, 0, 1, vcc_lo
	v_lshlrev_b32_e32 v3, 2, v3
	s_delay_alu instid0(VALU_DEP_1)
	v_add_lshl_u32 v1, v3, v1, 2
	ds_bpermute_b32 v1, v1, v4
	v_cmpx_o_f16_e32 v2, v2
	s_cbranch_execz .LBB236_298
; %bb.295:
	s_mov_b32 s2, exec_lo
	s_waitcnt lgkmcnt(0)
	v_cmpx_o_f16_e32 v1, v1
; %bb.296:
	v_cmp_gt_f16_e32 vcc_lo, v2, v1
	v_cndmask_b32_e32 v1, v2, v1, vcc_lo
; %bb.297:
	s_or_b32 exec_lo, exec_lo, s2
	s_delay_alu instid0(VALU_DEP_1)
	v_mov_b32_e32 v2, v1
.LBB236_298:
	s_or_b32 exec_lo, exec_lo, s1
.LBB236_299:
	s_delay_alu instid0(SALU_CYCLE_1)
	s_or_b32 exec_lo, exec_lo, s0
	s_branch .LBB236_402
.LBB236_300:
	s_sub_i32 s1, s22, s26
	s_mov_b32 s2, exec_lo
                                        ; implicit-def: $vgpr5
	v_cmpx_gt_u32_e64 s1, v0
	s_cbranch_execz .LBB236_310
; %bb.301:
	s_waitcnt lgkmcnt(0)
	v_add_co_u32 v1, s0, s26, v0
	s_delay_alu instid0(VALU_DEP_1) | instskip(SKIP_1) | instid1(VALU_DEP_1)
	v_add_co_ci_u32_e64 v2, null, s27, 0, s0
	s_mov_b32 s3, exec_lo
	v_lshlrev_b64 v[3:4], 1, v[1:2]
	s_delay_alu instid0(VALU_DEP_1) | instskip(NEXT) | instid1(VALU_DEP_2)
	v_add_co_u32 v3, vcc_lo, s16, v3
	v_add_co_ci_u32_e32 v4, vcc_lo, s17, v4, vcc_lo
	v_add_co_u32 v1, vcc_lo, 0x100, v1
	v_add_co_ci_u32_e32 v2, vcc_lo, 0, v2, vcc_lo
	global_load_u16 v5, v[3:4], off
	v_cmpx_gt_i64_e64 s[22:23], v[1:2]
	s_cbranch_execz .LBB236_309
; %bb.302:
	v_add_co_u32 v3, vcc_lo, 0x200, v3
	v_add_co_ci_u32_e32 v4, vcc_lo, 0, v4, vcc_lo
	s_mov_b32 s4, 0
	s_set_inst_prefetch_distance 0x1
	s_branch .LBB236_305
	.p2align	6
.LBB236_303:                            ;   in Loop: Header=BB236_305 Depth=1
	s_or_b32 exec_lo, exec_lo, s5
	s_delay_alu instid0(VALU_DEP_1)
	v_mov_b32_e32 v5, v6
.LBB236_304:                            ;   in Loop: Header=BB236_305 Depth=1
	s_or_b32 exec_lo, exec_lo, s0
	v_add_co_u32 v1, vcc_lo, 0x100, v1
	v_add_co_ci_u32_e32 v2, vcc_lo, 0, v2, vcc_lo
	v_add_co_u32 v3, s0, 0x200, v3
	s_delay_alu instid0(VALU_DEP_1) | instskip(NEXT) | instid1(VALU_DEP_3)
	v_add_co_ci_u32_e64 v4, s0, 0, v4, s0
	v_cmp_le_i64_e32 vcc_lo, s[22:23], v[1:2]
	s_or_b32 s4, vcc_lo, s4
	s_delay_alu instid0(SALU_CYCLE_1)
	s_and_not1_b32 exec_lo, exec_lo, s4
	s_cbranch_execz .LBB236_308
.LBB236_305:                            ; =>This Inner Loop Header: Depth=1
	s_mov_b32 s0, exec_lo
	s_waitcnt vmcnt(0)
	v_cmpx_o_f16_e32 v5, v5
	s_cbranch_execz .LBB236_304
; %bb.306:                              ;   in Loop: Header=BB236_305 Depth=1
	global_load_u16 v6, v[3:4], off
	s_mov_b32 s5, exec_lo
	s_waitcnt vmcnt(0)
	v_cmpx_o_f16_e32 v6, v6
	s_cbranch_execz .LBB236_303
; %bb.307:                              ;   in Loop: Header=BB236_305 Depth=1
	v_cmp_lt_f16_e32 vcc_lo, v6, v5
	v_cndmask_b32_e32 v6, v5, v6, vcc_lo
	s_branch .LBB236_303
.LBB236_308:
	s_set_inst_prefetch_distance 0x2
	s_or_b32 exec_lo, exec_lo, s4
.LBB236_309:
	s_delay_alu instid0(SALU_CYCLE_1)
	s_or_b32 exec_lo, exec_lo, s3
.LBB236_310:
	s_delay_alu instid0(SALU_CYCLE_1)
	s_or_b32 exec_lo, exec_lo, s2
	v_lshrrev_b32_e32 v3, 5, v0
	s_waitcnt lgkmcnt(0)
	v_mbcnt_lo_u32_b32 v1, -1, 0
	s_waitcnt vmcnt(0)
	v_and_b32_e32 v4, 0xffff, v5
	s_cmpk_lt_u32 s1, 0x100
	s_mov_b32 s0, -1
	s_cbranch_scc0 .LBB236_364
; %bb.311:
	v_cmp_ne_u32_e32 vcc_lo, 31, v1
	v_mov_b32_e32 v7, v4
	v_add_co_ci_u32_e32 v2, vcc_lo, 0, v1, vcc_lo
	s_delay_alu instid0(VALU_DEP_1) | instskip(SKIP_2) | instid1(VALU_DEP_1)
	v_lshlrev_b32_e32 v2, 2, v2
	ds_bpermute_b32 v8, v2, v4
	v_and_b32_e32 v2, 0xe0, v0
	v_sub_nc_u32_e64 v6, s1, v2 clamp
	v_add_nc_u32_e32 v2, 1, v1
	s_delay_alu instid0(VALU_DEP_1)
	v_cmp_lt_u32_e32 vcc_lo, v2, v6
	v_mov_b32_e32 v2, v5
	s_and_saveexec_b32 s0, vcc_lo
	s_cbranch_execz .LBB236_317
; %bb.312:
	v_mov_b32_e32 v2, v5
	s_mov_b32 s2, exec_lo
	v_cmpx_o_f16_e32 v5, v5
	s_cbranch_execz .LBB236_316
; %bb.313:
	s_mov_b32 s3, exec_lo
	s_waitcnt lgkmcnt(0)
	v_cmpx_o_f16_e32 v8, v8
; %bb.314:
	v_cmp_gt_f16_e32 vcc_lo, v5, v8
	v_cndmask_b32_e32 v8, v5, v8, vcc_lo
; %bb.315:
	s_or_b32 exec_lo, exec_lo, s3
	s_delay_alu instid0(VALU_DEP_1)
	v_mov_b32_e32 v2, v8
.LBB236_316:
	s_or_b32 exec_lo, exec_lo, s2
	s_delay_alu instid0(VALU_DEP_1)
	v_and_b32_e32 v7, 0xffff, v2
.LBB236_317:
	s_or_b32 exec_lo, exec_lo, s0
	v_cmp_gt_u32_e32 vcc_lo, 30, v1
	v_add_nc_u32_e32 v9, 2, v1
	s_mov_b32 s0, exec_lo
	s_waitcnt lgkmcnt(0)
	v_cndmask_b32_e64 v8, 0, 1, vcc_lo
	s_delay_alu instid0(VALU_DEP_1) | instskip(NEXT) | instid1(VALU_DEP_1)
	v_lshlrev_b32_e32 v8, 1, v8
	v_add_lshl_u32 v8, v8, v1, 2
	ds_bpermute_b32 v8, v8, v7
	v_cmpx_lt_u32_e64 v9, v6
	s_cbranch_execz .LBB236_323
; %bb.318:
	s_mov_b32 s2, exec_lo
	v_cmpx_o_f16_e32 v2, v2
	s_cbranch_execz .LBB236_322
; %bb.319:
	s_mov_b32 s3, exec_lo
	s_waitcnt lgkmcnt(0)
	v_cmpx_o_f16_e32 v8, v8
; %bb.320:
	v_cmp_gt_f16_e32 vcc_lo, v2, v8
	v_cndmask_b32_e32 v8, v2, v8, vcc_lo
; %bb.321:
	s_or_b32 exec_lo, exec_lo, s3
	s_delay_alu instid0(VALU_DEP_1)
	v_mov_b32_e32 v2, v8
.LBB236_322:
	s_or_b32 exec_lo, exec_lo, s2
	s_delay_alu instid0(VALU_DEP_1)
	v_and_b32_e32 v7, 0xffff, v2
.LBB236_323:
	s_or_b32 exec_lo, exec_lo, s0
	v_cmp_gt_u32_e32 vcc_lo, 28, v1
	v_add_nc_u32_e32 v9, 4, v1
	s_mov_b32 s0, exec_lo
	s_waitcnt lgkmcnt(0)
	v_cndmask_b32_e64 v8, 0, 1, vcc_lo
	s_delay_alu instid0(VALU_DEP_1) | instskip(NEXT) | instid1(VALU_DEP_1)
	v_lshlrev_b32_e32 v8, 2, v8
	v_add_lshl_u32 v8, v8, v1, 2
	ds_bpermute_b32 v8, v8, v7
	v_cmpx_lt_u32_e64 v9, v6
	s_cbranch_execz .LBB236_329
; %bb.324:
	s_mov_b32 s2, exec_lo
	v_cmpx_o_f16_e32 v2, v2
	s_cbranch_execz .LBB236_328
; %bb.325:
	s_mov_b32 s3, exec_lo
	s_waitcnt lgkmcnt(0)
	v_cmpx_o_f16_e32 v8, v8
; %bb.326:
	v_cmp_gt_f16_e32 vcc_lo, v2, v8
	v_cndmask_b32_e32 v8, v2, v8, vcc_lo
; %bb.327:
	s_or_b32 exec_lo, exec_lo, s3
	s_delay_alu instid0(VALU_DEP_1)
	v_mov_b32_e32 v2, v8
.LBB236_328:
	s_or_b32 exec_lo, exec_lo, s2
	s_delay_alu instid0(VALU_DEP_1)
	v_and_b32_e32 v7, 0xffff, v2
.LBB236_329:
	;; [unrolled: 32-line block ×3, first 2 shown]
	s_or_b32 exec_lo, exec_lo, s0
	v_cmp_gt_u32_e32 vcc_lo, 16, v1
	s_mov_b32 s0, exec_lo
	s_waitcnt lgkmcnt(0)
	v_cndmask_b32_e64 v8, 0, 1, vcc_lo
	s_delay_alu instid0(VALU_DEP_1) | instskip(NEXT) | instid1(VALU_DEP_1)
	v_lshlrev_b32_e32 v8, 4, v8
	v_add_lshl_u32 v8, v8, v1, 2
	ds_bpermute_b32 v7, v8, v7
	v_add_nc_u32_e32 v8, 16, v1
	s_delay_alu instid0(VALU_DEP_1)
	v_cmpx_lt_u32_e64 v8, v6
	s_cbranch_execz .LBB236_341
; %bb.336:
	s_mov_b32 s2, exec_lo
	v_cmpx_o_f16_e32 v2, v2
	s_cbranch_execz .LBB236_340
; %bb.337:
	s_mov_b32 s3, exec_lo
	s_waitcnt lgkmcnt(0)
	v_cmpx_o_f16_e32 v7, v7
; %bb.338:
	v_cmp_gt_f16_e32 vcc_lo, v2, v7
	v_cndmask_b32_e32 v7, v2, v7, vcc_lo
; %bb.339:
	s_or_b32 exec_lo, exec_lo, s3
	s_delay_alu instid0(VALU_DEP_1)
	v_mov_b32_e32 v2, v7
.LBB236_340:
	s_or_b32 exec_lo, exec_lo, s2
.LBB236_341:
	s_delay_alu instid0(SALU_CYCLE_1) | instskip(NEXT) | instid1(SALU_CYCLE_1)
	s_or_b32 exec_lo, exec_lo, s0
	s_mov_b32 s0, exec_lo
	v_cmpx_eq_u32_e32 0, v1
	s_cbranch_execz .LBB236_343
; %bb.342:
	v_lshlrev_b32_e32 v6, 1, v3
	ds_store_b16 v6, v2
.LBB236_343:
	s_or_b32 exec_lo, exec_lo, s0
	s_delay_alu instid0(SALU_CYCLE_1)
	s_mov_b32 s0, exec_lo
	s_waitcnt lgkmcnt(0)
	s_barrier
	buffer_gl0_inv
	v_cmpx_gt_u32_e32 8, v0
	s_cbranch_execz .LBB236_363
; %bb.344:
	v_lshlrev_b32_e32 v2, 1, v1
	v_and_b32_e32 v6, 7, v1
	s_add_i32 s1, s1, 31
	s_mov_b32 s2, exec_lo
	s_lshr_b32 s1, s1, 5
	ds_load_u16 v2, v2
	v_cmp_ne_u32_e32 vcc_lo, 7, v6
	v_add_nc_u32_e32 v9, 1, v6
	v_add_co_ci_u32_e32 v8, vcc_lo, 0, v1, vcc_lo
	s_delay_alu instid0(VALU_DEP_1)
	v_lshlrev_b32_e32 v8, 2, v8
	s_waitcnt lgkmcnt(0)
	v_and_b32_e32 v7, 0xffff, v2
	ds_bpermute_b32 v8, v8, v7
	v_cmpx_gt_u32_e64 s1, v9
	s_cbranch_execz .LBB236_350
; %bb.345:
	s_mov_b32 s3, exec_lo
	v_cmpx_o_f16_e32 v2, v2
	s_cbranch_execz .LBB236_349
; %bb.346:
	s_mov_b32 s4, exec_lo
	s_waitcnt lgkmcnt(0)
	v_cmpx_o_f16_e32 v8, v8
; %bb.347:
	v_cmp_gt_f16_e32 vcc_lo, v2, v8
	v_cndmask_b32_e32 v8, v2, v8, vcc_lo
; %bb.348:
	s_or_b32 exec_lo, exec_lo, s4
	s_delay_alu instid0(VALU_DEP_1)
	v_mov_b32_e32 v2, v8
.LBB236_349:
	s_or_b32 exec_lo, exec_lo, s3
	s_delay_alu instid0(VALU_DEP_1)
	v_and_b32_e32 v7, 0xffff, v2
.LBB236_350:
	s_or_b32 exec_lo, exec_lo, s2
	v_cmp_gt_u32_e32 vcc_lo, 6, v6
	v_add_nc_u32_e32 v9, 2, v6
	s_mov_b32 s2, exec_lo
	s_waitcnt lgkmcnt(0)
	v_cndmask_b32_e64 v8, 0, 1, vcc_lo
	s_delay_alu instid0(VALU_DEP_1) | instskip(NEXT) | instid1(VALU_DEP_1)
	v_lshlrev_b32_e32 v8, 1, v8
	v_add_lshl_u32 v8, v8, v1, 2
	ds_bpermute_b32 v8, v8, v7
	v_cmpx_gt_u32_e64 s1, v9
	s_cbranch_execz .LBB236_356
; %bb.351:
	s_mov_b32 s3, exec_lo
	v_cmpx_o_f16_e32 v2, v2
	s_cbranch_execz .LBB236_355
; %bb.352:
	s_mov_b32 s4, exec_lo
	s_waitcnt lgkmcnt(0)
	v_cmpx_o_f16_e32 v8, v8
; %bb.353:
	v_cmp_gt_f16_e32 vcc_lo, v2, v8
	v_cndmask_b32_e32 v8, v2, v8, vcc_lo
; %bb.354:
	s_or_b32 exec_lo, exec_lo, s4
	s_delay_alu instid0(VALU_DEP_1)
	v_mov_b32_e32 v2, v8
.LBB236_355:
	s_or_b32 exec_lo, exec_lo, s3
	s_delay_alu instid0(VALU_DEP_1)
	v_and_b32_e32 v7, 0xffff, v2
.LBB236_356:
	s_or_b32 exec_lo, exec_lo, s2
	v_cmp_gt_u32_e32 vcc_lo, 4, v6
	v_add_nc_u32_e32 v6, 4, v6
	s_waitcnt lgkmcnt(0)
	v_cndmask_b32_e64 v8, 0, 1, vcc_lo
	s_delay_alu instid0(VALU_DEP_2) | instskip(NEXT) | instid1(VALU_DEP_2)
	v_cmp_gt_u32_e32 vcc_lo, s1, v6
	v_lshlrev_b32_e32 v8, 2, v8
	s_delay_alu instid0(VALU_DEP_1)
	v_add_lshl_u32 v8, v8, v1, 2
	ds_bpermute_b32 v7, v8, v7
	s_and_saveexec_b32 s1, vcc_lo
	s_cbranch_execz .LBB236_362
; %bb.357:
	s_mov_b32 s2, exec_lo
	v_cmpx_o_f16_e32 v2, v2
	s_cbranch_execz .LBB236_361
; %bb.358:
	s_mov_b32 s3, exec_lo
	s_waitcnt lgkmcnt(0)
	v_cmpx_o_f16_e32 v7, v7
; %bb.359:
	v_cmp_gt_f16_e32 vcc_lo, v2, v7
	v_cndmask_b32_e32 v7, v2, v7, vcc_lo
; %bb.360:
	s_or_b32 exec_lo, exec_lo, s3
	s_delay_alu instid0(VALU_DEP_1)
	v_mov_b32_e32 v2, v7
.LBB236_361:
	s_or_b32 exec_lo, exec_lo, s2
.LBB236_362:
	s_delay_alu instid0(SALU_CYCLE_1)
	s_or_b32 exec_lo, exec_lo, s1
.LBB236_363:
	s_delay_alu instid0(SALU_CYCLE_1)
	s_or_b32 exec_lo, exec_lo, s0
	s_branch .LBB236_402
.LBB236_364:
                                        ; implicit-def: $vgpr2
	s_and_b32 vcc_lo, exec_lo, s0
	s_cbranch_vccz .LBB236_402
; %bb.365:
	v_mov_b32_dpp v2, v4 quad_perm:[1,0,3,2] row_mask:0xf bank_mask:0xf
	s_mov_b32 s0, exec_lo
	s_delay_alu instid0(VALU_DEP_1)
	v_cmpx_o_f16_e32 v2, v2
	s_cbranch_execz .LBB236_369
; %bb.366:
	s_mov_b32 s1, exec_lo
	v_cmpx_o_f16_e32 v5, v5
; %bb.367:
	v_cmp_lt_f16_e32 vcc_lo, v5, v2
	v_cndmask_b32_e32 v5, v2, v5, vcc_lo
; %bb.368:
	s_or_b32 exec_lo, exec_lo, s1
	s_delay_alu instid0(VALU_DEP_1)
	v_mov_b32_e32 v2, v5
.LBB236_369:
	s_or_b32 exec_lo, exec_lo, s0
	s_delay_alu instid0(VALU_DEP_1) | instskip(SKIP_1) | instid1(VALU_DEP_1)
	v_and_b32_e32 v4, 0xffff, v2
	s_mov_b32 s0, exec_lo
	v_mov_b32_dpp v4, v4 quad_perm:[2,3,0,1] row_mask:0xf bank_mask:0xf
	s_delay_alu instid0(VALU_DEP_1)
	v_cmpx_o_f16_e32 v4, v4
	s_cbranch_execz .LBB236_373
; %bb.370:
	s_mov_b32 s1, exec_lo
	v_cmpx_o_f16_e32 v2, v2
; %bb.371:
	v_cmp_lt_f16_e32 vcc_lo, v2, v4
	v_cndmask_b32_e32 v2, v4, v2, vcc_lo
; %bb.372:
	s_or_b32 exec_lo, exec_lo, s1
	s_delay_alu instid0(VALU_DEP_1)
	v_mov_b32_e32 v4, v2
.LBB236_373:
	s_or_b32 exec_lo, exec_lo, s0
	s_delay_alu instid0(VALU_DEP_1) | instskip(SKIP_1) | instid1(VALU_DEP_1)
	v_and_b32_e32 v2, 0xffff, v4
	s_mov_b32 s0, exec_lo
	v_mov_b32_dpp v2, v2 row_ror:4 row_mask:0xf bank_mask:0xf
	s_delay_alu instid0(VALU_DEP_1)
	v_cmpx_o_f16_e32 v2, v2
	s_cbranch_execz .LBB236_377
; %bb.374:
	s_mov_b32 s1, exec_lo
	v_cmpx_o_f16_e32 v4, v4
; %bb.375:
	v_cmp_lt_f16_e32 vcc_lo, v4, v2
	v_cndmask_b32_e32 v4, v2, v4, vcc_lo
; %bb.376:
	s_or_b32 exec_lo, exec_lo, s1
	s_delay_alu instid0(VALU_DEP_1)
	v_mov_b32_e32 v2, v4
.LBB236_377:
	s_or_b32 exec_lo, exec_lo, s0
	s_delay_alu instid0(VALU_DEP_1) | instskip(SKIP_1) | instid1(VALU_DEP_1)
	v_and_b32_e32 v4, 0xffff, v2
	s_mov_b32 s0, exec_lo
	v_mov_b32_dpp v4, v4 row_ror:8 row_mask:0xf bank_mask:0xf
	s_delay_alu instid0(VALU_DEP_1)
	v_cmpx_o_f16_e32 v4, v4
	s_cbranch_execz .LBB236_381
; %bb.378:
	s_mov_b32 s1, exec_lo
	v_cmpx_o_f16_e32 v2, v2
; %bb.379:
	v_cmp_lt_f16_e32 vcc_lo, v2, v4
	v_cndmask_b32_e32 v2, v4, v2, vcc_lo
; %bb.380:
	s_or_b32 exec_lo, exec_lo, s1
	s_delay_alu instid0(VALU_DEP_1)
	v_mov_b32_e32 v4, v2
.LBB236_381:
	s_or_b32 exec_lo, exec_lo, s0
	s_delay_alu instid0(VALU_DEP_1)
	v_and_b32_e32 v2, 0xffff, v4
	s_mov_b32 s0, exec_lo
	ds_swizzle_b32 v2, v2 offset:swizzle(BROADCAST,32,15)
	s_waitcnt lgkmcnt(0)
	v_cmpx_o_f16_e32 v2, v2
	s_cbranch_execz .LBB236_385
; %bb.382:
	s_mov_b32 s1, exec_lo
	v_cmpx_o_f16_e32 v4, v4
; %bb.383:
	v_cmp_lt_f16_e32 vcc_lo, v4, v2
	v_cndmask_b32_e32 v4, v2, v4, vcc_lo
; %bb.384:
	s_or_b32 exec_lo, exec_lo, s1
	s_delay_alu instid0(VALU_DEP_1)
	v_mov_b32_e32 v2, v4
.LBB236_385:
	s_or_b32 exec_lo, exec_lo, s0
	s_delay_alu instid0(VALU_DEP_1)
	v_and_b32_e32 v2, 0xffff, v2
	v_mov_b32_e32 v4, 0
	s_mov_b32 s0, exec_lo
	ds_bpermute_b32 v2, v4, v2 offset:124
	v_cmpx_eq_u32_e32 0, v1
	s_cbranch_execz .LBB236_387
; %bb.386:
	v_lshlrev_b32_e32 v3, 1, v3
	s_waitcnt lgkmcnt(0)
	ds_store_b16 v3, v2
.LBB236_387:
	s_or_b32 exec_lo, exec_lo, s0
	s_delay_alu instid0(SALU_CYCLE_1)
	s_mov_b32 s0, exec_lo
	s_waitcnt lgkmcnt(0)
	s_barrier
	buffer_gl0_inv
	v_cmpx_gt_u32_e32 32, v0
	s_cbranch_execz .LBB236_401
; %bb.388:
	v_and_b32_e32 v3, 7, v1
	s_mov_b32 s1, exec_lo
	s_delay_alu instid0(VALU_DEP_1) | instskip(SKIP_3) | instid1(VALU_DEP_1)
	v_lshlrev_b32_e32 v2, 1, v3
	v_cmp_ne_u32_e32 vcc_lo, 7, v3
	ds_load_u16 v2, v2
	v_add_co_ci_u32_e32 v4, vcc_lo, 0, v1, vcc_lo
	v_lshlrev_b32_e32 v4, 2, v4
	s_waitcnt lgkmcnt(0)
	v_and_b32_e32 v5, 0xffff, v2
	ds_bpermute_b32 v4, v4, v5
	v_cmpx_o_f16_e32 v2, v2
	s_cbranch_execz .LBB236_392
; %bb.389:
	s_mov_b32 s2, exec_lo
	s_waitcnt lgkmcnt(0)
	v_cmpx_o_f16_e32 v4, v4
; %bb.390:
	v_cmp_gt_f16_e32 vcc_lo, v2, v4
	v_cndmask_b32_e32 v4, v2, v4, vcc_lo
; %bb.391:
	s_or_b32 exec_lo, exec_lo, s2
	s_delay_alu instid0(VALU_DEP_1)
	v_mov_b32_e32 v2, v4
.LBB236_392:
	s_or_b32 exec_lo, exec_lo, s1
	v_cmp_gt_u32_e32 vcc_lo, 6, v3
	s_delay_alu instid0(VALU_DEP_2) | instskip(SKIP_3) | instid1(VALU_DEP_1)
	v_and_b32_e32 v5, 0xffff, v2
	s_mov_b32 s1, exec_lo
	s_waitcnt lgkmcnt(0)
	v_cndmask_b32_e64 v4, 0, 1, vcc_lo
	v_lshlrev_b32_e32 v4, 1, v4
	s_delay_alu instid0(VALU_DEP_1)
	v_add_lshl_u32 v4, v4, v1, 2
	ds_bpermute_b32 v4, v4, v5
	v_cmpx_o_f16_e32 v2, v2
	s_cbranch_execz .LBB236_396
; %bb.393:
	s_mov_b32 s2, exec_lo
	s_waitcnt lgkmcnt(0)
	v_cmpx_o_f16_e32 v4, v4
; %bb.394:
	v_cmp_gt_f16_e32 vcc_lo, v2, v4
	v_cndmask_b32_e32 v4, v2, v4, vcc_lo
; %bb.395:
	s_or_b32 exec_lo, exec_lo, s2
	s_delay_alu instid0(VALU_DEP_1)
	v_mov_b32_e32 v2, v4
.LBB236_396:
	s_or_b32 exec_lo, exec_lo, s1
	v_cmp_gt_u32_e32 vcc_lo, 4, v3
	s_waitcnt lgkmcnt(0)
	s_delay_alu instid0(VALU_DEP_2) | instskip(SKIP_2) | instid1(VALU_DEP_1)
	v_and_b32_e32 v4, 0xffff, v2
	s_mov_b32 s1, exec_lo
	v_cndmask_b32_e64 v3, 0, 1, vcc_lo
	v_lshlrev_b32_e32 v3, 2, v3
	s_delay_alu instid0(VALU_DEP_1)
	v_add_lshl_u32 v1, v3, v1, 2
	ds_bpermute_b32 v1, v1, v4
	v_cmpx_o_f16_e32 v2, v2
	s_cbranch_execz .LBB236_400
; %bb.397:
	s_mov_b32 s2, exec_lo
	s_waitcnt lgkmcnt(0)
	v_cmpx_o_f16_e32 v1, v1
; %bb.398:
	v_cmp_gt_f16_e32 vcc_lo, v2, v1
	v_cndmask_b32_e32 v1, v2, v1, vcc_lo
; %bb.399:
	s_or_b32 exec_lo, exec_lo, s2
	s_delay_alu instid0(VALU_DEP_1)
	v_mov_b32_e32 v2, v1
.LBB236_400:
	s_or_b32 exec_lo, exec_lo, s1
.LBB236_401:
	s_delay_alu instid0(SALU_CYCLE_1)
	s_or_b32 exec_lo, exec_lo, s0
.LBB236_402:
	s_delay_alu instid0(SALU_CYCLE_1)
	s_mov_b32 s0, exec_lo
                                        ; implicit-def: $vgpr1
	v_cmpx_eq_u32_e32 0, v0
	s_cbranch_execz .LBB236_408
; %bb.403:
	v_cmp_u_f16_e64 s1, s15, s15
	s_waitcnt lgkmcnt(0)
	v_mov_b32_e32 v1, s15
	s_delay_alu instid0(VALU_DEP_2)
	s_and_b32 vcc_lo, exec_lo, s1
	s_cbranch_vccnz .LBB236_407
; %bb.404:
	s_mov_b32 s1, exec_lo
	v_cmpx_o_f16_e32 v2, v2
; %bb.405:
	v_cmp_gt_f16_e32 vcc_lo, s15, v2
	v_cndmask_b32_e32 v2, s15, v2, vcc_lo
; %bb.406:
	s_or_b32 exec_lo, exec_lo, s1
	s_delay_alu instid0(VALU_DEP_1)
	v_mov_b32_e32 v1, v2
.LBB236_407:
	s_or_b32 s30, s30, exec_lo
.LBB236_408:
	s_or_b32 exec_lo, exec_lo, s0
	s_and_saveexec_b32 s0, s30
	s_cbranch_execz .LBB236_410
.LBB236_409:
	s_lshl_b64 s[0:1], s[20:21], 1
	v_mov_b32_e32 v0, 0
	s_add_u32 s2, s18, s0
	s_addc_u32 s3, s19, s1
	s_lshl_b64 s[0:1], s[24:25], 1
	s_delay_alu instid0(SALU_CYCLE_1)
	s_add_u32 s0, s2, s0
	s_addc_u32 s1, s3, s1
	s_waitcnt lgkmcnt(0)
	global_store_b16 v0, v1, s[0:1]
.LBB236_410:
	s_nop 0
	s_sendmsg sendmsg(MSG_DEALLOC_VGPRS)
	s_endpgm
	.section	.rodata,"a",@progbits
	.p2align	6, 0x0
	.amdhsa_kernel _ZN7rocprim17ROCPRIM_400000_NS6detail17trampoline_kernelINS0_14default_configENS1_32segmented_reduce_config_selectorIN3c104HalfEEEZNS1_21segmented_reduce_implIS3_PKS6_PS6_PKlS6_N6hipcub16HIPCUB_304000_NS6detail27convert_result_type_wrapperISA_SB_N2at6native12_GLOBAL__N_19CustomMinEEEEE10hipError_tPvRmT0_T1_jT2_SS_T4_T3_P12ihipStream_tbEUlT_E_NS1_11comp_targetILNS1_3genE9ELNS1_11target_archE1100ELNS1_3gpuE3ELNS1_3repE0EEENS1_30default_config_static_selectorELNS0_4arch9wavefront6targetE0EEEvSR_
		.amdhsa_group_segment_fixed_size 16
		.amdhsa_private_segment_fixed_size 0
		.amdhsa_kernarg_size 48
		.amdhsa_user_sgpr_count 15
		.amdhsa_user_sgpr_dispatch_ptr 0
		.amdhsa_user_sgpr_queue_ptr 0
		.amdhsa_user_sgpr_kernarg_segment_ptr 1
		.amdhsa_user_sgpr_dispatch_id 0
		.amdhsa_user_sgpr_private_segment_size 0
		.amdhsa_wavefront_size32 1
		.amdhsa_uses_dynamic_stack 0
		.amdhsa_enable_private_segment 0
		.amdhsa_system_sgpr_workgroup_id_x 1
		.amdhsa_system_sgpr_workgroup_id_y 0
		.amdhsa_system_sgpr_workgroup_id_z 0
		.amdhsa_system_sgpr_workgroup_info 0
		.amdhsa_system_vgpr_workitem_id 0
		.amdhsa_next_free_vgpr 23
		.amdhsa_next_free_sgpr 34
		.amdhsa_reserve_vcc 1
		.amdhsa_float_round_mode_32 0
		.amdhsa_float_round_mode_16_64 0
		.amdhsa_float_denorm_mode_32 3
		.amdhsa_float_denorm_mode_16_64 3
		.amdhsa_dx10_clamp 1
		.amdhsa_ieee_mode 1
		.amdhsa_fp16_overflow 0
		.amdhsa_workgroup_processor_mode 1
		.amdhsa_memory_ordered 1
		.amdhsa_forward_progress 0
		.amdhsa_shared_vgpr_count 0
		.amdhsa_exception_fp_ieee_invalid_op 0
		.amdhsa_exception_fp_denorm_src 0
		.amdhsa_exception_fp_ieee_div_zero 0
		.amdhsa_exception_fp_ieee_overflow 0
		.amdhsa_exception_fp_ieee_underflow 0
		.amdhsa_exception_fp_ieee_inexact 0
		.amdhsa_exception_int_div_zero 0
	.end_amdhsa_kernel
	.section	.text._ZN7rocprim17ROCPRIM_400000_NS6detail17trampoline_kernelINS0_14default_configENS1_32segmented_reduce_config_selectorIN3c104HalfEEEZNS1_21segmented_reduce_implIS3_PKS6_PS6_PKlS6_N6hipcub16HIPCUB_304000_NS6detail27convert_result_type_wrapperISA_SB_N2at6native12_GLOBAL__N_19CustomMinEEEEE10hipError_tPvRmT0_T1_jT2_SS_T4_T3_P12ihipStream_tbEUlT_E_NS1_11comp_targetILNS1_3genE9ELNS1_11target_archE1100ELNS1_3gpuE3ELNS1_3repE0EEENS1_30default_config_static_selectorELNS0_4arch9wavefront6targetE0EEEvSR_,"axG",@progbits,_ZN7rocprim17ROCPRIM_400000_NS6detail17trampoline_kernelINS0_14default_configENS1_32segmented_reduce_config_selectorIN3c104HalfEEEZNS1_21segmented_reduce_implIS3_PKS6_PS6_PKlS6_N6hipcub16HIPCUB_304000_NS6detail27convert_result_type_wrapperISA_SB_N2at6native12_GLOBAL__N_19CustomMinEEEEE10hipError_tPvRmT0_T1_jT2_SS_T4_T3_P12ihipStream_tbEUlT_E_NS1_11comp_targetILNS1_3genE9ELNS1_11target_archE1100ELNS1_3gpuE3ELNS1_3repE0EEENS1_30default_config_static_selectorELNS0_4arch9wavefront6targetE0EEEvSR_,comdat
.Lfunc_end236:
	.size	_ZN7rocprim17ROCPRIM_400000_NS6detail17trampoline_kernelINS0_14default_configENS1_32segmented_reduce_config_selectorIN3c104HalfEEEZNS1_21segmented_reduce_implIS3_PKS6_PS6_PKlS6_N6hipcub16HIPCUB_304000_NS6detail27convert_result_type_wrapperISA_SB_N2at6native12_GLOBAL__N_19CustomMinEEEEE10hipError_tPvRmT0_T1_jT2_SS_T4_T3_P12ihipStream_tbEUlT_E_NS1_11comp_targetILNS1_3genE9ELNS1_11target_archE1100ELNS1_3gpuE3ELNS1_3repE0EEENS1_30default_config_static_selectorELNS0_4arch9wavefront6targetE0EEEvSR_, .Lfunc_end236-_ZN7rocprim17ROCPRIM_400000_NS6detail17trampoline_kernelINS0_14default_configENS1_32segmented_reduce_config_selectorIN3c104HalfEEEZNS1_21segmented_reduce_implIS3_PKS6_PS6_PKlS6_N6hipcub16HIPCUB_304000_NS6detail27convert_result_type_wrapperISA_SB_N2at6native12_GLOBAL__N_19CustomMinEEEEE10hipError_tPvRmT0_T1_jT2_SS_T4_T3_P12ihipStream_tbEUlT_E_NS1_11comp_targetILNS1_3genE9ELNS1_11target_archE1100ELNS1_3gpuE3ELNS1_3repE0EEENS1_30default_config_static_selectorELNS0_4arch9wavefront6targetE0EEEvSR_
                                        ; -- End function
	.section	.AMDGPU.csdata,"",@progbits
; Kernel info:
; codeLenInByte = 7620
; NumSgprs: 36
; NumVgprs: 23
; ScratchSize: 0
; MemoryBound: 0
; FloatMode: 240
; IeeeMode: 1
; LDSByteSize: 16 bytes/workgroup (compile time only)
; SGPRBlocks: 4
; VGPRBlocks: 2
; NumSGPRsForWavesPerEU: 36
; NumVGPRsForWavesPerEU: 23
; Occupancy: 16
; WaveLimiterHint : 1
; COMPUTE_PGM_RSRC2:SCRATCH_EN: 0
; COMPUTE_PGM_RSRC2:USER_SGPR: 15
; COMPUTE_PGM_RSRC2:TRAP_HANDLER: 0
; COMPUTE_PGM_RSRC2:TGID_X_EN: 1
; COMPUTE_PGM_RSRC2:TGID_Y_EN: 0
; COMPUTE_PGM_RSRC2:TGID_Z_EN: 0
; COMPUTE_PGM_RSRC2:TIDIG_COMP_CNT: 0
	.section	.text._ZN7rocprim17ROCPRIM_400000_NS6detail17trampoline_kernelINS0_14default_configENS1_32segmented_reduce_config_selectorIN3c104HalfEEEZNS1_21segmented_reduce_implIS3_PKS6_PS6_PKlS6_N6hipcub16HIPCUB_304000_NS6detail27convert_result_type_wrapperISA_SB_N2at6native12_GLOBAL__N_19CustomMinEEEEE10hipError_tPvRmT0_T1_jT2_SS_T4_T3_P12ihipStream_tbEUlT_E_NS1_11comp_targetILNS1_3genE8ELNS1_11target_archE1030ELNS1_3gpuE2ELNS1_3repE0EEENS1_30default_config_static_selectorELNS0_4arch9wavefront6targetE0EEEvSR_,"axG",@progbits,_ZN7rocprim17ROCPRIM_400000_NS6detail17trampoline_kernelINS0_14default_configENS1_32segmented_reduce_config_selectorIN3c104HalfEEEZNS1_21segmented_reduce_implIS3_PKS6_PS6_PKlS6_N6hipcub16HIPCUB_304000_NS6detail27convert_result_type_wrapperISA_SB_N2at6native12_GLOBAL__N_19CustomMinEEEEE10hipError_tPvRmT0_T1_jT2_SS_T4_T3_P12ihipStream_tbEUlT_E_NS1_11comp_targetILNS1_3genE8ELNS1_11target_archE1030ELNS1_3gpuE2ELNS1_3repE0EEENS1_30default_config_static_selectorELNS0_4arch9wavefront6targetE0EEEvSR_,comdat
	.globl	_ZN7rocprim17ROCPRIM_400000_NS6detail17trampoline_kernelINS0_14default_configENS1_32segmented_reduce_config_selectorIN3c104HalfEEEZNS1_21segmented_reduce_implIS3_PKS6_PS6_PKlS6_N6hipcub16HIPCUB_304000_NS6detail27convert_result_type_wrapperISA_SB_N2at6native12_GLOBAL__N_19CustomMinEEEEE10hipError_tPvRmT0_T1_jT2_SS_T4_T3_P12ihipStream_tbEUlT_E_NS1_11comp_targetILNS1_3genE8ELNS1_11target_archE1030ELNS1_3gpuE2ELNS1_3repE0EEENS1_30default_config_static_selectorELNS0_4arch9wavefront6targetE0EEEvSR_ ; -- Begin function _ZN7rocprim17ROCPRIM_400000_NS6detail17trampoline_kernelINS0_14default_configENS1_32segmented_reduce_config_selectorIN3c104HalfEEEZNS1_21segmented_reduce_implIS3_PKS6_PS6_PKlS6_N6hipcub16HIPCUB_304000_NS6detail27convert_result_type_wrapperISA_SB_N2at6native12_GLOBAL__N_19CustomMinEEEEE10hipError_tPvRmT0_T1_jT2_SS_T4_T3_P12ihipStream_tbEUlT_E_NS1_11comp_targetILNS1_3genE8ELNS1_11target_archE1030ELNS1_3gpuE2ELNS1_3repE0EEENS1_30default_config_static_selectorELNS0_4arch9wavefront6targetE0EEEvSR_
	.p2align	8
	.type	_ZN7rocprim17ROCPRIM_400000_NS6detail17trampoline_kernelINS0_14default_configENS1_32segmented_reduce_config_selectorIN3c104HalfEEEZNS1_21segmented_reduce_implIS3_PKS6_PS6_PKlS6_N6hipcub16HIPCUB_304000_NS6detail27convert_result_type_wrapperISA_SB_N2at6native12_GLOBAL__N_19CustomMinEEEEE10hipError_tPvRmT0_T1_jT2_SS_T4_T3_P12ihipStream_tbEUlT_E_NS1_11comp_targetILNS1_3genE8ELNS1_11target_archE1030ELNS1_3gpuE2ELNS1_3repE0EEENS1_30default_config_static_selectorELNS0_4arch9wavefront6targetE0EEEvSR_,@function
_ZN7rocprim17ROCPRIM_400000_NS6detail17trampoline_kernelINS0_14default_configENS1_32segmented_reduce_config_selectorIN3c104HalfEEEZNS1_21segmented_reduce_implIS3_PKS6_PS6_PKlS6_N6hipcub16HIPCUB_304000_NS6detail27convert_result_type_wrapperISA_SB_N2at6native12_GLOBAL__N_19CustomMinEEEEE10hipError_tPvRmT0_T1_jT2_SS_T4_T3_P12ihipStream_tbEUlT_E_NS1_11comp_targetILNS1_3genE8ELNS1_11target_archE1030ELNS1_3gpuE2ELNS1_3repE0EEENS1_30default_config_static_selectorELNS0_4arch9wavefront6targetE0EEEvSR_: ; @_ZN7rocprim17ROCPRIM_400000_NS6detail17trampoline_kernelINS0_14default_configENS1_32segmented_reduce_config_selectorIN3c104HalfEEEZNS1_21segmented_reduce_implIS3_PKS6_PS6_PKlS6_N6hipcub16HIPCUB_304000_NS6detail27convert_result_type_wrapperISA_SB_N2at6native12_GLOBAL__N_19CustomMinEEEEE10hipError_tPvRmT0_T1_jT2_SS_T4_T3_P12ihipStream_tbEUlT_E_NS1_11comp_targetILNS1_3genE8ELNS1_11target_archE1030ELNS1_3gpuE2ELNS1_3repE0EEENS1_30default_config_static_selectorELNS0_4arch9wavefront6targetE0EEEvSR_
; %bb.0:
	.section	.rodata,"a",@progbits
	.p2align	6, 0x0
	.amdhsa_kernel _ZN7rocprim17ROCPRIM_400000_NS6detail17trampoline_kernelINS0_14default_configENS1_32segmented_reduce_config_selectorIN3c104HalfEEEZNS1_21segmented_reduce_implIS3_PKS6_PS6_PKlS6_N6hipcub16HIPCUB_304000_NS6detail27convert_result_type_wrapperISA_SB_N2at6native12_GLOBAL__N_19CustomMinEEEEE10hipError_tPvRmT0_T1_jT2_SS_T4_T3_P12ihipStream_tbEUlT_E_NS1_11comp_targetILNS1_3genE8ELNS1_11target_archE1030ELNS1_3gpuE2ELNS1_3repE0EEENS1_30default_config_static_selectorELNS0_4arch9wavefront6targetE0EEEvSR_
		.amdhsa_group_segment_fixed_size 0
		.amdhsa_private_segment_fixed_size 0
		.amdhsa_kernarg_size 48
		.amdhsa_user_sgpr_count 15
		.amdhsa_user_sgpr_dispatch_ptr 0
		.amdhsa_user_sgpr_queue_ptr 0
		.amdhsa_user_sgpr_kernarg_segment_ptr 1
		.amdhsa_user_sgpr_dispatch_id 0
		.amdhsa_user_sgpr_private_segment_size 0
		.amdhsa_wavefront_size32 1
		.amdhsa_uses_dynamic_stack 0
		.amdhsa_enable_private_segment 0
		.amdhsa_system_sgpr_workgroup_id_x 1
		.amdhsa_system_sgpr_workgroup_id_y 0
		.amdhsa_system_sgpr_workgroup_id_z 0
		.amdhsa_system_sgpr_workgroup_info 0
		.amdhsa_system_vgpr_workitem_id 0
		.amdhsa_next_free_vgpr 1
		.amdhsa_next_free_sgpr 1
		.amdhsa_reserve_vcc 0
		.amdhsa_float_round_mode_32 0
		.amdhsa_float_round_mode_16_64 0
		.amdhsa_float_denorm_mode_32 3
		.amdhsa_float_denorm_mode_16_64 3
		.amdhsa_dx10_clamp 1
		.amdhsa_ieee_mode 1
		.amdhsa_fp16_overflow 0
		.amdhsa_workgroup_processor_mode 1
		.amdhsa_memory_ordered 1
		.amdhsa_forward_progress 0
		.amdhsa_shared_vgpr_count 0
		.amdhsa_exception_fp_ieee_invalid_op 0
		.amdhsa_exception_fp_denorm_src 0
		.amdhsa_exception_fp_ieee_div_zero 0
		.amdhsa_exception_fp_ieee_overflow 0
		.amdhsa_exception_fp_ieee_underflow 0
		.amdhsa_exception_fp_ieee_inexact 0
		.amdhsa_exception_int_div_zero 0
	.end_amdhsa_kernel
	.section	.text._ZN7rocprim17ROCPRIM_400000_NS6detail17trampoline_kernelINS0_14default_configENS1_32segmented_reduce_config_selectorIN3c104HalfEEEZNS1_21segmented_reduce_implIS3_PKS6_PS6_PKlS6_N6hipcub16HIPCUB_304000_NS6detail27convert_result_type_wrapperISA_SB_N2at6native12_GLOBAL__N_19CustomMinEEEEE10hipError_tPvRmT0_T1_jT2_SS_T4_T3_P12ihipStream_tbEUlT_E_NS1_11comp_targetILNS1_3genE8ELNS1_11target_archE1030ELNS1_3gpuE2ELNS1_3repE0EEENS1_30default_config_static_selectorELNS0_4arch9wavefront6targetE0EEEvSR_,"axG",@progbits,_ZN7rocprim17ROCPRIM_400000_NS6detail17trampoline_kernelINS0_14default_configENS1_32segmented_reduce_config_selectorIN3c104HalfEEEZNS1_21segmented_reduce_implIS3_PKS6_PS6_PKlS6_N6hipcub16HIPCUB_304000_NS6detail27convert_result_type_wrapperISA_SB_N2at6native12_GLOBAL__N_19CustomMinEEEEE10hipError_tPvRmT0_T1_jT2_SS_T4_T3_P12ihipStream_tbEUlT_E_NS1_11comp_targetILNS1_3genE8ELNS1_11target_archE1030ELNS1_3gpuE2ELNS1_3repE0EEENS1_30default_config_static_selectorELNS0_4arch9wavefront6targetE0EEEvSR_,comdat
.Lfunc_end237:
	.size	_ZN7rocprim17ROCPRIM_400000_NS6detail17trampoline_kernelINS0_14default_configENS1_32segmented_reduce_config_selectorIN3c104HalfEEEZNS1_21segmented_reduce_implIS3_PKS6_PS6_PKlS6_N6hipcub16HIPCUB_304000_NS6detail27convert_result_type_wrapperISA_SB_N2at6native12_GLOBAL__N_19CustomMinEEEEE10hipError_tPvRmT0_T1_jT2_SS_T4_T3_P12ihipStream_tbEUlT_E_NS1_11comp_targetILNS1_3genE8ELNS1_11target_archE1030ELNS1_3gpuE2ELNS1_3repE0EEENS1_30default_config_static_selectorELNS0_4arch9wavefront6targetE0EEEvSR_, .Lfunc_end237-_ZN7rocprim17ROCPRIM_400000_NS6detail17trampoline_kernelINS0_14default_configENS1_32segmented_reduce_config_selectorIN3c104HalfEEEZNS1_21segmented_reduce_implIS3_PKS6_PS6_PKlS6_N6hipcub16HIPCUB_304000_NS6detail27convert_result_type_wrapperISA_SB_N2at6native12_GLOBAL__N_19CustomMinEEEEE10hipError_tPvRmT0_T1_jT2_SS_T4_T3_P12ihipStream_tbEUlT_E_NS1_11comp_targetILNS1_3genE8ELNS1_11target_archE1030ELNS1_3gpuE2ELNS1_3repE0EEENS1_30default_config_static_selectorELNS0_4arch9wavefront6targetE0EEEvSR_
                                        ; -- End function
	.section	.AMDGPU.csdata,"",@progbits
; Kernel info:
; codeLenInByte = 0
; NumSgprs: 0
; NumVgprs: 0
; ScratchSize: 0
; MemoryBound: 0
; FloatMode: 240
; IeeeMode: 1
; LDSByteSize: 0 bytes/workgroup (compile time only)
; SGPRBlocks: 0
; VGPRBlocks: 0
; NumSGPRsForWavesPerEU: 1
; NumVGPRsForWavesPerEU: 1
; Occupancy: 16
; WaveLimiterHint : 0
; COMPUTE_PGM_RSRC2:SCRATCH_EN: 0
; COMPUTE_PGM_RSRC2:USER_SGPR: 15
; COMPUTE_PGM_RSRC2:TRAP_HANDLER: 0
; COMPUTE_PGM_RSRC2:TGID_X_EN: 1
; COMPUTE_PGM_RSRC2:TGID_Y_EN: 0
; COMPUTE_PGM_RSRC2:TGID_Z_EN: 0
; COMPUTE_PGM_RSRC2:TIDIG_COMP_CNT: 0
	.section	.text._ZN7rocprim17ROCPRIM_400000_NS6detail17trampoline_kernelINS0_14default_configENS1_32segmented_reduce_config_selectorIN3c104HalfEEEZNS1_21segmented_reduce_implIS3_PKS6_PS6_PKlS6_N6hipcub16HIPCUB_304000_NS6detail27convert_result_type_wrapperISA_SB_N2at6native12_GLOBAL__N_110CustomProdEEEEE10hipError_tPvRmT0_T1_jT2_SS_T4_T3_P12ihipStream_tbEUlT_E_NS1_11comp_targetILNS1_3genE0ELNS1_11target_archE4294967295ELNS1_3gpuE0ELNS1_3repE0EEENS1_30default_config_static_selectorELNS0_4arch9wavefront6targetE0EEEvSR_,"axG",@progbits,_ZN7rocprim17ROCPRIM_400000_NS6detail17trampoline_kernelINS0_14default_configENS1_32segmented_reduce_config_selectorIN3c104HalfEEEZNS1_21segmented_reduce_implIS3_PKS6_PS6_PKlS6_N6hipcub16HIPCUB_304000_NS6detail27convert_result_type_wrapperISA_SB_N2at6native12_GLOBAL__N_110CustomProdEEEEE10hipError_tPvRmT0_T1_jT2_SS_T4_T3_P12ihipStream_tbEUlT_E_NS1_11comp_targetILNS1_3genE0ELNS1_11target_archE4294967295ELNS1_3gpuE0ELNS1_3repE0EEENS1_30default_config_static_selectorELNS0_4arch9wavefront6targetE0EEEvSR_,comdat
	.globl	_ZN7rocprim17ROCPRIM_400000_NS6detail17trampoline_kernelINS0_14default_configENS1_32segmented_reduce_config_selectorIN3c104HalfEEEZNS1_21segmented_reduce_implIS3_PKS6_PS6_PKlS6_N6hipcub16HIPCUB_304000_NS6detail27convert_result_type_wrapperISA_SB_N2at6native12_GLOBAL__N_110CustomProdEEEEE10hipError_tPvRmT0_T1_jT2_SS_T4_T3_P12ihipStream_tbEUlT_E_NS1_11comp_targetILNS1_3genE0ELNS1_11target_archE4294967295ELNS1_3gpuE0ELNS1_3repE0EEENS1_30default_config_static_selectorELNS0_4arch9wavefront6targetE0EEEvSR_ ; -- Begin function _ZN7rocprim17ROCPRIM_400000_NS6detail17trampoline_kernelINS0_14default_configENS1_32segmented_reduce_config_selectorIN3c104HalfEEEZNS1_21segmented_reduce_implIS3_PKS6_PS6_PKlS6_N6hipcub16HIPCUB_304000_NS6detail27convert_result_type_wrapperISA_SB_N2at6native12_GLOBAL__N_110CustomProdEEEEE10hipError_tPvRmT0_T1_jT2_SS_T4_T3_P12ihipStream_tbEUlT_E_NS1_11comp_targetILNS1_3genE0ELNS1_11target_archE4294967295ELNS1_3gpuE0ELNS1_3repE0EEENS1_30default_config_static_selectorELNS0_4arch9wavefront6targetE0EEEvSR_
	.p2align	8
	.type	_ZN7rocprim17ROCPRIM_400000_NS6detail17trampoline_kernelINS0_14default_configENS1_32segmented_reduce_config_selectorIN3c104HalfEEEZNS1_21segmented_reduce_implIS3_PKS6_PS6_PKlS6_N6hipcub16HIPCUB_304000_NS6detail27convert_result_type_wrapperISA_SB_N2at6native12_GLOBAL__N_110CustomProdEEEEE10hipError_tPvRmT0_T1_jT2_SS_T4_T3_P12ihipStream_tbEUlT_E_NS1_11comp_targetILNS1_3genE0ELNS1_11target_archE4294967295ELNS1_3gpuE0ELNS1_3repE0EEENS1_30default_config_static_selectorELNS0_4arch9wavefront6targetE0EEEvSR_,@function
_ZN7rocprim17ROCPRIM_400000_NS6detail17trampoline_kernelINS0_14default_configENS1_32segmented_reduce_config_selectorIN3c104HalfEEEZNS1_21segmented_reduce_implIS3_PKS6_PS6_PKlS6_N6hipcub16HIPCUB_304000_NS6detail27convert_result_type_wrapperISA_SB_N2at6native12_GLOBAL__N_110CustomProdEEEEE10hipError_tPvRmT0_T1_jT2_SS_T4_T3_P12ihipStream_tbEUlT_E_NS1_11comp_targetILNS1_3genE0ELNS1_11target_archE4294967295ELNS1_3gpuE0ELNS1_3repE0EEENS1_30default_config_static_selectorELNS0_4arch9wavefront6targetE0EEEvSR_: ; @_ZN7rocprim17ROCPRIM_400000_NS6detail17trampoline_kernelINS0_14default_configENS1_32segmented_reduce_config_selectorIN3c104HalfEEEZNS1_21segmented_reduce_implIS3_PKS6_PS6_PKlS6_N6hipcub16HIPCUB_304000_NS6detail27convert_result_type_wrapperISA_SB_N2at6native12_GLOBAL__N_110CustomProdEEEEE10hipError_tPvRmT0_T1_jT2_SS_T4_T3_P12ihipStream_tbEUlT_E_NS1_11comp_targetILNS1_3genE0ELNS1_11target_archE4294967295ELNS1_3gpuE0ELNS1_3repE0EEENS1_30default_config_static_selectorELNS0_4arch9wavefront6targetE0EEEvSR_
; %bb.0:
	.section	.rodata,"a",@progbits
	.p2align	6, 0x0
	.amdhsa_kernel _ZN7rocprim17ROCPRIM_400000_NS6detail17trampoline_kernelINS0_14default_configENS1_32segmented_reduce_config_selectorIN3c104HalfEEEZNS1_21segmented_reduce_implIS3_PKS6_PS6_PKlS6_N6hipcub16HIPCUB_304000_NS6detail27convert_result_type_wrapperISA_SB_N2at6native12_GLOBAL__N_110CustomProdEEEEE10hipError_tPvRmT0_T1_jT2_SS_T4_T3_P12ihipStream_tbEUlT_E_NS1_11comp_targetILNS1_3genE0ELNS1_11target_archE4294967295ELNS1_3gpuE0ELNS1_3repE0EEENS1_30default_config_static_selectorELNS0_4arch9wavefront6targetE0EEEvSR_
		.amdhsa_group_segment_fixed_size 0
		.amdhsa_private_segment_fixed_size 0
		.amdhsa_kernarg_size 48
		.amdhsa_user_sgpr_count 15
		.amdhsa_user_sgpr_dispatch_ptr 0
		.amdhsa_user_sgpr_queue_ptr 0
		.amdhsa_user_sgpr_kernarg_segment_ptr 1
		.amdhsa_user_sgpr_dispatch_id 0
		.amdhsa_user_sgpr_private_segment_size 0
		.amdhsa_wavefront_size32 1
		.amdhsa_uses_dynamic_stack 0
		.amdhsa_enable_private_segment 0
		.amdhsa_system_sgpr_workgroup_id_x 1
		.amdhsa_system_sgpr_workgroup_id_y 0
		.amdhsa_system_sgpr_workgroup_id_z 0
		.amdhsa_system_sgpr_workgroup_info 0
		.amdhsa_system_vgpr_workitem_id 0
		.amdhsa_next_free_vgpr 1
		.amdhsa_next_free_sgpr 1
		.amdhsa_reserve_vcc 0
		.amdhsa_float_round_mode_32 0
		.amdhsa_float_round_mode_16_64 0
		.amdhsa_float_denorm_mode_32 3
		.amdhsa_float_denorm_mode_16_64 3
		.amdhsa_dx10_clamp 1
		.amdhsa_ieee_mode 1
		.amdhsa_fp16_overflow 0
		.amdhsa_workgroup_processor_mode 1
		.amdhsa_memory_ordered 1
		.amdhsa_forward_progress 0
		.amdhsa_shared_vgpr_count 0
		.amdhsa_exception_fp_ieee_invalid_op 0
		.amdhsa_exception_fp_denorm_src 0
		.amdhsa_exception_fp_ieee_div_zero 0
		.amdhsa_exception_fp_ieee_overflow 0
		.amdhsa_exception_fp_ieee_underflow 0
		.amdhsa_exception_fp_ieee_inexact 0
		.amdhsa_exception_int_div_zero 0
	.end_amdhsa_kernel
	.section	.text._ZN7rocprim17ROCPRIM_400000_NS6detail17trampoline_kernelINS0_14default_configENS1_32segmented_reduce_config_selectorIN3c104HalfEEEZNS1_21segmented_reduce_implIS3_PKS6_PS6_PKlS6_N6hipcub16HIPCUB_304000_NS6detail27convert_result_type_wrapperISA_SB_N2at6native12_GLOBAL__N_110CustomProdEEEEE10hipError_tPvRmT0_T1_jT2_SS_T4_T3_P12ihipStream_tbEUlT_E_NS1_11comp_targetILNS1_3genE0ELNS1_11target_archE4294967295ELNS1_3gpuE0ELNS1_3repE0EEENS1_30default_config_static_selectorELNS0_4arch9wavefront6targetE0EEEvSR_,"axG",@progbits,_ZN7rocprim17ROCPRIM_400000_NS6detail17trampoline_kernelINS0_14default_configENS1_32segmented_reduce_config_selectorIN3c104HalfEEEZNS1_21segmented_reduce_implIS3_PKS6_PS6_PKlS6_N6hipcub16HIPCUB_304000_NS6detail27convert_result_type_wrapperISA_SB_N2at6native12_GLOBAL__N_110CustomProdEEEEE10hipError_tPvRmT0_T1_jT2_SS_T4_T3_P12ihipStream_tbEUlT_E_NS1_11comp_targetILNS1_3genE0ELNS1_11target_archE4294967295ELNS1_3gpuE0ELNS1_3repE0EEENS1_30default_config_static_selectorELNS0_4arch9wavefront6targetE0EEEvSR_,comdat
.Lfunc_end238:
	.size	_ZN7rocprim17ROCPRIM_400000_NS6detail17trampoline_kernelINS0_14default_configENS1_32segmented_reduce_config_selectorIN3c104HalfEEEZNS1_21segmented_reduce_implIS3_PKS6_PS6_PKlS6_N6hipcub16HIPCUB_304000_NS6detail27convert_result_type_wrapperISA_SB_N2at6native12_GLOBAL__N_110CustomProdEEEEE10hipError_tPvRmT0_T1_jT2_SS_T4_T3_P12ihipStream_tbEUlT_E_NS1_11comp_targetILNS1_3genE0ELNS1_11target_archE4294967295ELNS1_3gpuE0ELNS1_3repE0EEENS1_30default_config_static_selectorELNS0_4arch9wavefront6targetE0EEEvSR_, .Lfunc_end238-_ZN7rocprim17ROCPRIM_400000_NS6detail17trampoline_kernelINS0_14default_configENS1_32segmented_reduce_config_selectorIN3c104HalfEEEZNS1_21segmented_reduce_implIS3_PKS6_PS6_PKlS6_N6hipcub16HIPCUB_304000_NS6detail27convert_result_type_wrapperISA_SB_N2at6native12_GLOBAL__N_110CustomProdEEEEE10hipError_tPvRmT0_T1_jT2_SS_T4_T3_P12ihipStream_tbEUlT_E_NS1_11comp_targetILNS1_3genE0ELNS1_11target_archE4294967295ELNS1_3gpuE0ELNS1_3repE0EEENS1_30default_config_static_selectorELNS0_4arch9wavefront6targetE0EEEvSR_
                                        ; -- End function
	.section	.AMDGPU.csdata,"",@progbits
; Kernel info:
; codeLenInByte = 0
; NumSgprs: 0
; NumVgprs: 0
; ScratchSize: 0
; MemoryBound: 0
; FloatMode: 240
; IeeeMode: 1
; LDSByteSize: 0 bytes/workgroup (compile time only)
; SGPRBlocks: 0
; VGPRBlocks: 0
; NumSGPRsForWavesPerEU: 1
; NumVGPRsForWavesPerEU: 1
; Occupancy: 16
; WaveLimiterHint : 0
; COMPUTE_PGM_RSRC2:SCRATCH_EN: 0
; COMPUTE_PGM_RSRC2:USER_SGPR: 15
; COMPUTE_PGM_RSRC2:TRAP_HANDLER: 0
; COMPUTE_PGM_RSRC2:TGID_X_EN: 1
; COMPUTE_PGM_RSRC2:TGID_Y_EN: 0
; COMPUTE_PGM_RSRC2:TGID_Z_EN: 0
; COMPUTE_PGM_RSRC2:TIDIG_COMP_CNT: 0
	.section	.text._ZN7rocprim17ROCPRIM_400000_NS6detail17trampoline_kernelINS0_14default_configENS1_32segmented_reduce_config_selectorIN3c104HalfEEEZNS1_21segmented_reduce_implIS3_PKS6_PS6_PKlS6_N6hipcub16HIPCUB_304000_NS6detail27convert_result_type_wrapperISA_SB_N2at6native12_GLOBAL__N_110CustomProdEEEEE10hipError_tPvRmT0_T1_jT2_SS_T4_T3_P12ihipStream_tbEUlT_E_NS1_11comp_targetILNS1_3genE5ELNS1_11target_archE942ELNS1_3gpuE9ELNS1_3repE0EEENS1_30default_config_static_selectorELNS0_4arch9wavefront6targetE0EEEvSR_,"axG",@progbits,_ZN7rocprim17ROCPRIM_400000_NS6detail17trampoline_kernelINS0_14default_configENS1_32segmented_reduce_config_selectorIN3c104HalfEEEZNS1_21segmented_reduce_implIS3_PKS6_PS6_PKlS6_N6hipcub16HIPCUB_304000_NS6detail27convert_result_type_wrapperISA_SB_N2at6native12_GLOBAL__N_110CustomProdEEEEE10hipError_tPvRmT0_T1_jT2_SS_T4_T3_P12ihipStream_tbEUlT_E_NS1_11comp_targetILNS1_3genE5ELNS1_11target_archE942ELNS1_3gpuE9ELNS1_3repE0EEENS1_30default_config_static_selectorELNS0_4arch9wavefront6targetE0EEEvSR_,comdat
	.globl	_ZN7rocprim17ROCPRIM_400000_NS6detail17trampoline_kernelINS0_14default_configENS1_32segmented_reduce_config_selectorIN3c104HalfEEEZNS1_21segmented_reduce_implIS3_PKS6_PS6_PKlS6_N6hipcub16HIPCUB_304000_NS6detail27convert_result_type_wrapperISA_SB_N2at6native12_GLOBAL__N_110CustomProdEEEEE10hipError_tPvRmT0_T1_jT2_SS_T4_T3_P12ihipStream_tbEUlT_E_NS1_11comp_targetILNS1_3genE5ELNS1_11target_archE942ELNS1_3gpuE9ELNS1_3repE0EEENS1_30default_config_static_selectorELNS0_4arch9wavefront6targetE0EEEvSR_ ; -- Begin function _ZN7rocprim17ROCPRIM_400000_NS6detail17trampoline_kernelINS0_14default_configENS1_32segmented_reduce_config_selectorIN3c104HalfEEEZNS1_21segmented_reduce_implIS3_PKS6_PS6_PKlS6_N6hipcub16HIPCUB_304000_NS6detail27convert_result_type_wrapperISA_SB_N2at6native12_GLOBAL__N_110CustomProdEEEEE10hipError_tPvRmT0_T1_jT2_SS_T4_T3_P12ihipStream_tbEUlT_E_NS1_11comp_targetILNS1_3genE5ELNS1_11target_archE942ELNS1_3gpuE9ELNS1_3repE0EEENS1_30default_config_static_selectorELNS0_4arch9wavefront6targetE0EEEvSR_
	.p2align	8
	.type	_ZN7rocprim17ROCPRIM_400000_NS6detail17trampoline_kernelINS0_14default_configENS1_32segmented_reduce_config_selectorIN3c104HalfEEEZNS1_21segmented_reduce_implIS3_PKS6_PS6_PKlS6_N6hipcub16HIPCUB_304000_NS6detail27convert_result_type_wrapperISA_SB_N2at6native12_GLOBAL__N_110CustomProdEEEEE10hipError_tPvRmT0_T1_jT2_SS_T4_T3_P12ihipStream_tbEUlT_E_NS1_11comp_targetILNS1_3genE5ELNS1_11target_archE942ELNS1_3gpuE9ELNS1_3repE0EEENS1_30default_config_static_selectorELNS0_4arch9wavefront6targetE0EEEvSR_,@function
_ZN7rocprim17ROCPRIM_400000_NS6detail17trampoline_kernelINS0_14default_configENS1_32segmented_reduce_config_selectorIN3c104HalfEEEZNS1_21segmented_reduce_implIS3_PKS6_PS6_PKlS6_N6hipcub16HIPCUB_304000_NS6detail27convert_result_type_wrapperISA_SB_N2at6native12_GLOBAL__N_110CustomProdEEEEE10hipError_tPvRmT0_T1_jT2_SS_T4_T3_P12ihipStream_tbEUlT_E_NS1_11comp_targetILNS1_3genE5ELNS1_11target_archE942ELNS1_3gpuE9ELNS1_3repE0EEENS1_30default_config_static_selectorELNS0_4arch9wavefront6targetE0EEEvSR_: ; @_ZN7rocprim17ROCPRIM_400000_NS6detail17trampoline_kernelINS0_14default_configENS1_32segmented_reduce_config_selectorIN3c104HalfEEEZNS1_21segmented_reduce_implIS3_PKS6_PS6_PKlS6_N6hipcub16HIPCUB_304000_NS6detail27convert_result_type_wrapperISA_SB_N2at6native12_GLOBAL__N_110CustomProdEEEEE10hipError_tPvRmT0_T1_jT2_SS_T4_T3_P12ihipStream_tbEUlT_E_NS1_11comp_targetILNS1_3genE5ELNS1_11target_archE942ELNS1_3gpuE9ELNS1_3repE0EEENS1_30default_config_static_selectorELNS0_4arch9wavefront6targetE0EEEvSR_
; %bb.0:
	.section	.rodata,"a",@progbits
	.p2align	6, 0x0
	.amdhsa_kernel _ZN7rocprim17ROCPRIM_400000_NS6detail17trampoline_kernelINS0_14default_configENS1_32segmented_reduce_config_selectorIN3c104HalfEEEZNS1_21segmented_reduce_implIS3_PKS6_PS6_PKlS6_N6hipcub16HIPCUB_304000_NS6detail27convert_result_type_wrapperISA_SB_N2at6native12_GLOBAL__N_110CustomProdEEEEE10hipError_tPvRmT0_T1_jT2_SS_T4_T3_P12ihipStream_tbEUlT_E_NS1_11comp_targetILNS1_3genE5ELNS1_11target_archE942ELNS1_3gpuE9ELNS1_3repE0EEENS1_30default_config_static_selectorELNS0_4arch9wavefront6targetE0EEEvSR_
		.amdhsa_group_segment_fixed_size 0
		.amdhsa_private_segment_fixed_size 0
		.amdhsa_kernarg_size 48
		.amdhsa_user_sgpr_count 15
		.amdhsa_user_sgpr_dispatch_ptr 0
		.amdhsa_user_sgpr_queue_ptr 0
		.amdhsa_user_sgpr_kernarg_segment_ptr 1
		.amdhsa_user_sgpr_dispatch_id 0
		.amdhsa_user_sgpr_private_segment_size 0
		.amdhsa_wavefront_size32 1
		.amdhsa_uses_dynamic_stack 0
		.amdhsa_enable_private_segment 0
		.amdhsa_system_sgpr_workgroup_id_x 1
		.amdhsa_system_sgpr_workgroup_id_y 0
		.amdhsa_system_sgpr_workgroup_id_z 0
		.amdhsa_system_sgpr_workgroup_info 0
		.amdhsa_system_vgpr_workitem_id 0
		.amdhsa_next_free_vgpr 1
		.amdhsa_next_free_sgpr 1
		.amdhsa_reserve_vcc 0
		.amdhsa_float_round_mode_32 0
		.amdhsa_float_round_mode_16_64 0
		.amdhsa_float_denorm_mode_32 3
		.amdhsa_float_denorm_mode_16_64 3
		.amdhsa_dx10_clamp 1
		.amdhsa_ieee_mode 1
		.amdhsa_fp16_overflow 0
		.amdhsa_workgroup_processor_mode 1
		.amdhsa_memory_ordered 1
		.amdhsa_forward_progress 0
		.amdhsa_shared_vgpr_count 0
		.amdhsa_exception_fp_ieee_invalid_op 0
		.amdhsa_exception_fp_denorm_src 0
		.amdhsa_exception_fp_ieee_div_zero 0
		.amdhsa_exception_fp_ieee_overflow 0
		.amdhsa_exception_fp_ieee_underflow 0
		.amdhsa_exception_fp_ieee_inexact 0
		.amdhsa_exception_int_div_zero 0
	.end_amdhsa_kernel
	.section	.text._ZN7rocprim17ROCPRIM_400000_NS6detail17trampoline_kernelINS0_14default_configENS1_32segmented_reduce_config_selectorIN3c104HalfEEEZNS1_21segmented_reduce_implIS3_PKS6_PS6_PKlS6_N6hipcub16HIPCUB_304000_NS6detail27convert_result_type_wrapperISA_SB_N2at6native12_GLOBAL__N_110CustomProdEEEEE10hipError_tPvRmT0_T1_jT2_SS_T4_T3_P12ihipStream_tbEUlT_E_NS1_11comp_targetILNS1_3genE5ELNS1_11target_archE942ELNS1_3gpuE9ELNS1_3repE0EEENS1_30default_config_static_selectorELNS0_4arch9wavefront6targetE0EEEvSR_,"axG",@progbits,_ZN7rocprim17ROCPRIM_400000_NS6detail17trampoline_kernelINS0_14default_configENS1_32segmented_reduce_config_selectorIN3c104HalfEEEZNS1_21segmented_reduce_implIS3_PKS6_PS6_PKlS6_N6hipcub16HIPCUB_304000_NS6detail27convert_result_type_wrapperISA_SB_N2at6native12_GLOBAL__N_110CustomProdEEEEE10hipError_tPvRmT0_T1_jT2_SS_T4_T3_P12ihipStream_tbEUlT_E_NS1_11comp_targetILNS1_3genE5ELNS1_11target_archE942ELNS1_3gpuE9ELNS1_3repE0EEENS1_30default_config_static_selectorELNS0_4arch9wavefront6targetE0EEEvSR_,comdat
.Lfunc_end239:
	.size	_ZN7rocprim17ROCPRIM_400000_NS6detail17trampoline_kernelINS0_14default_configENS1_32segmented_reduce_config_selectorIN3c104HalfEEEZNS1_21segmented_reduce_implIS3_PKS6_PS6_PKlS6_N6hipcub16HIPCUB_304000_NS6detail27convert_result_type_wrapperISA_SB_N2at6native12_GLOBAL__N_110CustomProdEEEEE10hipError_tPvRmT0_T1_jT2_SS_T4_T3_P12ihipStream_tbEUlT_E_NS1_11comp_targetILNS1_3genE5ELNS1_11target_archE942ELNS1_3gpuE9ELNS1_3repE0EEENS1_30default_config_static_selectorELNS0_4arch9wavefront6targetE0EEEvSR_, .Lfunc_end239-_ZN7rocprim17ROCPRIM_400000_NS6detail17trampoline_kernelINS0_14default_configENS1_32segmented_reduce_config_selectorIN3c104HalfEEEZNS1_21segmented_reduce_implIS3_PKS6_PS6_PKlS6_N6hipcub16HIPCUB_304000_NS6detail27convert_result_type_wrapperISA_SB_N2at6native12_GLOBAL__N_110CustomProdEEEEE10hipError_tPvRmT0_T1_jT2_SS_T4_T3_P12ihipStream_tbEUlT_E_NS1_11comp_targetILNS1_3genE5ELNS1_11target_archE942ELNS1_3gpuE9ELNS1_3repE0EEENS1_30default_config_static_selectorELNS0_4arch9wavefront6targetE0EEEvSR_
                                        ; -- End function
	.section	.AMDGPU.csdata,"",@progbits
; Kernel info:
; codeLenInByte = 0
; NumSgprs: 0
; NumVgprs: 0
; ScratchSize: 0
; MemoryBound: 0
; FloatMode: 240
; IeeeMode: 1
; LDSByteSize: 0 bytes/workgroup (compile time only)
; SGPRBlocks: 0
; VGPRBlocks: 0
; NumSGPRsForWavesPerEU: 1
; NumVGPRsForWavesPerEU: 1
; Occupancy: 16
; WaveLimiterHint : 0
; COMPUTE_PGM_RSRC2:SCRATCH_EN: 0
; COMPUTE_PGM_RSRC2:USER_SGPR: 15
; COMPUTE_PGM_RSRC2:TRAP_HANDLER: 0
; COMPUTE_PGM_RSRC2:TGID_X_EN: 1
; COMPUTE_PGM_RSRC2:TGID_Y_EN: 0
; COMPUTE_PGM_RSRC2:TGID_Z_EN: 0
; COMPUTE_PGM_RSRC2:TIDIG_COMP_CNT: 0
	.section	.text._ZN7rocprim17ROCPRIM_400000_NS6detail17trampoline_kernelINS0_14default_configENS1_32segmented_reduce_config_selectorIN3c104HalfEEEZNS1_21segmented_reduce_implIS3_PKS6_PS6_PKlS6_N6hipcub16HIPCUB_304000_NS6detail27convert_result_type_wrapperISA_SB_N2at6native12_GLOBAL__N_110CustomProdEEEEE10hipError_tPvRmT0_T1_jT2_SS_T4_T3_P12ihipStream_tbEUlT_E_NS1_11comp_targetILNS1_3genE10ELNS1_11target_archE1201ELNS1_3gpuE5ELNS1_3repE0EEENS1_30default_config_static_selectorELNS0_4arch9wavefront6targetE0EEEvSR_,"axG",@progbits,_ZN7rocprim17ROCPRIM_400000_NS6detail17trampoline_kernelINS0_14default_configENS1_32segmented_reduce_config_selectorIN3c104HalfEEEZNS1_21segmented_reduce_implIS3_PKS6_PS6_PKlS6_N6hipcub16HIPCUB_304000_NS6detail27convert_result_type_wrapperISA_SB_N2at6native12_GLOBAL__N_110CustomProdEEEEE10hipError_tPvRmT0_T1_jT2_SS_T4_T3_P12ihipStream_tbEUlT_E_NS1_11comp_targetILNS1_3genE10ELNS1_11target_archE1201ELNS1_3gpuE5ELNS1_3repE0EEENS1_30default_config_static_selectorELNS0_4arch9wavefront6targetE0EEEvSR_,comdat
	.globl	_ZN7rocprim17ROCPRIM_400000_NS6detail17trampoline_kernelINS0_14default_configENS1_32segmented_reduce_config_selectorIN3c104HalfEEEZNS1_21segmented_reduce_implIS3_PKS6_PS6_PKlS6_N6hipcub16HIPCUB_304000_NS6detail27convert_result_type_wrapperISA_SB_N2at6native12_GLOBAL__N_110CustomProdEEEEE10hipError_tPvRmT0_T1_jT2_SS_T4_T3_P12ihipStream_tbEUlT_E_NS1_11comp_targetILNS1_3genE10ELNS1_11target_archE1201ELNS1_3gpuE5ELNS1_3repE0EEENS1_30default_config_static_selectorELNS0_4arch9wavefront6targetE0EEEvSR_ ; -- Begin function _ZN7rocprim17ROCPRIM_400000_NS6detail17trampoline_kernelINS0_14default_configENS1_32segmented_reduce_config_selectorIN3c104HalfEEEZNS1_21segmented_reduce_implIS3_PKS6_PS6_PKlS6_N6hipcub16HIPCUB_304000_NS6detail27convert_result_type_wrapperISA_SB_N2at6native12_GLOBAL__N_110CustomProdEEEEE10hipError_tPvRmT0_T1_jT2_SS_T4_T3_P12ihipStream_tbEUlT_E_NS1_11comp_targetILNS1_3genE10ELNS1_11target_archE1201ELNS1_3gpuE5ELNS1_3repE0EEENS1_30default_config_static_selectorELNS0_4arch9wavefront6targetE0EEEvSR_
	.p2align	8
	.type	_ZN7rocprim17ROCPRIM_400000_NS6detail17trampoline_kernelINS0_14default_configENS1_32segmented_reduce_config_selectorIN3c104HalfEEEZNS1_21segmented_reduce_implIS3_PKS6_PS6_PKlS6_N6hipcub16HIPCUB_304000_NS6detail27convert_result_type_wrapperISA_SB_N2at6native12_GLOBAL__N_110CustomProdEEEEE10hipError_tPvRmT0_T1_jT2_SS_T4_T3_P12ihipStream_tbEUlT_E_NS1_11comp_targetILNS1_3genE10ELNS1_11target_archE1201ELNS1_3gpuE5ELNS1_3repE0EEENS1_30default_config_static_selectorELNS0_4arch9wavefront6targetE0EEEvSR_,@function
_ZN7rocprim17ROCPRIM_400000_NS6detail17trampoline_kernelINS0_14default_configENS1_32segmented_reduce_config_selectorIN3c104HalfEEEZNS1_21segmented_reduce_implIS3_PKS6_PS6_PKlS6_N6hipcub16HIPCUB_304000_NS6detail27convert_result_type_wrapperISA_SB_N2at6native12_GLOBAL__N_110CustomProdEEEEE10hipError_tPvRmT0_T1_jT2_SS_T4_T3_P12ihipStream_tbEUlT_E_NS1_11comp_targetILNS1_3genE10ELNS1_11target_archE1201ELNS1_3gpuE5ELNS1_3repE0EEENS1_30default_config_static_selectorELNS0_4arch9wavefront6targetE0EEEvSR_: ; @_ZN7rocprim17ROCPRIM_400000_NS6detail17trampoline_kernelINS0_14default_configENS1_32segmented_reduce_config_selectorIN3c104HalfEEEZNS1_21segmented_reduce_implIS3_PKS6_PS6_PKlS6_N6hipcub16HIPCUB_304000_NS6detail27convert_result_type_wrapperISA_SB_N2at6native12_GLOBAL__N_110CustomProdEEEEE10hipError_tPvRmT0_T1_jT2_SS_T4_T3_P12ihipStream_tbEUlT_E_NS1_11comp_targetILNS1_3genE10ELNS1_11target_archE1201ELNS1_3gpuE5ELNS1_3repE0EEENS1_30default_config_static_selectorELNS0_4arch9wavefront6targetE0EEEvSR_
; %bb.0:
	.section	.rodata,"a",@progbits
	.p2align	6, 0x0
	.amdhsa_kernel _ZN7rocprim17ROCPRIM_400000_NS6detail17trampoline_kernelINS0_14default_configENS1_32segmented_reduce_config_selectorIN3c104HalfEEEZNS1_21segmented_reduce_implIS3_PKS6_PS6_PKlS6_N6hipcub16HIPCUB_304000_NS6detail27convert_result_type_wrapperISA_SB_N2at6native12_GLOBAL__N_110CustomProdEEEEE10hipError_tPvRmT0_T1_jT2_SS_T4_T3_P12ihipStream_tbEUlT_E_NS1_11comp_targetILNS1_3genE10ELNS1_11target_archE1201ELNS1_3gpuE5ELNS1_3repE0EEENS1_30default_config_static_selectorELNS0_4arch9wavefront6targetE0EEEvSR_
		.amdhsa_group_segment_fixed_size 0
		.amdhsa_private_segment_fixed_size 0
		.amdhsa_kernarg_size 48
		.amdhsa_user_sgpr_count 15
		.amdhsa_user_sgpr_dispatch_ptr 0
		.amdhsa_user_sgpr_queue_ptr 0
		.amdhsa_user_sgpr_kernarg_segment_ptr 1
		.amdhsa_user_sgpr_dispatch_id 0
		.amdhsa_user_sgpr_private_segment_size 0
		.amdhsa_wavefront_size32 1
		.amdhsa_uses_dynamic_stack 0
		.amdhsa_enable_private_segment 0
		.amdhsa_system_sgpr_workgroup_id_x 1
		.amdhsa_system_sgpr_workgroup_id_y 0
		.amdhsa_system_sgpr_workgroup_id_z 0
		.amdhsa_system_sgpr_workgroup_info 0
		.amdhsa_system_vgpr_workitem_id 0
		.amdhsa_next_free_vgpr 1
		.amdhsa_next_free_sgpr 1
		.amdhsa_reserve_vcc 0
		.amdhsa_float_round_mode_32 0
		.amdhsa_float_round_mode_16_64 0
		.amdhsa_float_denorm_mode_32 3
		.amdhsa_float_denorm_mode_16_64 3
		.amdhsa_dx10_clamp 1
		.amdhsa_ieee_mode 1
		.amdhsa_fp16_overflow 0
		.amdhsa_workgroup_processor_mode 1
		.amdhsa_memory_ordered 1
		.amdhsa_forward_progress 0
		.amdhsa_shared_vgpr_count 0
		.amdhsa_exception_fp_ieee_invalid_op 0
		.amdhsa_exception_fp_denorm_src 0
		.amdhsa_exception_fp_ieee_div_zero 0
		.amdhsa_exception_fp_ieee_overflow 0
		.amdhsa_exception_fp_ieee_underflow 0
		.amdhsa_exception_fp_ieee_inexact 0
		.amdhsa_exception_int_div_zero 0
	.end_amdhsa_kernel
	.section	.text._ZN7rocprim17ROCPRIM_400000_NS6detail17trampoline_kernelINS0_14default_configENS1_32segmented_reduce_config_selectorIN3c104HalfEEEZNS1_21segmented_reduce_implIS3_PKS6_PS6_PKlS6_N6hipcub16HIPCUB_304000_NS6detail27convert_result_type_wrapperISA_SB_N2at6native12_GLOBAL__N_110CustomProdEEEEE10hipError_tPvRmT0_T1_jT2_SS_T4_T3_P12ihipStream_tbEUlT_E_NS1_11comp_targetILNS1_3genE10ELNS1_11target_archE1201ELNS1_3gpuE5ELNS1_3repE0EEENS1_30default_config_static_selectorELNS0_4arch9wavefront6targetE0EEEvSR_,"axG",@progbits,_ZN7rocprim17ROCPRIM_400000_NS6detail17trampoline_kernelINS0_14default_configENS1_32segmented_reduce_config_selectorIN3c104HalfEEEZNS1_21segmented_reduce_implIS3_PKS6_PS6_PKlS6_N6hipcub16HIPCUB_304000_NS6detail27convert_result_type_wrapperISA_SB_N2at6native12_GLOBAL__N_110CustomProdEEEEE10hipError_tPvRmT0_T1_jT2_SS_T4_T3_P12ihipStream_tbEUlT_E_NS1_11comp_targetILNS1_3genE10ELNS1_11target_archE1201ELNS1_3gpuE5ELNS1_3repE0EEENS1_30default_config_static_selectorELNS0_4arch9wavefront6targetE0EEEvSR_,comdat
.Lfunc_end240:
	.size	_ZN7rocprim17ROCPRIM_400000_NS6detail17trampoline_kernelINS0_14default_configENS1_32segmented_reduce_config_selectorIN3c104HalfEEEZNS1_21segmented_reduce_implIS3_PKS6_PS6_PKlS6_N6hipcub16HIPCUB_304000_NS6detail27convert_result_type_wrapperISA_SB_N2at6native12_GLOBAL__N_110CustomProdEEEEE10hipError_tPvRmT0_T1_jT2_SS_T4_T3_P12ihipStream_tbEUlT_E_NS1_11comp_targetILNS1_3genE10ELNS1_11target_archE1201ELNS1_3gpuE5ELNS1_3repE0EEENS1_30default_config_static_selectorELNS0_4arch9wavefront6targetE0EEEvSR_, .Lfunc_end240-_ZN7rocprim17ROCPRIM_400000_NS6detail17trampoline_kernelINS0_14default_configENS1_32segmented_reduce_config_selectorIN3c104HalfEEEZNS1_21segmented_reduce_implIS3_PKS6_PS6_PKlS6_N6hipcub16HIPCUB_304000_NS6detail27convert_result_type_wrapperISA_SB_N2at6native12_GLOBAL__N_110CustomProdEEEEE10hipError_tPvRmT0_T1_jT2_SS_T4_T3_P12ihipStream_tbEUlT_E_NS1_11comp_targetILNS1_3genE10ELNS1_11target_archE1201ELNS1_3gpuE5ELNS1_3repE0EEENS1_30default_config_static_selectorELNS0_4arch9wavefront6targetE0EEEvSR_
                                        ; -- End function
	.section	.AMDGPU.csdata,"",@progbits
; Kernel info:
; codeLenInByte = 0
; NumSgprs: 0
; NumVgprs: 0
; ScratchSize: 0
; MemoryBound: 0
; FloatMode: 240
; IeeeMode: 1
; LDSByteSize: 0 bytes/workgroup (compile time only)
; SGPRBlocks: 0
; VGPRBlocks: 0
; NumSGPRsForWavesPerEU: 1
; NumVGPRsForWavesPerEU: 1
; Occupancy: 16
; WaveLimiterHint : 0
; COMPUTE_PGM_RSRC2:SCRATCH_EN: 0
; COMPUTE_PGM_RSRC2:USER_SGPR: 15
; COMPUTE_PGM_RSRC2:TRAP_HANDLER: 0
; COMPUTE_PGM_RSRC2:TGID_X_EN: 1
; COMPUTE_PGM_RSRC2:TGID_Y_EN: 0
; COMPUTE_PGM_RSRC2:TGID_Z_EN: 0
; COMPUTE_PGM_RSRC2:TIDIG_COMP_CNT: 0
	.section	.text._ZN7rocprim17ROCPRIM_400000_NS6detail17trampoline_kernelINS0_14default_configENS1_32segmented_reduce_config_selectorIN3c104HalfEEEZNS1_21segmented_reduce_implIS3_PKS6_PS6_PKlS6_N6hipcub16HIPCUB_304000_NS6detail27convert_result_type_wrapperISA_SB_N2at6native12_GLOBAL__N_110CustomProdEEEEE10hipError_tPvRmT0_T1_jT2_SS_T4_T3_P12ihipStream_tbEUlT_E_NS1_11comp_targetILNS1_3genE4ELNS1_11target_archE910ELNS1_3gpuE8ELNS1_3repE0EEENS1_30default_config_static_selectorELNS0_4arch9wavefront6targetE0EEEvSR_,"axG",@progbits,_ZN7rocprim17ROCPRIM_400000_NS6detail17trampoline_kernelINS0_14default_configENS1_32segmented_reduce_config_selectorIN3c104HalfEEEZNS1_21segmented_reduce_implIS3_PKS6_PS6_PKlS6_N6hipcub16HIPCUB_304000_NS6detail27convert_result_type_wrapperISA_SB_N2at6native12_GLOBAL__N_110CustomProdEEEEE10hipError_tPvRmT0_T1_jT2_SS_T4_T3_P12ihipStream_tbEUlT_E_NS1_11comp_targetILNS1_3genE4ELNS1_11target_archE910ELNS1_3gpuE8ELNS1_3repE0EEENS1_30default_config_static_selectorELNS0_4arch9wavefront6targetE0EEEvSR_,comdat
	.globl	_ZN7rocprim17ROCPRIM_400000_NS6detail17trampoline_kernelINS0_14default_configENS1_32segmented_reduce_config_selectorIN3c104HalfEEEZNS1_21segmented_reduce_implIS3_PKS6_PS6_PKlS6_N6hipcub16HIPCUB_304000_NS6detail27convert_result_type_wrapperISA_SB_N2at6native12_GLOBAL__N_110CustomProdEEEEE10hipError_tPvRmT0_T1_jT2_SS_T4_T3_P12ihipStream_tbEUlT_E_NS1_11comp_targetILNS1_3genE4ELNS1_11target_archE910ELNS1_3gpuE8ELNS1_3repE0EEENS1_30default_config_static_selectorELNS0_4arch9wavefront6targetE0EEEvSR_ ; -- Begin function _ZN7rocprim17ROCPRIM_400000_NS6detail17trampoline_kernelINS0_14default_configENS1_32segmented_reduce_config_selectorIN3c104HalfEEEZNS1_21segmented_reduce_implIS3_PKS6_PS6_PKlS6_N6hipcub16HIPCUB_304000_NS6detail27convert_result_type_wrapperISA_SB_N2at6native12_GLOBAL__N_110CustomProdEEEEE10hipError_tPvRmT0_T1_jT2_SS_T4_T3_P12ihipStream_tbEUlT_E_NS1_11comp_targetILNS1_3genE4ELNS1_11target_archE910ELNS1_3gpuE8ELNS1_3repE0EEENS1_30default_config_static_selectorELNS0_4arch9wavefront6targetE0EEEvSR_
	.p2align	8
	.type	_ZN7rocprim17ROCPRIM_400000_NS6detail17trampoline_kernelINS0_14default_configENS1_32segmented_reduce_config_selectorIN3c104HalfEEEZNS1_21segmented_reduce_implIS3_PKS6_PS6_PKlS6_N6hipcub16HIPCUB_304000_NS6detail27convert_result_type_wrapperISA_SB_N2at6native12_GLOBAL__N_110CustomProdEEEEE10hipError_tPvRmT0_T1_jT2_SS_T4_T3_P12ihipStream_tbEUlT_E_NS1_11comp_targetILNS1_3genE4ELNS1_11target_archE910ELNS1_3gpuE8ELNS1_3repE0EEENS1_30default_config_static_selectorELNS0_4arch9wavefront6targetE0EEEvSR_,@function
_ZN7rocprim17ROCPRIM_400000_NS6detail17trampoline_kernelINS0_14default_configENS1_32segmented_reduce_config_selectorIN3c104HalfEEEZNS1_21segmented_reduce_implIS3_PKS6_PS6_PKlS6_N6hipcub16HIPCUB_304000_NS6detail27convert_result_type_wrapperISA_SB_N2at6native12_GLOBAL__N_110CustomProdEEEEE10hipError_tPvRmT0_T1_jT2_SS_T4_T3_P12ihipStream_tbEUlT_E_NS1_11comp_targetILNS1_3genE4ELNS1_11target_archE910ELNS1_3gpuE8ELNS1_3repE0EEENS1_30default_config_static_selectorELNS0_4arch9wavefront6targetE0EEEvSR_: ; @_ZN7rocprim17ROCPRIM_400000_NS6detail17trampoline_kernelINS0_14default_configENS1_32segmented_reduce_config_selectorIN3c104HalfEEEZNS1_21segmented_reduce_implIS3_PKS6_PS6_PKlS6_N6hipcub16HIPCUB_304000_NS6detail27convert_result_type_wrapperISA_SB_N2at6native12_GLOBAL__N_110CustomProdEEEEE10hipError_tPvRmT0_T1_jT2_SS_T4_T3_P12ihipStream_tbEUlT_E_NS1_11comp_targetILNS1_3genE4ELNS1_11target_archE910ELNS1_3gpuE8ELNS1_3repE0EEENS1_30default_config_static_selectorELNS0_4arch9wavefront6targetE0EEEvSR_
; %bb.0:
	.section	.rodata,"a",@progbits
	.p2align	6, 0x0
	.amdhsa_kernel _ZN7rocprim17ROCPRIM_400000_NS6detail17trampoline_kernelINS0_14default_configENS1_32segmented_reduce_config_selectorIN3c104HalfEEEZNS1_21segmented_reduce_implIS3_PKS6_PS6_PKlS6_N6hipcub16HIPCUB_304000_NS6detail27convert_result_type_wrapperISA_SB_N2at6native12_GLOBAL__N_110CustomProdEEEEE10hipError_tPvRmT0_T1_jT2_SS_T4_T3_P12ihipStream_tbEUlT_E_NS1_11comp_targetILNS1_3genE4ELNS1_11target_archE910ELNS1_3gpuE8ELNS1_3repE0EEENS1_30default_config_static_selectorELNS0_4arch9wavefront6targetE0EEEvSR_
		.amdhsa_group_segment_fixed_size 0
		.amdhsa_private_segment_fixed_size 0
		.amdhsa_kernarg_size 48
		.amdhsa_user_sgpr_count 15
		.amdhsa_user_sgpr_dispatch_ptr 0
		.amdhsa_user_sgpr_queue_ptr 0
		.amdhsa_user_sgpr_kernarg_segment_ptr 1
		.amdhsa_user_sgpr_dispatch_id 0
		.amdhsa_user_sgpr_private_segment_size 0
		.amdhsa_wavefront_size32 1
		.amdhsa_uses_dynamic_stack 0
		.amdhsa_enable_private_segment 0
		.amdhsa_system_sgpr_workgroup_id_x 1
		.amdhsa_system_sgpr_workgroup_id_y 0
		.amdhsa_system_sgpr_workgroup_id_z 0
		.amdhsa_system_sgpr_workgroup_info 0
		.amdhsa_system_vgpr_workitem_id 0
		.amdhsa_next_free_vgpr 1
		.amdhsa_next_free_sgpr 1
		.amdhsa_reserve_vcc 0
		.amdhsa_float_round_mode_32 0
		.amdhsa_float_round_mode_16_64 0
		.amdhsa_float_denorm_mode_32 3
		.amdhsa_float_denorm_mode_16_64 3
		.amdhsa_dx10_clamp 1
		.amdhsa_ieee_mode 1
		.amdhsa_fp16_overflow 0
		.amdhsa_workgroup_processor_mode 1
		.amdhsa_memory_ordered 1
		.amdhsa_forward_progress 0
		.amdhsa_shared_vgpr_count 0
		.amdhsa_exception_fp_ieee_invalid_op 0
		.amdhsa_exception_fp_denorm_src 0
		.amdhsa_exception_fp_ieee_div_zero 0
		.amdhsa_exception_fp_ieee_overflow 0
		.amdhsa_exception_fp_ieee_underflow 0
		.amdhsa_exception_fp_ieee_inexact 0
		.amdhsa_exception_int_div_zero 0
	.end_amdhsa_kernel
	.section	.text._ZN7rocprim17ROCPRIM_400000_NS6detail17trampoline_kernelINS0_14default_configENS1_32segmented_reduce_config_selectorIN3c104HalfEEEZNS1_21segmented_reduce_implIS3_PKS6_PS6_PKlS6_N6hipcub16HIPCUB_304000_NS6detail27convert_result_type_wrapperISA_SB_N2at6native12_GLOBAL__N_110CustomProdEEEEE10hipError_tPvRmT0_T1_jT2_SS_T4_T3_P12ihipStream_tbEUlT_E_NS1_11comp_targetILNS1_3genE4ELNS1_11target_archE910ELNS1_3gpuE8ELNS1_3repE0EEENS1_30default_config_static_selectorELNS0_4arch9wavefront6targetE0EEEvSR_,"axG",@progbits,_ZN7rocprim17ROCPRIM_400000_NS6detail17trampoline_kernelINS0_14default_configENS1_32segmented_reduce_config_selectorIN3c104HalfEEEZNS1_21segmented_reduce_implIS3_PKS6_PS6_PKlS6_N6hipcub16HIPCUB_304000_NS6detail27convert_result_type_wrapperISA_SB_N2at6native12_GLOBAL__N_110CustomProdEEEEE10hipError_tPvRmT0_T1_jT2_SS_T4_T3_P12ihipStream_tbEUlT_E_NS1_11comp_targetILNS1_3genE4ELNS1_11target_archE910ELNS1_3gpuE8ELNS1_3repE0EEENS1_30default_config_static_selectorELNS0_4arch9wavefront6targetE0EEEvSR_,comdat
.Lfunc_end241:
	.size	_ZN7rocprim17ROCPRIM_400000_NS6detail17trampoline_kernelINS0_14default_configENS1_32segmented_reduce_config_selectorIN3c104HalfEEEZNS1_21segmented_reduce_implIS3_PKS6_PS6_PKlS6_N6hipcub16HIPCUB_304000_NS6detail27convert_result_type_wrapperISA_SB_N2at6native12_GLOBAL__N_110CustomProdEEEEE10hipError_tPvRmT0_T1_jT2_SS_T4_T3_P12ihipStream_tbEUlT_E_NS1_11comp_targetILNS1_3genE4ELNS1_11target_archE910ELNS1_3gpuE8ELNS1_3repE0EEENS1_30default_config_static_selectorELNS0_4arch9wavefront6targetE0EEEvSR_, .Lfunc_end241-_ZN7rocprim17ROCPRIM_400000_NS6detail17trampoline_kernelINS0_14default_configENS1_32segmented_reduce_config_selectorIN3c104HalfEEEZNS1_21segmented_reduce_implIS3_PKS6_PS6_PKlS6_N6hipcub16HIPCUB_304000_NS6detail27convert_result_type_wrapperISA_SB_N2at6native12_GLOBAL__N_110CustomProdEEEEE10hipError_tPvRmT0_T1_jT2_SS_T4_T3_P12ihipStream_tbEUlT_E_NS1_11comp_targetILNS1_3genE4ELNS1_11target_archE910ELNS1_3gpuE8ELNS1_3repE0EEENS1_30default_config_static_selectorELNS0_4arch9wavefront6targetE0EEEvSR_
                                        ; -- End function
	.section	.AMDGPU.csdata,"",@progbits
; Kernel info:
; codeLenInByte = 0
; NumSgprs: 0
; NumVgprs: 0
; ScratchSize: 0
; MemoryBound: 0
; FloatMode: 240
; IeeeMode: 1
; LDSByteSize: 0 bytes/workgroup (compile time only)
; SGPRBlocks: 0
; VGPRBlocks: 0
; NumSGPRsForWavesPerEU: 1
; NumVGPRsForWavesPerEU: 1
; Occupancy: 16
; WaveLimiterHint : 0
; COMPUTE_PGM_RSRC2:SCRATCH_EN: 0
; COMPUTE_PGM_RSRC2:USER_SGPR: 15
; COMPUTE_PGM_RSRC2:TRAP_HANDLER: 0
; COMPUTE_PGM_RSRC2:TGID_X_EN: 1
; COMPUTE_PGM_RSRC2:TGID_Y_EN: 0
; COMPUTE_PGM_RSRC2:TGID_Z_EN: 0
; COMPUTE_PGM_RSRC2:TIDIG_COMP_CNT: 0
	.section	.text._ZN7rocprim17ROCPRIM_400000_NS6detail17trampoline_kernelINS0_14default_configENS1_32segmented_reduce_config_selectorIN3c104HalfEEEZNS1_21segmented_reduce_implIS3_PKS6_PS6_PKlS6_N6hipcub16HIPCUB_304000_NS6detail27convert_result_type_wrapperISA_SB_N2at6native12_GLOBAL__N_110CustomProdEEEEE10hipError_tPvRmT0_T1_jT2_SS_T4_T3_P12ihipStream_tbEUlT_E_NS1_11comp_targetILNS1_3genE3ELNS1_11target_archE908ELNS1_3gpuE7ELNS1_3repE0EEENS1_30default_config_static_selectorELNS0_4arch9wavefront6targetE0EEEvSR_,"axG",@progbits,_ZN7rocprim17ROCPRIM_400000_NS6detail17trampoline_kernelINS0_14default_configENS1_32segmented_reduce_config_selectorIN3c104HalfEEEZNS1_21segmented_reduce_implIS3_PKS6_PS6_PKlS6_N6hipcub16HIPCUB_304000_NS6detail27convert_result_type_wrapperISA_SB_N2at6native12_GLOBAL__N_110CustomProdEEEEE10hipError_tPvRmT0_T1_jT2_SS_T4_T3_P12ihipStream_tbEUlT_E_NS1_11comp_targetILNS1_3genE3ELNS1_11target_archE908ELNS1_3gpuE7ELNS1_3repE0EEENS1_30default_config_static_selectorELNS0_4arch9wavefront6targetE0EEEvSR_,comdat
	.globl	_ZN7rocprim17ROCPRIM_400000_NS6detail17trampoline_kernelINS0_14default_configENS1_32segmented_reduce_config_selectorIN3c104HalfEEEZNS1_21segmented_reduce_implIS3_PKS6_PS6_PKlS6_N6hipcub16HIPCUB_304000_NS6detail27convert_result_type_wrapperISA_SB_N2at6native12_GLOBAL__N_110CustomProdEEEEE10hipError_tPvRmT0_T1_jT2_SS_T4_T3_P12ihipStream_tbEUlT_E_NS1_11comp_targetILNS1_3genE3ELNS1_11target_archE908ELNS1_3gpuE7ELNS1_3repE0EEENS1_30default_config_static_selectorELNS0_4arch9wavefront6targetE0EEEvSR_ ; -- Begin function _ZN7rocprim17ROCPRIM_400000_NS6detail17trampoline_kernelINS0_14default_configENS1_32segmented_reduce_config_selectorIN3c104HalfEEEZNS1_21segmented_reduce_implIS3_PKS6_PS6_PKlS6_N6hipcub16HIPCUB_304000_NS6detail27convert_result_type_wrapperISA_SB_N2at6native12_GLOBAL__N_110CustomProdEEEEE10hipError_tPvRmT0_T1_jT2_SS_T4_T3_P12ihipStream_tbEUlT_E_NS1_11comp_targetILNS1_3genE3ELNS1_11target_archE908ELNS1_3gpuE7ELNS1_3repE0EEENS1_30default_config_static_selectorELNS0_4arch9wavefront6targetE0EEEvSR_
	.p2align	8
	.type	_ZN7rocprim17ROCPRIM_400000_NS6detail17trampoline_kernelINS0_14default_configENS1_32segmented_reduce_config_selectorIN3c104HalfEEEZNS1_21segmented_reduce_implIS3_PKS6_PS6_PKlS6_N6hipcub16HIPCUB_304000_NS6detail27convert_result_type_wrapperISA_SB_N2at6native12_GLOBAL__N_110CustomProdEEEEE10hipError_tPvRmT0_T1_jT2_SS_T4_T3_P12ihipStream_tbEUlT_E_NS1_11comp_targetILNS1_3genE3ELNS1_11target_archE908ELNS1_3gpuE7ELNS1_3repE0EEENS1_30default_config_static_selectorELNS0_4arch9wavefront6targetE0EEEvSR_,@function
_ZN7rocprim17ROCPRIM_400000_NS6detail17trampoline_kernelINS0_14default_configENS1_32segmented_reduce_config_selectorIN3c104HalfEEEZNS1_21segmented_reduce_implIS3_PKS6_PS6_PKlS6_N6hipcub16HIPCUB_304000_NS6detail27convert_result_type_wrapperISA_SB_N2at6native12_GLOBAL__N_110CustomProdEEEEE10hipError_tPvRmT0_T1_jT2_SS_T4_T3_P12ihipStream_tbEUlT_E_NS1_11comp_targetILNS1_3genE3ELNS1_11target_archE908ELNS1_3gpuE7ELNS1_3repE0EEENS1_30default_config_static_selectorELNS0_4arch9wavefront6targetE0EEEvSR_: ; @_ZN7rocprim17ROCPRIM_400000_NS6detail17trampoline_kernelINS0_14default_configENS1_32segmented_reduce_config_selectorIN3c104HalfEEEZNS1_21segmented_reduce_implIS3_PKS6_PS6_PKlS6_N6hipcub16HIPCUB_304000_NS6detail27convert_result_type_wrapperISA_SB_N2at6native12_GLOBAL__N_110CustomProdEEEEE10hipError_tPvRmT0_T1_jT2_SS_T4_T3_P12ihipStream_tbEUlT_E_NS1_11comp_targetILNS1_3genE3ELNS1_11target_archE908ELNS1_3gpuE7ELNS1_3repE0EEENS1_30default_config_static_selectorELNS0_4arch9wavefront6targetE0EEEvSR_
; %bb.0:
	.section	.rodata,"a",@progbits
	.p2align	6, 0x0
	.amdhsa_kernel _ZN7rocprim17ROCPRIM_400000_NS6detail17trampoline_kernelINS0_14default_configENS1_32segmented_reduce_config_selectorIN3c104HalfEEEZNS1_21segmented_reduce_implIS3_PKS6_PS6_PKlS6_N6hipcub16HIPCUB_304000_NS6detail27convert_result_type_wrapperISA_SB_N2at6native12_GLOBAL__N_110CustomProdEEEEE10hipError_tPvRmT0_T1_jT2_SS_T4_T3_P12ihipStream_tbEUlT_E_NS1_11comp_targetILNS1_3genE3ELNS1_11target_archE908ELNS1_3gpuE7ELNS1_3repE0EEENS1_30default_config_static_selectorELNS0_4arch9wavefront6targetE0EEEvSR_
		.amdhsa_group_segment_fixed_size 0
		.amdhsa_private_segment_fixed_size 0
		.amdhsa_kernarg_size 48
		.amdhsa_user_sgpr_count 15
		.amdhsa_user_sgpr_dispatch_ptr 0
		.amdhsa_user_sgpr_queue_ptr 0
		.amdhsa_user_sgpr_kernarg_segment_ptr 1
		.amdhsa_user_sgpr_dispatch_id 0
		.amdhsa_user_sgpr_private_segment_size 0
		.amdhsa_wavefront_size32 1
		.amdhsa_uses_dynamic_stack 0
		.amdhsa_enable_private_segment 0
		.amdhsa_system_sgpr_workgroup_id_x 1
		.amdhsa_system_sgpr_workgroup_id_y 0
		.amdhsa_system_sgpr_workgroup_id_z 0
		.amdhsa_system_sgpr_workgroup_info 0
		.amdhsa_system_vgpr_workitem_id 0
		.amdhsa_next_free_vgpr 1
		.amdhsa_next_free_sgpr 1
		.amdhsa_reserve_vcc 0
		.amdhsa_float_round_mode_32 0
		.amdhsa_float_round_mode_16_64 0
		.amdhsa_float_denorm_mode_32 3
		.amdhsa_float_denorm_mode_16_64 3
		.amdhsa_dx10_clamp 1
		.amdhsa_ieee_mode 1
		.amdhsa_fp16_overflow 0
		.amdhsa_workgroup_processor_mode 1
		.amdhsa_memory_ordered 1
		.amdhsa_forward_progress 0
		.amdhsa_shared_vgpr_count 0
		.amdhsa_exception_fp_ieee_invalid_op 0
		.amdhsa_exception_fp_denorm_src 0
		.amdhsa_exception_fp_ieee_div_zero 0
		.amdhsa_exception_fp_ieee_overflow 0
		.amdhsa_exception_fp_ieee_underflow 0
		.amdhsa_exception_fp_ieee_inexact 0
		.amdhsa_exception_int_div_zero 0
	.end_amdhsa_kernel
	.section	.text._ZN7rocprim17ROCPRIM_400000_NS6detail17trampoline_kernelINS0_14default_configENS1_32segmented_reduce_config_selectorIN3c104HalfEEEZNS1_21segmented_reduce_implIS3_PKS6_PS6_PKlS6_N6hipcub16HIPCUB_304000_NS6detail27convert_result_type_wrapperISA_SB_N2at6native12_GLOBAL__N_110CustomProdEEEEE10hipError_tPvRmT0_T1_jT2_SS_T4_T3_P12ihipStream_tbEUlT_E_NS1_11comp_targetILNS1_3genE3ELNS1_11target_archE908ELNS1_3gpuE7ELNS1_3repE0EEENS1_30default_config_static_selectorELNS0_4arch9wavefront6targetE0EEEvSR_,"axG",@progbits,_ZN7rocprim17ROCPRIM_400000_NS6detail17trampoline_kernelINS0_14default_configENS1_32segmented_reduce_config_selectorIN3c104HalfEEEZNS1_21segmented_reduce_implIS3_PKS6_PS6_PKlS6_N6hipcub16HIPCUB_304000_NS6detail27convert_result_type_wrapperISA_SB_N2at6native12_GLOBAL__N_110CustomProdEEEEE10hipError_tPvRmT0_T1_jT2_SS_T4_T3_P12ihipStream_tbEUlT_E_NS1_11comp_targetILNS1_3genE3ELNS1_11target_archE908ELNS1_3gpuE7ELNS1_3repE0EEENS1_30default_config_static_selectorELNS0_4arch9wavefront6targetE0EEEvSR_,comdat
.Lfunc_end242:
	.size	_ZN7rocprim17ROCPRIM_400000_NS6detail17trampoline_kernelINS0_14default_configENS1_32segmented_reduce_config_selectorIN3c104HalfEEEZNS1_21segmented_reduce_implIS3_PKS6_PS6_PKlS6_N6hipcub16HIPCUB_304000_NS6detail27convert_result_type_wrapperISA_SB_N2at6native12_GLOBAL__N_110CustomProdEEEEE10hipError_tPvRmT0_T1_jT2_SS_T4_T3_P12ihipStream_tbEUlT_E_NS1_11comp_targetILNS1_3genE3ELNS1_11target_archE908ELNS1_3gpuE7ELNS1_3repE0EEENS1_30default_config_static_selectorELNS0_4arch9wavefront6targetE0EEEvSR_, .Lfunc_end242-_ZN7rocprim17ROCPRIM_400000_NS6detail17trampoline_kernelINS0_14default_configENS1_32segmented_reduce_config_selectorIN3c104HalfEEEZNS1_21segmented_reduce_implIS3_PKS6_PS6_PKlS6_N6hipcub16HIPCUB_304000_NS6detail27convert_result_type_wrapperISA_SB_N2at6native12_GLOBAL__N_110CustomProdEEEEE10hipError_tPvRmT0_T1_jT2_SS_T4_T3_P12ihipStream_tbEUlT_E_NS1_11comp_targetILNS1_3genE3ELNS1_11target_archE908ELNS1_3gpuE7ELNS1_3repE0EEENS1_30default_config_static_selectorELNS0_4arch9wavefront6targetE0EEEvSR_
                                        ; -- End function
	.section	.AMDGPU.csdata,"",@progbits
; Kernel info:
; codeLenInByte = 0
; NumSgprs: 0
; NumVgprs: 0
; ScratchSize: 0
; MemoryBound: 0
; FloatMode: 240
; IeeeMode: 1
; LDSByteSize: 0 bytes/workgroup (compile time only)
; SGPRBlocks: 0
; VGPRBlocks: 0
; NumSGPRsForWavesPerEU: 1
; NumVGPRsForWavesPerEU: 1
; Occupancy: 16
; WaveLimiterHint : 0
; COMPUTE_PGM_RSRC2:SCRATCH_EN: 0
; COMPUTE_PGM_RSRC2:USER_SGPR: 15
; COMPUTE_PGM_RSRC2:TRAP_HANDLER: 0
; COMPUTE_PGM_RSRC2:TGID_X_EN: 1
; COMPUTE_PGM_RSRC2:TGID_Y_EN: 0
; COMPUTE_PGM_RSRC2:TGID_Z_EN: 0
; COMPUTE_PGM_RSRC2:TIDIG_COMP_CNT: 0
	.section	.text._ZN7rocprim17ROCPRIM_400000_NS6detail17trampoline_kernelINS0_14default_configENS1_32segmented_reduce_config_selectorIN3c104HalfEEEZNS1_21segmented_reduce_implIS3_PKS6_PS6_PKlS6_N6hipcub16HIPCUB_304000_NS6detail27convert_result_type_wrapperISA_SB_N2at6native12_GLOBAL__N_110CustomProdEEEEE10hipError_tPvRmT0_T1_jT2_SS_T4_T3_P12ihipStream_tbEUlT_E_NS1_11comp_targetILNS1_3genE2ELNS1_11target_archE906ELNS1_3gpuE6ELNS1_3repE0EEENS1_30default_config_static_selectorELNS0_4arch9wavefront6targetE0EEEvSR_,"axG",@progbits,_ZN7rocprim17ROCPRIM_400000_NS6detail17trampoline_kernelINS0_14default_configENS1_32segmented_reduce_config_selectorIN3c104HalfEEEZNS1_21segmented_reduce_implIS3_PKS6_PS6_PKlS6_N6hipcub16HIPCUB_304000_NS6detail27convert_result_type_wrapperISA_SB_N2at6native12_GLOBAL__N_110CustomProdEEEEE10hipError_tPvRmT0_T1_jT2_SS_T4_T3_P12ihipStream_tbEUlT_E_NS1_11comp_targetILNS1_3genE2ELNS1_11target_archE906ELNS1_3gpuE6ELNS1_3repE0EEENS1_30default_config_static_selectorELNS0_4arch9wavefront6targetE0EEEvSR_,comdat
	.globl	_ZN7rocprim17ROCPRIM_400000_NS6detail17trampoline_kernelINS0_14default_configENS1_32segmented_reduce_config_selectorIN3c104HalfEEEZNS1_21segmented_reduce_implIS3_PKS6_PS6_PKlS6_N6hipcub16HIPCUB_304000_NS6detail27convert_result_type_wrapperISA_SB_N2at6native12_GLOBAL__N_110CustomProdEEEEE10hipError_tPvRmT0_T1_jT2_SS_T4_T3_P12ihipStream_tbEUlT_E_NS1_11comp_targetILNS1_3genE2ELNS1_11target_archE906ELNS1_3gpuE6ELNS1_3repE0EEENS1_30default_config_static_selectorELNS0_4arch9wavefront6targetE0EEEvSR_ ; -- Begin function _ZN7rocprim17ROCPRIM_400000_NS6detail17trampoline_kernelINS0_14default_configENS1_32segmented_reduce_config_selectorIN3c104HalfEEEZNS1_21segmented_reduce_implIS3_PKS6_PS6_PKlS6_N6hipcub16HIPCUB_304000_NS6detail27convert_result_type_wrapperISA_SB_N2at6native12_GLOBAL__N_110CustomProdEEEEE10hipError_tPvRmT0_T1_jT2_SS_T4_T3_P12ihipStream_tbEUlT_E_NS1_11comp_targetILNS1_3genE2ELNS1_11target_archE906ELNS1_3gpuE6ELNS1_3repE0EEENS1_30default_config_static_selectorELNS0_4arch9wavefront6targetE0EEEvSR_
	.p2align	8
	.type	_ZN7rocprim17ROCPRIM_400000_NS6detail17trampoline_kernelINS0_14default_configENS1_32segmented_reduce_config_selectorIN3c104HalfEEEZNS1_21segmented_reduce_implIS3_PKS6_PS6_PKlS6_N6hipcub16HIPCUB_304000_NS6detail27convert_result_type_wrapperISA_SB_N2at6native12_GLOBAL__N_110CustomProdEEEEE10hipError_tPvRmT0_T1_jT2_SS_T4_T3_P12ihipStream_tbEUlT_E_NS1_11comp_targetILNS1_3genE2ELNS1_11target_archE906ELNS1_3gpuE6ELNS1_3repE0EEENS1_30default_config_static_selectorELNS0_4arch9wavefront6targetE0EEEvSR_,@function
_ZN7rocprim17ROCPRIM_400000_NS6detail17trampoline_kernelINS0_14default_configENS1_32segmented_reduce_config_selectorIN3c104HalfEEEZNS1_21segmented_reduce_implIS3_PKS6_PS6_PKlS6_N6hipcub16HIPCUB_304000_NS6detail27convert_result_type_wrapperISA_SB_N2at6native12_GLOBAL__N_110CustomProdEEEEE10hipError_tPvRmT0_T1_jT2_SS_T4_T3_P12ihipStream_tbEUlT_E_NS1_11comp_targetILNS1_3genE2ELNS1_11target_archE906ELNS1_3gpuE6ELNS1_3repE0EEENS1_30default_config_static_selectorELNS0_4arch9wavefront6targetE0EEEvSR_: ; @_ZN7rocprim17ROCPRIM_400000_NS6detail17trampoline_kernelINS0_14default_configENS1_32segmented_reduce_config_selectorIN3c104HalfEEEZNS1_21segmented_reduce_implIS3_PKS6_PS6_PKlS6_N6hipcub16HIPCUB_304000_NS6detail27convert_result_type_wrapperISA_SB_N2at6native12_GLOBAL__N_110CustomProdEEEEE10hipError_tPvRmT0_T1_jT2_SS_T4_T3_P12ihipStream_tbEUlT_E_NS1_11comp_targetILNS1_3genE2ELNS1_11target_archE906ELNS1_3gpuE6ELNS1_3repE0EEENS1_30default_config_static_selectorELNS0_4arch9wavefront6targetE0EEEvSR_
; %bb.0:
	.section	.rodata,"a",@progbits
	.p2align	6, 0x0
	.amdhsa_kernel _ZN7rocprim17ROCPRIM_400000_NS6detail17trampoline_kernelINS0_14default_configENS1_32segmented_reduce_config_selectorIN3c104HalfEEEZNS1_21segmented_reduce_implIS3_PKS6_PS6_PKlS6_N6hipcub16HIPCUB_304000_NS6detail27convert_result_type_wrapperISA_SB_N2at6native12_GLOBAL__N_110CustomProdEEEEE10hipError_tPvRmT0_T1_jT2_SS_T4_T3_P12ihipStream_tbEUlT_E_NS1_11comp_targetILNS1_3genE2ELNS1_11target_archE906ELNS1_3gpuE6ELNS1_3repE0EEENS1_30default_config_static_selectorELNS0_4arch9wavefront6targetE0EEEvSR_
		.amdhsa_group_segment_fixed_size 0
		.amdhsa_private_segment_fixed_size 0
		.amdhsa_kernarg_size 48
		.amdhsa_user_sgpr_count 15
		.amdhsa_user_sgpr_dispatch_ptr 0
		.amdhsa_user_sgpr_queue_ptr 0
		.amdhsa_user_sgpr_kernarg_segment_ptr 1
		.amdhsa_user_sgpr_dispatch_id 0
		.amdhsa_user_sgpr_private_segment_size 0
		.amdhsa_wavefront_size32 1
		.amdhsa_uses_dynamic_stack 0
		.amdhsa_enable_private_segment 0
		.amdhsa_system_sgpr_workgroup_id_x 1
		.amdhsa_system_sgpr_workgroup_id_y 0
		.amdhsa_system_sgpr_workgroup_id_z 0
		.amdhsa_system_sgpr_workgroup_info 0
		.amdhsa_system_vgpr_workitem_id 0
		.amdhsa_next_free_vgpr 1
		.amdhsa_next_free_sgpr 1
		.amdhsa_reserve_vcc 0
		.amdhsa_float_round_mode_32 0
		.amdhsa_float_round_mode_16_64 0
		.amdhsa_float_denorm_mode_32 3
		.amdhsa_float_denorm_mode_16_64 3
		.amdhsa_dx10_clamp 1
		.amdhsa_ieee_mode 1
		.amdhsa_fp16_overflow 0
		.amdhsa_workgroup_processor_mode 1
		.amdhsa_memory_ordered 1
		.amdhsa_forward_progress 0
		.amdhsa_shared_vgpr_count 0
		.amdhsa_exception_fp_ieee_invalid_op 0
		.amdhsa_exception_fp_denorm_src 0
		.amdhsa_exception_fp_ieee_div_zero 0
		.amdhsa_exception_fp_ieee_overflow 0
		.amdhsa_exception_fp_ieee_underflow 0
		.amdhsa_exception_fp_ieee_inexact 0
		.amdhsa_exception_int_div_zero 0
	.end_amdhsa_kernel
	.section	.text._ZN7rocprim17ROCPRIM_400000_NS6detail17trampoline_kernelINS0_14default_configENS1_32segmented_reduce_config_selectorIN3c104HalfEEEZNS1_21segmented_reduce_implIS3_PKS6_PS6_PKlS6_N6hipcub16HIPCUB_304000_NS6detail27convert_result_type_wrapperISA_SB_N2at6native12_GLOBAL__N_110CustomProdEEEEE10hipError_tPvRmT0_T1_jT2_SS_T4_T3_P12ihipStream_tbEUlT_E_NS1_11comp_targetILNS1_3genE2ELNS1_11target_archE906ELNS1_3gpuE6ELNS1_3repE0EEENS1_30default_config_static_selectorELNS0_4arch9wavefront6targetE0EEEvSR_,"axG",@progbits,_ZN7rocprim17ROCPRIM_400000_NS6detail17trampoline_kernelINS0_14default_configENS1_32segmented_reduce_config_selectorIN3c104HalfEEEZNS1_21segmented_reduce_implIS3_PKS6_PS6_PKlS6_N6hipcub16HIPCUB_304000_NS6detail27convert_result_type_wrapperISA_SB_N2at6native12_GLOBAL__N_110CustomProdEEEEE10hipError_tPvRmT0_T1_jT2_SS_T4_T3_P12ihipStream_tbEUlT_E_NS1_11comp_targetILNS1_3genE2ELNS1_11target_archE906ELNS1_3gpuE6ELNS1_3repE0EEENS1_30default_config_static_selectorELNS0_4arch9wavefront6targetE0EEEvSR_,comdat
.Lfunc_end243:
	.size	_ZN7rocprim17ROCPRIM_400000_NS6detail17trampoline_kernelINS0_14default_configENS1_32segmented_reduce_config_selectorIN3c104HalfEEEZNS1_21segmented_reduce_implIS3_PKS6_PS6_PKlS6_N6hipcub16HIPCUB_304000_NS6detail27convert_result_type_wrapperISA_SB_N2at6native12_GLOBAL__N_110CustomProdEEEEE10hipError_tPvRmT0_T1_jT2_SS_T4_T3_P12ihipStream_tbEUlT_E_NS1_11comp_targetILNS1_3genE2ELNS1_11target_archE906ELNS1_3gpuE6ELNS1_3repE0EEENS1_30default_config_static_selectorELNS0_4arch9wavefront6targetE0EEEvSR_, .Lfunc_end243-_ZN7rocprim17ROCPRIM_400000_NS6detail17trampoline_kernelINS0_14default_configENS1_32segmented_reduce_config_selectorIN3c104HalfEEEZNS1_21segmented_reduce_implIS3_PKS6_PS6_PKlS6_N6hipcub16HIPCUB_304000_NS6detail27convert_result_type_wrapperISA_SB_N2at6native12_GLOBAL__N_110CustomProdEEEEE10hipError_tPvRmT0_T1_jT2_SS_T4_T3_P12ihipStream_tbEUlT_E_NS1_11comp_targetILNS1_3genE2ELNS1_11target_archE906ELNS1_3gpuE6ELNS1_3repE0EEENS1_30default_config_static_selectorELNS0_4arch9wavefront6targetE0EEEvSR_
                                        ; -- End function
	.section	.AMDGPU.csdata,"",@progbits
; Kernel info:
; codeLenInByte = 0
; NumSgprs: 0
; NumVgprs: 0
; ScratchSize: 0
; MemoryBound: 0
; FloatMode: 240
; IeeeMode: 1
; LDSByteSize: 0 bytes/workgroup (compile time only)
; SGPRBlocks: 0
; VGPRBlocks: 0
; NumSGPRsForWavesPerEU: 1
; NumVGPRsForWavesPerEU: 1
; Occupancy: 16
; WaveLimiterHint : 0
; COMPUTE_PGM_RSRC2:SCRATCH_EN: 0
; COMPUTE_PGM_RSRC2:USER_SGPR: 15
; COMPUTE_PGM_RSRC2:TRAP_HANDLER: 0
; COMPUTE_PGM_RSRC2:TGID_X_EN: 1
; COMPUTE_PGM_RSRC2:TGID_Y_EN: 0
; COMPUTE_PGM_RSRC2:TGID_Z_EN: 0
; COMPUTE_PGM_RSRC2:TIDIG_COMP_CNT: 0
	.section	.text._ZN7rocprim17ROCPRIM_400000_NS6detail17trampoline_kernelINS0_14default_configENS1_32segmented_reduce_config_selectorIN3c104HalfEEEZNS1_21segmented_reduce_implIS3_PKS6_PS6_PKlS6_N6hipcub16HIPCUB_304000_NS6detail27convert_result_type_wrapperISA_SB_N2at6native12_GLOBAL__N_110CustomProdEEEEE10hipError_tPvRmT0_T1_jT2_SS_T4_T3_P12ihipStream_tbEUlT_E_NS1_11comp_targetILNS1_3genE9ELNS1_11target_archE1100ELNS1_3gpuE3ELNS1_3repE0EEENS1_30default_config_static_selectorELNS0_4arch9wavefront6targetE0EEEvSR_,"axG",@progbits,_ZN7rocprim17ROCPRIM_400000_NS6detail17trampoline_kernelINS0_14default_configENS1_32segmented_reduce_config_selectorIN3c104HalfEEEZNS1_21segmented_reduce_implIS3_PKS6_PS6_PKlS6_N6hipcub16HIPCUB_304000_NS6detail27convert_result_type_wrapperISA_SB_N2at6native12_GLOBAL__N_110CustomProdEEEEE10hipError_tPvRmT0_T1_jT2_SS_T4_T3_P12ihipStream_tbEUlT_E_NS1_11comp_targetILNS1_3genE9ELNS1_11target_archE1100ELNS1_3gpuE3ELNS1_3repE0EEENS1_30default_config_static_selectorELNS0_4arch9wavefront6targetE0EEEvSR_,comdat
	.globl	_ZN7rocprim17ROCPRIM_400000_NS6detail17trampoline_kernelINS0_14default_configENS1_32segmented_reduce_config_selectorIN3c104HalfEEEZNS1_21segmented_reduce_implIS3_PKS6_PS6_PKlS6_N6hipcub16HIPCUB_304000_NS6detail27convert_result_type_wrapperISA_SB_N2at6native12_GLOBAL__N_110CustomProdEEEEE10hipError_tPvRmT0_T1_jT2_SS_T4_T3_P12ihipStream_tbEUlT_E_NS1_11comp_targetILNS1_3genE9ELNS1_11target_archE1100ELNS1_3gpuE3ELNS1_3repE0EEENS1_30default_config_static_selectorELNS0_4arch9wavefront6targetE0EEEvSR_ ; -- Begin function _ZN7rocprim17ROCPRIM_400000_NS6detail17trampoline_kernelINS0_14default_configENS1_32segmented_reduce_config_selectorIN3c104HalfEEEZNS1_21segmented_reduce_implIS3_PKS6_PS6_PKlS6_N6hipcub16HIPCUB_304000_NS6detail27convert_result_type_wrapperISA_SB_N2at6native12_GLOBAL__N_110CustomProdEEEEE10hipError_tPvRmT0_T1_jT2_SS_T4_T3_P12ihipStream_tbEUlT_E_NS1_11comp_targetILNS1_3genE9ELNS1_11target_archE1100ELNS1_3gpuE3ELNS1_3repE0EEENS1_30default_config_static_selectorELNS0_4arch9wavefront6targetE0EEEvSR_
	.p2align	8
	.type	_ZN7rocprim17ROCPRIM_400000_NS6detail17trampoline_kernelINS0_14default_configENS1_32segmented_reduce_config_selectorIN3c104HalfEEEZNS1_21segmented_reduce_implIS3_PKS6_PS6_PKlS6_N6hipcub16HIPCUB_304000_NS6detail27convert_result_type_wrapperISA_SB_N2at6native12_GLOBAL__N_110CustomProdEEEEE10hipError_tPvRmT0_T1_jT2_SS_T4_T3_P12ihipStream_tbEUlT_E_NS1_11comp_targetILNS1_3genE9ELNS1_11target_archE1100ELNS1_3gpuE3ELNS1_3repE0EEENS1_30default_config_static_selectorELNS0_4arch9wavefront6targetE0EEEvSR_,@function
_ZN7rocprim17ROCPRIM_400000_NS6detail17trampoline_kernelINS0_14default_configENS1_32segmented_reduce_config_selectorIN3c104HalfEEEZNS1_21segmented_reduce_implIS3_PKS6_PS6_PKlS6_N6hipcub16HIPCUB_304000_NS6detail27convert_result_type_wrapperISA_SB_N2at6native12_GLOBAL__N_110CustomProdEEEEE10hipError_tPvRmT0_T1_jT2_SS_T4_T3_P12ihipStream_tbEUlT_E_NS1_11comp_targetILNS1_3genE9ELNS1_11target_archE1100ELNS1_3gpuE3ELNS1_3repE0EEENS1_30default_config_static_selectorELNS0_4arch9wavefront6targetE0EEEvSR_: ; @_ZN7rocprim17ROCPRIM_400000_NS6detail17trampoline_kernelINS0_14default_configENS1_32segmented_reduce_config_selectorIN3c104HalfEEEZNS1_21segmented_reduce_implIS3_PKS6_PS6_PKlS6_N6hipcub16HIPCUB_304000_NS6detail27convert_result_type_wrapperISA_SB_N2at6native12_GLOBAL__N_110CustomProdEEEEE10hipError_tPvRmT0_T1_jT2_SS_T4_T3_P12ihipStream_tbEUlT_E_NS1_11comp_targetILNS1_3genE9ELNS1_11target_archE1100ELNS1_3gpuE3ELNS1_3repE0EEENS1_30default_config_static_selectorELNS0_4arch9wavefront6targetE0EEEvSR_
; %bb.0:
	s_clause 0x2
	s_load_b256 s[16:23], s[0:1], 0x0
	s_load_b32 s4, s[0:1], 0x28
	s_load_b64 s[0:1], s[0:1], 0x20
	s_mov_b32 s24, s15
	s_mov_b32 s25, 0
	s_waitcnt lgkmcnt(0)
	s_lshl_b64 s[2:3], s[20:21], 1
	s_lshr_b32 s15, s4, 16
	s_add_u32 s26, s18, s2
	s_addc_u32 s27, s19, s3
	s_lshl_b64 s[2:3], s[20:21], 3
	s_delay_alu instid0(SALU_CYCLE_1) | instskip(SKIP_4) | instid1(SALU_CYCLE_1)
	s_add_u32 s4, s22, s2
	s_addc_u32 s5, s23, s3
	s_add_u32 s6, s0, s2
	s_addc_u32 s7, s1, s3
	s_lshl_b64 s[0:1], s[24:25], 3
	s_add_u32 s2, s4, s0
	s_addc_u32 s3, s5, s1
	s_add_u32 s0, s6, s0
	s_addc_u32 s1, s7, s1
	s_load_b64 s[20:21], s[2:3], 0x0
	s_load_b64 s[18:19], s[0:1], 0x0
	s_mov_b32 s1, -1
	s_waitcnt lgkmcnt(0)
	v_cmp_gt_i64_e64 s0, s[18:19], s[20:21]
	s_delay_alu instid0(VALU_DEP_1)
	s_and_b32 vcc_lo, exec_lo, s0
	v_cmp_eq_u32_e64 s0, 0, v0
	s_cbranch_vccnz .LBB244_4
; %bb.1:
	s_delay_alu instid0(VALU_DEP_1)
	s_and_saveexec_b32 s1, s0
	s_cbranch_execz .LBB244_3
; %bb.2:
	s_lshl_b64 s[2:3], s[24:25], 1
	v_dual_mov_b32 v1, 0 :: v_dual_mov_b32 v2, s15
	s_add_u32 s2, s26, s2
	s_addc_u32 s3, s27, s3
	global_store_b16 v1, v2, s[2:3]
.LBB244_3:
	s_or_b32 exec_lo, exec_lo, s1
	s_mov_b32 s1, 0
.LBB244_4:
	s_delay_alu instid0(SALU_CYCLE_1)
	s_and_not1_b32 vcc_lo, exec_lo, s1
	s_cbranch_vccnz .LBB244_71
; %bb.5:
	s_add_u32 s0, s20, 0x1000
	s_addc_u32 s1, s21, 0
	s_delay_alu instid0(SALU_CYCLE_1) | instskip(NEXT) | instid1(VALU_DEP_1)
	v_cmp_le_i64_e64 s2, s[0:1], s[18:19]
	s_and_b32 vcc_lo, exec_lo, s2
	s_cbranch_vccz .LBB244_46
; %bb.6:
	s_lshl_b64 s[2:3], s[20:21], 1
	v_lshlrev_b32_e32 v20, 1, v0
	s_add_u32 s4, s16, s2
	s_addc_u32 s5, s17, s3
	s_clause 0x7
	global_load_u16 v3, v20, s[4:5]
	global_load_u16 v4, v20, s[4:5] offset:512
	global_load_u16 v5, v20, s[4:5] offset:1024
	;; [unrolled: 1-line block ×7, first 2 shown]
	v_add_co_u32 v1, s6, s4, v20
	s_delay_alu instid0(VALU_DEP_1) | instskip(SKIP_1) | instid1(VALU_DEP_2)
	v_add_co_ci_u32_e64 v2, null, s5, 0, s6
	s_add_u32 s4, s20, 0x2000
	v_add_co_u32 v1, vcc_lo, 0x1000, v1
	s_delay_alu instid0(VALU_DEP_2)
	v_add_co_ci_u32_e32 v2, vcc_lo, 0, v2, vcc_lo
	s_clause 0x7
	global_load_u16 v11, v[1:2], off
	global_load_u16 v12, v[1:2], off offset:512
	global_load_u16 v13, v[1:2], off offset:1024
	;; [unrolled: 1-line block ×7, first 2 shown]
	s_addc_u32 s5, s21, 0
	s_delay_alu instid0(SALU_CYCLE_1) | instskip(NEXT) | instid1(VALU_DEP_1)
	v_cmp_ge_i64_e64 s4, s[4:5], s[18:19]
	s_and_b32 vcc_lo, exec_lo, s4
	s_waitcnt vmcnt(14)
	v_mul_f16_e32 v1, v3, v4
	s_waitcnt vmcnt(13)
	s_delay_alu instid0(VALU_DEP_1) | instskip(SKIP_1) | instid1(VALU_DEP_1)
	v_mul_f16_e32 v1, v1, v5
	s_waitcnt vmcnt(12)
	v_mul_f16_e32 v1, v1, v6
	s_waitcnt vmcnt(11)
	s_delay_alu instid0(VALU_DEP_1) | instskip(SKIP_1) | instid1(VALU_DEP_1)
	v_mul_f16_e32 v1, v1, v7
	;; [unrolled: 5-line block ×7, first 2 shown]
	s_waitcnt vmcnt(0)
	v_mul_f16_e32 v19, v1, v18
	s_cbranch_vccnz .LBB244_9
; %bb.7:
	s_add_u32 s2, s16, s2
	s_addc_u32 s3, s17, s3
	v_add_co_u32 v1, s2, s2, v20
	s_delay_alu instid0(VALU_DEP_1) | instskip(NEXT) | instid1(VALU_DEP_2)
	v_add_co_ci_u32_e64 v2, null, s3, 0, s2
	v_add_co_u32 v1, vcc_lo, 0x2000, v1
	s_delay_alu instid0(VALU_DEP_2)
	v_add_co_ci_u32_e32 v2, vcc_lo, 0, v2, vcc_lo
.LBB244_8:                              ; =>This Inner Loop Header: Depth=1
	s_clause 0x7
	global_load_u16 v3, v[1:2], off
	global_load_u16 v4, v[1:2], off offset:512
	global_load_u16 v5, v[1:2], off offset:1024
	;; [unrolled: 1-line block ×7, first 2 shown]
	v_add_co_u32 v21, vcc_lo, 0x1000, v1
	v_add_co_ci_u32_e32 v22, vcc_lo, 0, v2, vcc_lo
	s_mov_b64 s[2:3], s[0:1]
	v_add_co_u32 v1, vcc_lo, 0x2000, v1
	s_clause 0x7
	global_load_u16 v11, v[21:22], off
	global_load_u16 v12, v[21:22], off offset:512
	global_load_u16 v13, v[21:22], off offset:1024
	;; [unrolled: 1-line block ×7, first 2 shown]
	s_add_u32 s0, s2, 0x1000
	s_addc_u32 s1, s3, 0
	s_add_u32 s2, s2, 0x2000
	s_addc_u32 s3, s3, 0
	v_add_co_ci_u32_e32 v2, vcc_lo, 0, v2, vcc_lo
	v_cmp_lt_i64_e64 s2, s[2:3], s[18:19]
	s_delay_alu instid0(VALU_DEP_1) | instskip(SKIP_3) | instid1(VALU_DEP_1)
	s_and_b32 vcc_lo, exec_lo, s2
	s_waitcnt vmcnt(15)
	v_mul_f16_e32 v19, v19, v3
	s_waitcnt vmcnt(14)
	v_mul_f16_e32 v19, v19, v4
	s_waitcnt vmcnt(13)
	s_delay_alu instid0(VALU_DEP_1) | instskip(SKIP_1) | instid1(VALU_DEP_1)
	v_mul_f16_e32 v19, v19, v5
	s_waitcnt vmcnt(12)
	v_mul_f16_e32 v19, v19, v6
	s_waitcnt vmcnt(11)
	s_delay_alu instid0(VALU_DEP_1) | instskip(SKIP_1) | instid1(VALU_DEP_1)
	;; [unrolled: 5-line block ×7, first 2 shown]
	v_mul_f16_e32 v19, v19, v17
	s_waitcnt vmcnt(0)
	v_mul_f16_e32 v19, v19, v18
	s_cbranch_vccnz .LBB244_8
.LBB244_9:
	s_sub_i32 s14, s18, s0
	s_lshl_b64 s[0:1], s[0:1], 1
	v_cmp_gt_u32_e32 vcc_lo, s14, v0
	s_add_u32 s22, s16, s0
	s_addc_u32 s23, s17, s1
	s_and_saveexec_b32 s0, vcc_lo
	s_cbranch_execz .LBB244_11
; %bb.10:
	global_load_u16 v3, v20, s[22:23]
.LBB244_11:
	s_or_b32 exec_lo, exec_lo, s0
	v_or_b32_e32 v1, 0x100, v0
	s_delay_alu instid0(VALU_DEP_1) | instskip(NEXT) | instid1(VALU_DEP_1)
	v_cmp_gt_u32_e64 s0, s14, v1
	s_and_saveexec_b32 s1, s0
	s_cbranch_execz .LBB244_13
; %bb.12:
	global_load_u16 v4, v20, s[22:23] offset:512
.LBB244_13:
	s_or_b32 exec_lo, exec_lo, s1
	v_or_b32_e32 v1, 0x200, v0
	s_delay_alu instid0(VALU_DEP_1) | instskip(NEXT) | instid1(VALU_DEP_1)
	v_cmp_gt_u32_e64 s1, s14, v1
	s_and_saveexec_b32 s2, s1
	s_cbranch_execz .LBB244_15
; %bb.14:
	global_load_u16 v5, v20, s[22:23] offset:1024
.LBB244_15:
	;; [unrolled: 9-line block ×7, first 2 shown]
	s_or_b32 exec_lo, exec_lo, s7
	v_or_b32_e32 v1, 0x800, v0
	s_delay_alu instid0(VALU_DEP_1) | instskip(NEXT) | instid1(VALU_DEP_1)
	v_cmp_gt_u32_e64 s7, s14, v1
	s_and_saveexec_b32 s8, s7
	s_cbranch_execz .LBB244_27
; %bb.26:
	v_lshlrev_b32_e32 v1, 1, v1
	global_load_u16 v11, v1, s[22:23]
.LBB244_27:
	s_or_b32 exec_lo, exec_lo, s8
	v_or_b32_e32 v1, 0x900, v0
	s_delay_alu instid0(VALU_DEP_1) | instskip(NEXT) | instid1(VALU_DEP_1)
	v_cmp_gt_u32_e64 s8, s14, v1
	s_and_saveexec_b32 s9, s8
	s_cbranch_execz .LBB244_29
; %bb.28:
	v_lshlrev_b32_e32 v1, 1, v1
	global_load_u16 v12, v1, s[22:23]
.LBB244_29:
	;; [unrolled: 10-line block ×8, first 2 shown]
	s_or_b32 exec_lo, exec_lo, s28
	s_waitcnt vmcnt(0)
	v_mul_f16_e32 v1, v19, v3
	s_delay_alu instid0(VALU_DEP_1) | instskip(NEXT) | instid1(VALU_DEP_1)
	v_cndmask_b32_e32 v1, v19, v1, vcc_lo
	v_mul_f16_e32 v2, v1, v4
	s_delay_alu instid0(VALU_DEP_1) | instskip(SKIP_1) | instid1(VALU_DEP_1)
	v_cndmask_b32_e64 v1, v1, v2, s0
	s_mov_b32 s0, exec_lo
	v_mul_f16_e32 v2, v1, v5
	s_delay_alu instid0(VALU_DEP_1) | instskip(NEXT) | instid1(VALU_DEP_1)
	v_cndmask_b32_e64 v1, v1, v2, s1
	v_mul_f16_e32 v2, v1, v6
	s_delay_alu instid0(VALU_DEP_1) | instskip(NEXT) | instid1(VALU_DEP_1)
	v_cndmask_b32_e64 v1, v1, v2, s2
	;; [unrolled: 3-line block ×14, first 2 shown]
	v_and_b32_e32 v2, 0xffff, v1
	s_delay_alu instid0(VALU_DEP_1) | instskip(NEXT) | instid1(VALU_DEP_1)
	v_mov_b32_dpp v2, v2 quad_perm:[1,0,3,2] row_mask:0xf bank_mask:0xf
	v_mul_f16_e32 v1, v1, v2
	s_delay_alu instid0(VALU_DEP_1) | instskip(NEXT) | instid1(VALU_DEP_1)
	v_and_b32_e32 v2, 0xffff, v1
	v_mov_b32_dpp v2, v2 quad_perm:[2,3,0,1] row_mask:0xf bank_mask:0xf
	s_delay_alu instid0(VALU_DEP_1) | instskip(NEXT) | instid1(VALU_DEP_1)
	v_mul_f16_e32 v1, v1, v2
	v_and_b32_e32 v2, 0xffff, v1
	s_delay_alu instid0(VALU_DEP_1) | instskip(NEXT) | instid1(VALU_DEP_1)
	v_mov_b32_dpp v2, v2 row_ror:4 row_mask:0xf bank_mask:0xf
	v_mul_f16_e32 v1, v1, v2
	s_delay_alu instid0(VALU_DEP_1) | instskip(NEXT) | instid1(VALU_DEP_1)
	v_and_b32_e32 v2, 0xffff, v1
	v_mov_b32_dpp v2, v2 row_ror:8 row_mask:0xf bank_mask:0xf
	s_delay_alu instid0(VALU_DEP_1) | instskip(NEXT) | instid1(VALU_DEP_1)
	v_mul_f16_e32 v1, v1, v2
	v_and_b32_e32 v2, 0xffff, v1
	ds_swizzle_b32 v2, v2 offset:swizzle(BROADCAST,32,15)
	s_waitcnt lgkmcnt(0)
	v_mul_f16_e32 v1, v1, v2
	s_delay_alu instid0(VALU_DEP_1) | instskip(SKIP_2) | instid1(VALU_DEP_1)
	v_dual_mov_b32 v2, 0 :: v_dual_and_b32 v1, 0xffff, v1
	ds_bpermute_b32 v3, v2, v1 offset:124
	v_mbcnt_lo_u32_b32 v1, -1, 0
	v_cmpx_eq_u32_e32 0, v1
	s_cbranch_execz .LBB244_43
; %bb.42:
	v_lshrrev_b32_e32 v2, 4, v0
	s_delay_alu instid0(VALU_DEP_1)
	v_and_b32_e32 v2, 14, v2
	s_waitcnt lgkmcnt(0)
	ds_store_b16 v2, v3
.LBB244_43:
	s_or_b32 exec_lo, exec_lo, s0
	s_delay_alu instid0(SALU_CYCLE_1)
	s_mov_b32 s0, exec_lo
	s_waitcnt lgkmcnt(0)
	s_waitcnt_vscnt null, 0x0
	s_barrier
	buffer_gl0_inv
	v_cmpx_gt_u32_e32 32, v0
	s_cbranch_execz .LBB244_45
; %bb.44:
	v_and_b32_e32 v2, 7, v1
	s_delay_alu instid0(VALU_DEP_1) | instskip(SKIP_4) | instid1(VALU_DEP_2)
	v_lshlrev_b32_e32 v3, 1, v2
	v_cmp_ne_u32_e32 vcc_lo, 7, v2
	ds_load_u16 v3, v3
	v_add_co_ci_u32_e32 v4, vcc_lo, 0, v1, vcc_lo
	v_cmp_gt_u32_e32 vcc_lo, 6, v2
	v_lshlrev_b32_e32 v4, 2, v4
	s_waitcnt lgkmcnt(0)
	v_and_b32_e32 v5, 0xffff, v3
	ds_bpermute_b32 v4, v4, v5
	v_cndmask_b32_e64 v5, 0, 1, vcc_lo
	v_cmp_gt_u32_e32 vcc_lo, 4, v2
	s_delay_alu instid0(VALU_DEP_2) | instskip(SKIP_1) | instid1(VALU_DEP_1)
	v_lshlrev_b32_e32 v5, 1, v5
	v_cndmask_b32_e64 v2, 0, 1, vcc_lo
	v_lshlrev_b32_e32 v2, 2, v2
	s_waitcnt lgkmcnt(0)
	v_mul_f16_e32 v3, v3, v4
	v_add_lshl_u32 v4, v5, v1, 2
	s_delay_alu instid0(VALU_DEP_3) | instskip(NEXT) | instid1(VALU_DEP_3)
	v_add_lshl_u32 v1, v2, v1, 2
	v_and_b32_e32 v5, 0xffff, v3
	ds_bpermute_b32 v4, v4, v5
	s_waitcnt lgkmcnt(0)
	v_mul_f16_e32 v3, v3, v4
	s_delay_alu instid0(VALU_DEP_1)
	v_and_b32_e32 v4, 0xffff, v3
	ds_bpermute_b32 v1, v1, v4
	s_waitcnt lgkmcnt(0)
	v_mul_f16_e32 v3, v3, v1
.LBB244_45:
	s_or_b32 exec_lo, exec_lo, s0
	s_branch .LBB244_69
.LBB244_46:
                                        ; implicit-def: $vgpr3
	s_cbranch_execz .LBB244_69
; %bb.47:
	s_sub_i32 s3, s18, s20
	s_mov_b32 s1, exec_lo
                                        ; implicit-def: $vgpr5
	v_cmpx_gt_u32_e64 s3, v0
	s_cbranch_execz .LBB244_53
; %bb.48:
	v_add_co_u32 v1, s0, s20, v0
	s_delay_alu instid0(VALU_DEP_1) | instskip(SKIP_1) | instid1(VALU_DEP_1)
	v_add_co_ci_u32_e64 v2, null, s21, 0, s0
	s_mov_b32 s2, exec_lo
	v_lshlrev_b64 v[3:4], 1, v[1:2]
	s_delay_alu instid0(VALU_DEP_1) | instskip(NEXT) | instid1(VALU_DEP_2)
	v_add_co_u32 v3, vcc_lo, s16, v3
	v_add_co_ci_u32_e32 v4, vcc_lo, s17, v4, vcc_lo
	v_add_co_u32 v1, vcc_lo, 0x100, v1
	v_add_co_ci_u32_e32 v2, vcc_lo, 0, v2, vcc_lo
	global_load_u16 v5, v[3:4], off
	v_cmpx_gt_i64_e64 s[18:19], v[1:2]
	s_cbranch_execz .LBB244_52
; %bb.49:
	v_add_co_u32 v3, vcc_lo, 0x200, v3
	v_add_co_ci_u32_e32 v4, vcc_lo, 0, v4, vcc_lo
	s_mov_b32 s4, 0
.LBB244_50:                             ; =>This Inner Loop Header: Depth=1
	global_load_u16 v6, v[3:4], off
	v_add_co_u32 v1, vcc_lo, 0x100, v1
	v_add_co_ci_u32_e32 v2, vcc_lo, 0, v2, vcc_lo
	v_add_co_u32 v3, s0, 0x200, v3
	s_delay_alu instid0(VALU_DEP_1) | instskip(NEXT) | instid1(VALU_DEP_3)
	v_add_co_ci_u32_e64 v4, s0, 0, v4, s0
	v_cmp_le_i64_e32 vcc_lo, s[18:19], v[1:2]
	s_or_b32 s4, vcc_lo, s4
	s_waitcnt vmcnt(0)
	v_mul_f16_e32 v5, v5, v6
	s_and_not1_b32 exec_lo, exec_lo, s4
	s_cbranch_execnz .LBB244_50
; %bb.51:
	s_or_b32 exec_lo, exec_lo, s4
.LBB244_52:
	s_delay_alu instid0(SALU_CYCLE_1)
	s_or_b32 exec_lo, exec_lo, s2
.LBB244_53:
	s_delay_alu instid0(SALU_CYCLE_1)
	s_or_b32 exec_lo, exec_lo, s1
	v_mbcnt_lo_u32_b32 v1, -1, 0
	s_waitcnt vmcnt(0)
	v_and_b32_e32 v2, 0xffff, v5
	s_cmpk_lt_u32 s3, 0x100
	s_cbranch_scc0 .LBB244_63
; %bb.54:
	v_cmp_ne_u32_e32 vcc_lo, 31, v1
	v_and_b32_e32 v7, 0xe0, v0
	v_add_nc_u32_e32 v10, 2, v1
	v_cmp_gt_u32_e64 s0, 24, v1
	v_cmp_gt_u32_e64 s1, 16, v1
	v_add_co_ci_u32_e32 v3, vcc_lo, 0, v1, vcc_lo
	v_cmp_gt_u32_e32 vcc_lo, 30, v1
	s_delay_alu instid0(VALU_DEP_2)
	v_lshlrev_b32_e32 v3, 2, v3
	v_cndmask_b32_e64 v4, 0, 1, vcc_lo
	v_cmp_gt_u32_e32 vcc_lo, 28, v1
	ds_bpermute_b32 v3, v3, v2
	v_lshlrev_b32_e32 v8, 1, v4
	v_sub_nc_u32_e64 v4, s3, v7 clamp
	v_cndmask_b32_e64 v9, 0, 1, vcc_lo
	s_delay_alu instid0(VALU_DEP_3) | instskip(NEXT) | instid1(VALU_DEP_3)
	v_add_lshl_u32 v8, v8, v1, 2
	v_cmp_lt_u32_e32 vcc_lo, v10, v4
	s_delay_alu instid0(VALU_DEP_3) | instskip(NEXT) | instid1(VALU_DEP_1)
	v_lshlrev_b32_e32 v9, 2, v9
	v_add_lshl_u32 v9, v9, v1, 2
	s_waitcnt lgkmcnt(0)
	v_mul_f16_e32 v6, v5, v3
	v_add_nc_u32_e32 v3, 1, v1
	s_delay_alu instid0(VALU_DEP_2) | instskip(NEXT) | instid1(VALU_DEP_2)
	v_and_b32_e32 v7, 0xffff, v6
	v_cmp_lt_u32_e64 s2, v3, v4
	s_delay_alu instid0(VALU_DEP_1) | instskip(SKIP_3) | instid1(VALU_DEP_1)
	v_cndmask_b32_e64 v3, v2, v7, s2
	ds_bpermute_b32 v7, v8, v3
	v_cndmask_b32_e64 v8, v5, v6, s2
	s_waitcnt lgkmcnt(0)
	v_mul_f16_e32 v7, v7, v8
	s_delay_alu instid0(VALU_DEP_1) | instskip(SKIP_1) | instid1(VALU_DEP_1)
	v_cndmask_b32_e32 v10, v8, v7, vcc_lo
	v_and_b32_e32 v11, 0xffff, v7
	v_cndmask_b32_e32 v3, v3, v11, vcc_lo
	v_cndmask_b32_e64 v11, 0, 1, s0
	ds_bpermute_b32 v9, v9, v3
	s_waitcnt lgkmcnt(0)
	v_mul_f16_e32 v8, v9, v10
	v_lshlrev_b32_e32 v9, 3, v11
	v_add_nc_u32_e32 v11, 4, v1
	s_delay_alu instid0(VALU_DEP_3) | instskip(NEXT) | instid1(VALU_DEP_3)
	v_and_b32_e32 v12, 0xffff, v8
	v_add_lshl_u32 v9, v9, v1, 2
	s_delay_alu instid0(VALU_DEP_3) | instskip(SKIP_1) | instid1(VALU_DEP_2)
	v_cmp_lt_u32_e64 s0, v11, v4
	v_cndmask_b32_e64 v11, 0, 1, s1
	v_cndmask_b32_e64 v3, v3, v12, s0
	;; [unrolled: 1-line block ×3, first 2 shown]
	v_add_nc_u32_e32 v12, 8, v1
	s_delay_alu instid0(VALU_DEP_4)
	v_lshlrev_b32_e32 v11, 4, v11
	ds_bpermute_b32 v9, v9, v3
	v_cmp_lt_u32_e64 s1, v12, v4
	v_add_lshl_u32 v11, v11, v1, 2
	s_waitcnt lgkmcnt(0)
	v_mul_f16_e32 v9, v9, v10
	s_delay_alu instid0(VALU_DEP_1) | instskip(NEXT) | instid1(VALU_DEP_1)
	v_and_b32_e32 v13, 0xffff, v9
	v_cndmask_b32_e64 v3, v3, v13, s1
	ds_bpermute_b32 v11, v11, v3
	v_mov_b32_e32 v3, v5
	s_and_saveexec_b32 s4, s2
	s_cbranch_execz .LBB244_56
; %bb.55:
	v_cndmask_b32_e32 v3, v6, v7, vcc_lo
	v_cndmask_b32_e64 v6, v10, v9, s1
	v_add_nc_u32_e32 v7, 16, v1
	s_delay_alu instid0(VALU_DEP_3) | instskip(SKIP_1) | instid1(VALU_DEP_3)
	v_cndmask_b32_e64 v3, v3, v8, s0
	s_waitcnt lgkmcnt(0)
	v_mul_f16_e32 v6, v11, v6
	s_delay_alu instid0(VALU_DEP_3) | instskip(NEXT) | instid1(VALU_DEP_3)
	v_cmp_lt_u32_e32 vcc_lo, v7, v4
	v_cndmask_b32_e64 v3, v3, v9, s1
	s_delay_alu instid0(VALU_DEP_1)
	v_cndmask_b32_e32 v3, v3, v6, vcc_lo
.LBB244_56:
	s_or_b32 exec_lo, exec_lo, s4
	s_delay_alu instid0(SALU_CYCLE_1)
	s_mov_b32 s0, exec_lo
	v_cmpx_eq_u32_e32 0, v1
	s_cbranch_execz .LBB244_58
; %bb.57:
	v_lshrrev_b32_e32 v4, 4, v0
	s_delay_alu instid0(VALU_DEP_1)
	v_and_b32_e32 v4, 14, v4
	ds_store_b16 v4, v3
.LBB244_58:
	s_or_b32 exec_lo, exec_lo, s0
	s_delay_alu instid0(SALU_CYCLE_1)
	s_mov_b32 s1, exec_lo
	s_waitcnt lgkmcnt(0)
	s_waitcnt_vscnt null, 0x0
	s_barrier
	buffer_gl0_inv
	v_cmpx_gt_u32_e32 8, v0
	s_cbranch_execz .LBB244_62
; %bb.59:
	v_lshlrev_b32_e32 v3, 1, v1
	v_and_b32_e32 v4, 7, v1
	s_add_i32 s3, s3, 31
	s_delay_alu instid0(SALU_CYCLE_1)
	s_lshr_b32 s2, s3, 5
	ds_load_u16 v3, v3
	v_cmp_ne_u32_e32 vcc_lo, 7, v4
	v_add_nc_u32_e32 v9, 1, v4
	v_add_co_ci_u32_e32 v6, vcc_lo, 0, v1, vcc_lo
	v_cmp_gt_u32_e32 vcc_lo, 6, v4
	s_delay_alu instid0(VALU_DEP_3) | instskip(NEXT) | instid1(VALU_DEP_3)
	v_cmp_gt_u32_e64 s0, s2, v9
	v_lshlrev_b32_e32 v6, 2, v6
	v_cndmask_b32_e64 v8, 0, 1, vcc_lo
	v_cmp_gt_u32_e32 vcc_lo, 4, v4
	s_delay_alu instid0(VALU_DEP_2) | instskip(SKIP_2) | instid1(VALU_DEP_2)
	v_lshlrev_b32_e32 v8, 1, v8
	s_waitcnt lgkmcnt(0)
	v_and_b32_e32 v7, 0xffff, v3
	v_add_lshl_u32 v8, v8, v1, 2
	ds_bpermute_b32 v6, v6, v7
	s_waitcnt lgkmcnt(0)
	v_mul_f16_e32 v6, v3, v6
	s_delay_alu instid0(VALU_DEP_1) | instskip(NEXT) | instid1(VALU_DEP_1)
	v_and_b32_e32 v10, 0xffff, v6
	v_cndmask_b32_e64 v9, v7, v10, s0
	v_add_nc_u32_e32 v10, 2, v4
	ds_bpermute_b32 v7, v8, v9
	v_cndmask_b32_e64 v8, v3, v6, s0
	s_waitcnt lgkmcnt(0)
	s_delay_alu instid0(VALU_DEP_1) | instskip(SKIP_2) | instid1(VALU_DEP_3)
	v_mul_f16_e32 v7, v7, v8
	v_cndmask_b32_e64 v8, 0, 1, vcc_lo
	v_cmp_gt_u32_e32 vcc_lo, s2, v10
	v_and_b32_e32 v11, 0xffff, v7
	s_delay_alu instid0(VALU_DEP_1) | instskip(NEXT) | instid1(VALU_DEP_1)
	v_dual_cndmask_b32 v9, v9, v11 :: v_dual_lshlrev_b32 v8, 2, v8
	v_add_lshl_u32 v8, v8, v1, 2
	ds_bpermute_b32 v8, v8, v9
	s_and_saveexec_b32 s3, s0
	s_cbranch_execz .LBB244_61
; %bb.60:
	v_dual_cndmask_b32 v3, v6, v7 :: v_dual_add_nc_u32 v4, 4, v4
	s_waitcnt lgkmcnt(0)
	s_delay_alu instid0(VALU_DEP_1) | instskip(NEXT) | instid1(VALU_DEP_2)
	v_mul_f16_e32 v6, v8, v3
	v_cmp_gt_u32_e32 vcc_lo, s2, v4
	s_delay_alu instid0(VALU_DEP_2)
	v_cndmask_b32_e32 v3, v3, v6, vcc_lo
.LBB244_61:
	s_or_b32 exec_lo, exec_lo, s3
.LBB244_62:
	s_delay_alu instid0(SALU_CYCLE_1)
	s_or_b32 exec_lo, exec_lo, s1
	s_branch .LBB244_69
.LBB244_63:
                                        ; implicit-def: $vgpr3
	s_cbranch_execz .LBB244_69
; %bb.64:
	s_delay_alu instid0(VALU_DEP_1) | instskip(SKIP_1) | instid1(VALU_DEP_1)
	v_mov_b32_dpp v2, v2 quad_perm:[1,0,3,2] row_mask:0xf bank_mask:0xf
	s_mov_b32 s0, exec_lo
	v_mul_f16_e32 v2, v5, v2
	s_delay_alu instid0(VALU_DEP_1) | instskip(NEXT) | instid1(VALU_DEP_1)
	v_and_b32_e32 v3, 0xffff, v2
	v_mov_b32_dpp v3, v3 quad_perm:[2,3,0,1] row_mask:0xf bank_mask:0xf
	s_delay_alu instid0(VALU_DEP_1) | instskip(NEXT) | instid1(VALU_DEP_1)
	v_mul_f16_e32 v2, v2, v3
	v_and_b32_e32 v3, 0xffff, v2
	s_delay_alu instid0(VALU_DEP_1) | instskip(NEXT) | instid1(VALU_DEP_1)
	v_mov_b32_dpp v3, v3 row_ror:4 row_mask:0xf bank_mask:0xf
	v_mul_f16_e32 v2, v2, v3
	s_delay_alu instid0(VALU_DEP_1) | instskip(NEXT) | instid1(VALU_DEP_1)
	v_and_b32_e32 v3, 0xffff, v2
	v_mov_b32_dpp v3, v3 row_ror:8 row_mask:0xf bank_mask:0xf
	s_delay_alu instid0(VALU_DEP_1) | instskip(NEXT) | instid1(VALU_DEP_1)
	v_mul_f16_e32 v2, v2, v3
	v_and_b32_e32 v3, 0xffff, v2
	ds_swizzle_b32 v3, v3 offset:swizzle(BROADCAST,32,15)
	s_waitcnt lgkmcnt(0)
	v_mul_f16_e32 v2, v2, v3
	s_delay_alu instid0(VALU_DEP_1)
	v_dual_mov_b32 v3, 0 :: v_dual_and_b32 v2, 0xffff, v2
	ds_bpermute_b32 v3, v3, v2 offset:124
	v_cmpx_eq_u32_e32 0, v1
	s_cbranch_execz .LBB244_66
; %bb.65:
	v_lshrrev_b32_e32 v2, 4, v0
	s_delay_alu instid0(VALU_DEP_1)
	v_and_b32_e32 v2, 14, v2
	s_waitcnt lgkmcnt(0)
	ds_store_b16 v2, v3
.LBB244_66:
	s_or_b32 exec_lo, exec_lo, s0
	s_delay_alu instid0(SALU_CYCLE_1)
	s_mov_b32 s0, exec_lo
	s_waitcnt lgkmcnt(0)
	s_waitcnt_vscnt null, 0x0
	s_barrier
	buffer_gl0_inv
	v_cmpx_gt_u32_e32 32, v0
	s_cbranch_execz .LBB244_68
; %bb.67:
	v_and_b32_e32 v2, 7, v1
	s_delay_alu instid0(VALU_DEP_1) | instskip(SKIP_4) | instid1(VALU_DEP_2)
	v_lshlrev_b32_e32 v3, 1, v2
	v_cmp_ne_u32_e32 vcc_lo, 7, v2
	ds_load_u16 v3, v3
	v_add_co_ci_u32_e32 v4, vcc_lo, 0, v1, vcc_lo
	v_cmp_gt_u32_e32 vcc_lo, 6, v2
	v_lshlrev_b32_e32 v4, 2, v4
	s_waitcnt lgkmcnt(0)
	v_and_b32_e32 v5, 0xffff, v3
	ds_bpermute_b32 v4, v4, v5
	v_cndmask_b32_e64 v5, 0, 1, vcc_lo
	v_cmp_gt_u32_e32 vcc_lo, 4, v2
	s_delay_alu instid0(VALU_DEP_2) | instskip(SKIP_1) | instid1(VALU_DEP_1)
	v_lshlrev_b32_e32 v5, 1, v5
	v_cndmask_b32_e64 v2, 0, 1, vcc_lo
	v_lshlrev_b32_e32 v2, 2, v2
	s_waitcnt lgkmcnt(0)
	v_mul_f16_e32 v3, v3, v4
	v_add_lshl_u32 v4, v5, v1, 2
	s_delay_alu instid0(VALU_DEP_3) | instskip(NEXT) | instid1(VALU_DEP_3)
	v_add_lshl_u32 v1, v2, v1, 2
	v_and_b32_e32 v5, 0xffff, v3
	ds_bpermute_b32 v4, v4, v5
	s_waitcnt lgkmcnt(0)
	v_mul_f16_e32 v3, v3, v4
	s_delay_alu instid0(VALU_DEP_1)
	v_and_b32_e32 v4, 0xffff, v3
	ds_bpermute_b32 v1, v1, v4
	s_waitcnt lgkmcnt(0)
	v_mul_f16_e32 v3, v3, v1
.LBB244_68:
	s_or_b32 exec_lo, exec_lo, s0
.LBB244_69:
	s_delay_alu instid0(SALU_CYCLE_1)
	s_mov_b32 s0, exec_lo
	v_cmpx_eq_u32_e32 0, v0
	s_cbranch_execz .LBB244_71
; %bb.70:
	s_lshl_b64 s[0:1], s[24:25], 1
	v_mov_b32_e32 v0, 0
	v_mul_f16_e32 v1, s15, v3
	s_add_u32 s0, s26, s0
	s_addc_u32 s1, s27, s1
	global_store_b16 v0, v1, s[0:1]
.LBB244_71:
	s_nop 0
	s_sendmsg sendmsg(MSG_DEALLOC_VGPRS)
	s_endpgm
	.section	.rodata,"a",@progbits
	.p2align	6, 0x0
	.amdhsa_kernel _ZN7rocprim17ROCPRIM_400000_NS6detail17trampoline_kernelINS0_14default_configENS1_32segmented_reduce_config_selectorIN3c104HalfEEEZNS1_21segmented_reduce_implIS3_PKS6_PS6_PKlS6_N6hipcub16HIPCUB_304000_NS6detail27convert_result_type_wrapperISA_SB_N2at6native12_GLOBAL__N_110CustomProdEEEEE10hipError_tPvRmT0_T1_jT2_SS_T4_T3_P12ihipStream_tbEUlT_E_NS1_11comp_targetILNS1_3genE9ELNS1_11target_archE1100ELNS1_3gpuE3ELNS1_3repE0EEENS1_30default_config_static_selectorELNS0_4arch9wavefront6targetE0EEEvSR_
		.amdhsa_group_segment_fixed_size 16
		.amdhsa_private_segment_fixed_size 0
		.amdhsa_kernarg_size 48
		.amdhsa_user_sgpr_count 15
		.amdhsa_user_sgpr_dispatch_ptr 0
		.amdhsa_user_sgpr_queue_ptr 0
		.amdhsa_user_sgpr_kernarg_segment_ptr 1
		.amdhsa_user_sgpr_dispatch_id 0
		.amdhsa_user_sgpr_private_segment_size 0
		.amdhsa_wavefront_size32 1
		.amdhsa_uses_dynamic_stack 0
		.amdhsa_enable_private_segment 0
		.amdhsa_system_sgpr_workgroup_id_x 1
		.amdhsa_system_sgpr_workgroup_id_y 0
		.amdhsa_system_sgpr_workgroup_id_z 0
		.amdhsa_system_sgpr_workgroup_info 0
		.amdhsa_system_vgpr_workitem_id 0
		.amdhsa_next_free_vgpr 23
		.amdhsa_next_free_sgpr 29
		.amdhsa_reserve_vcc 1
		.amdhsa_float_round_mode_32 0
		.amdhsa_float_round_mode_16_64 0
		.amdhsa_float_denorm_mode_32 3
		.amdhsa_float_denorm_mode_16_64 3
		.amdhsa_dx10_clamp 1
		.amdhsa_ieee_mode 1
		.amdhsa_fp16_overflow 0
		.amdhsa_workgroup_processor_mode 1
		.amdhsa_memory_ordered 1
		.amdhsa_forward_progress 0
		.amdhsa_shared_vgpr_count 0
		.amdhsa_exception_fp_ieee_invalid_op 0
		.amdhsa_exception_fp_denorm_src 0
		.amdhsa_exception_fp_ieee_div_zero 0
		.amdhsa_exception_fp_ieee_overflow 0
		.amdhsa_exception_fp_ieee_underflow 0
		.amdhsa_exception_fp_ieee_inexact 0
		.amdhsa_exception_int_div_zero 0
	.end_amdhsa_kernel
	.section	.text._ZN7rocprim17ROCPRIM_400000_NS6detail17trampoline_kernelINS0_14default_configENS1_32segmented_reduce_config_selectorIN3c104HalfEEEZNS1_21segmented_reduce_implIS3_PKS6_PS6_PKlS6_N6hipcub16HIPCUB_304000_NS6detail27convert_result_type_wrapperISA_SB_N2at6native12_GLOBAL__N_110CustomProdEEEEE10hipError_tPvRmT0_T1_jT2_SS_T4_T3_P12ihipStream_tbEUlT_E_NS1_11comp_targetILNS1_3genE9ELNS1_11target_archE1100ELNS1_3gpuE3ELNS1_3repE0EEENS1_30default_config_static_selectorELNS0_4arch9wavefront6targetE0EEEvSR_,"axG",@progbits,_ZN7rocprim17ROCPRIM_400000_NS6detail17trampoline_kernelINS0_14default_configENS1_32segmented_reduce_config_selectorIN3c104HalfEEEZNS1_21segmented_reduce_implIS3_PKS6_PS6_PKlS6_N6hipcub16HIPCUB_304000_NS6detail27convert_result_type_wrapperISA_SB_N2at6native12_GLOBAL__N_110CustomProdEEEEE10hipError_tPvRmT0_T1_jT2_SS_T4_T3_P12ihipStream_tbEUlT_E_NS1_11comp_targetILNS1_3genE9ELNS1_11target_archE1100ELNS1_3gpuE3ELNS1_3repE0EEENS1_30default_config_static_selectorELNS0_4arch9wavefront6targetE0EEEvSR_,comdat
.Lfunc_end244:
	.size	_ZN7rocprim17ROCPRIM_400000_NS6detail17trampoline_kernelINS0_14default_configENS1_32segmented_reduce_config_selectorIN3c104HalfEEEZNS1_21segmented_reduce_implIS3_PKS6_PS6_PKlS6_N6hipcub16HIPCUB_304000_NS6detail27convert_result_type_wrapperISA_SB_N2at6native12_GLOBAL__N_110CustomProdEEEEE10hipError_tPvRmT0_T1_jT2_SS_T4_T3_P12ihipStream_tbEUlT_E_NS1_11comp_targetILNS1_3genE9ELNS1_11target_archE1100ELNS1_3gpuE3ELNS1_3repE0EEENS1_30default_config_static_selectorELNS0_4arch9wavefront6targetE0EEEvSR_, .Lfunc_end244-_ZN7rocprim17ROCPRIM_400000_NS6detail17trampoline_kernelINS0_14default_configENS1_32segmented_reduce_config_selectorIN3c104HalfEEEZNS1_21segmented_reduce_implIS3_PKS6_PS6_PKlS6_N6hipcub16HIPCUB_304000_NS6detail27convert_result_type_wrapperISA_SB_N2at6native12_GLOBAL__N_110CustomProdEEEEE10hipError_tPvRmT0_T1_jT2_SS_T4_T3_P12ihipStream_tbEUlT_E_NS1_11comp_targetILNS1_3genE9ELNS1_11target_archE1100ELNS1_3gpuE3ELNS1_3repE0EEENS1_30default_config_static_selectorELNS0_4arch9wavefront6targetE0EEEvSR_
                                        ; -- End function
	.section	.AMDGPU.csdata,"",@progbits
; Kernel info:
; codeLenInByte = 3868
; NumSgprs: 31
; NumVgprs: 23
; ScratchSize: 0
; MemoryBound: 0
; FloatMode: 240
; IeeeMode: 1
; LDSByteSize: 16 bytes/workgroup (compile time only)
; SGPRBlocks: 3
; VGPRBlocks: 2
; NumSGPRsForWavesPerEU: 31
; NumVGPRsForWavesPerEU: 23
; Occupancy: 16
; WaveLimiterHint : 1
; COMPUTE_PGM_RSRC2:SCRATCH_EN: 0
; COMPUTE_PGM_RSRC2:USER_SGPR: 15
; COMPUTE_PGM_RSRC2:TRAP_HANDLER: 0
; COMPUTE_PGM_RSRC2:TGID_X_EN: 1
; COMPUTE_PGM_RSRC2:TGID_Y_EN: 0
; COMPUTE_PGM_RSRC2:TGID_Z_EN: 0
; COMPUTE_PGM_RSRC2:TIDIG_COMP_CNT: 0
	.section	.text._ZN7rocprim17ROCPRIM_400000_NS6detail17trampoline_kernelINS0_14default_configENS1_32segmented_reduce_config_selectorIN3c104HalfEEEZNS1_21segmented_reduce_implIS3_PKS6_PS6_PKlS6_N6hipcub16HIPCUB_304000_NS6detail27convert_result_type_wrapperISA_SB_N2at6native12_GLOBAL__N_110CustomProdEEEEE10hipError_tPvRmT0_T1_jT2_SS_T4_T3_P12ihipStream_tbEUlT_E_NS1_11comp_targetILNS1_3genE8ELNS1_11target_archE1030ELNS1_3gpuE2ELNS1_3repE0EEENS1_30default_config_static_selectorELNS0_4arch9wavefront6targetE0EEEvSR_,"axG",@progbits,_ZN7rocprim17ROCPRIM_400000_NS6detail17trampoline_kernelINS0_14default_configENS1_32segmented_reduce_config_selectorIN3c104HalfEEEZNS1_21segmented_reduce_implIS3_PKS6_PS6_PKlS6_N6hipcub16HIPCUB_304000_NS6detail27convert_result_type_wrapperISA_SB_N2at6native12_GLOBAL__N_110CustomProdEEEEE10hipError_tPvRmT0_T1_jT2_SS_T4_T3_P12ihipStream_tbEUlT_E_NS1_11comp_targetILNS1_3genE8ELNS1_11target_archE1030ELNS1_3gpuE2ELNS1_3repE0EEENS1_30default_config_static_selectorELNS0_4arch9wavefront6targetE0EEEvSR_,comdat
	.globl	_ZN7rocprim17ROCPRIM_400000_NS6detail17trampoline_kernelINS0_14default_configENS1_32segmented_reduce_config_selectorIN3c104HalfEEEZNS1_21segmented_reduce_implIS3_PKS6_PS6_PKlS6_N6hipcub16HIPCUB_304000_NS6detail27convert_result_type_wrapperISA_SB_N2at6native12_GLOBAL__N_110CustomProdEEEEE10hipError_tPvRmT0_T1_jT2_SS_T4_T3_P12ihipStream_tbEUlT_E_NS1_11comp_targetILNS1_3genE8ELNS1_11target_archE1030ELNS1_3gpuE2ELNS1_3repE0EEENS1_30default_config_static_selectorELNS0_4arch9wavefront6targetE0EEEvSR_ ; -- Begin function _ZN7rocprim17ROCPRIM_400000_NS6detail17trampoline_kernelINS0_14default_configENS1_32segmented_reduce_config_selectorIN3c104HalfEEEZNS1_21segmented_reduce_implIS3_PKS6_PS6_PKlS6_N6hipcub16HIPCUB_304000_NS6detail27convert_result_type_wrapperISA_SB_N2at6native12_GLOBAL__N_110CustomProdEEEEE10hipError_tPvRmT0_T1_jT2_SS_T4_T3_P12ihipStream_tbEUlT_E_NS1_11comp_targetILNS1_3genE8ELNS1_11target_archE1030ELNS1_3gpuE2ELNS1_3repE0EEENS1_30default_config_static_selectorELNS0_4arch9wavefront6targetE0EEEvSR_
	.p2align	8
	.type	_ZN7rocprim17ROCPRIM_400000_NS6detail17trampoline_kernelINS0_14default_configENS1_32segmented_reduce_config_selectorIN3c104HalfEEEZNS1_21segmented_reduce_implIS3_PKS6_PS6_PKlS6_N6hipcub16HIPCUB_304000_NS6detail27convert_result_type_wrapperISA_SB_N2at6native12_GLOBAL__N_110CustomProdEEEEE10hipError_tPvRmT0_T1_jT2_SS_T4_T3_P12ihipStream_tbEUlT_E_NS1_11comp_targetILNS1_3genE8ELNS1_11target_archE1030ELNS1_3gpuE2ELNS1_3repE0EEENS1_30default_config_static_selectorELNS0_4arch9wavefront6targetE0EEEvSR_,@function
_ZN7rocprim17ROCPRIM_400000_NS6detail17trampoline_kernelINS0_14default_configENS1_32segmented_reduce_config_selectorIN3c104HalfEEEZNS1_21segmented_reduce_implIS3_PKS6_PS6_PKlS6_N6hipcub16HIPCUB_304000_NS6detail27convert_result_type_wrapperISA_SB_N2at6native12_GLOBAL__N_110CustomProdEEEEE10hipError_tPvRmT0_T1_jT2_SS_T4_T3_P12ihipStream_tbEUlT_E_NS1_11comp_targetILNS1_3genE8ELNS1_11target_archE1030ELNS1_3gpuE2ELNS1_3repE0EEENS1_30default_config_static_selectorELNS0_4arch9wavefront6targetE0EEEvSR_: ; @_ZN7rocprim17ROCPRIM_400000_NS6detail17trampoline_kernelINS0_14default_configENS1_32segmented_reduce_config_selectorIN3c104HalfEEEZNS1_21segmented_reduce_implIS3_PKS6_PS6_PKlS6_N6hipcub16HIPCUB_304000_NS6detail27convert_result_type_wrapperISA_SB_N2at6native12_GLOBAL__N_110CustomProdEEEEE10hipError_tPvRmT0_T1_jT2_SS_T4_T3_P12ihipStream_tbEUlT_E_NS1_11comp_targetILNS1_3genE8ELNS1_11target_archE1030ELNS1_3gpuE2ELNS1_3repE0EEENS1_30default_config_static_selectorELNS0_4arch9wavefront6targetE0EEEvSR_
; %bb.0:
	.section	.rodata,"a",@progbits
	.p2align	6, 0x0
	.amdhsa_kernel _ZN7rocprim17ROCPRIM_400000_NS6detail17trampoline_kernelINS0_14default_configENS1_32segmented_reduce_config_selectorIN3c104HalfEEEZNS1_21segmented_reduce_implIS3_PKS6_PS6_PKlS6_N6hipcub16HIPCUB_304000_NS6detail27convert_result_type_wrapperISA_SB_N2at6native12_GLOBAL__N_110CustomProdEEEEE10hipError_tPvRmT0_T1_jT2_SS_T4_T3_P12ihipStream_tbEUlT_E_NS1_11comp_targetILNS1_3genE8ELNS1_11target_archE1030ELNS1_3gpuE2ELNS1_3repE0EEENS1_30default_config_static_selectorELNS0_4arch9wavefront6targetE0EEEvSR_
		.amdhsa_group_segment_fixed_size 0
		.amdhsa_private_segment_fixed_size 0
		.amdhsa_kernarg_size 48
		.amdhsa_user_sgpr_count 15
		.amdhsa_user_sgpr_dispatch_ptr 0
		.amdhsa_user_sgpr_queue_ptr 0
		.amdhsa_user_sgpr_kernarg_segment_ptr 1
		.amdhsa_user_sgpr_dispatch_id 0
		.amdhsa_user_sgpr_private_segment_size 0
		.amdhsa_wavefront_size32 1
		.amdhsa_uses_dynamic_stack 0
		.amdhsa_enable_private_segment 0
		.amdhsa_system_sgpr_workgroup_id_x 1
		.amdhsa_system_sgpr_workgroup_id_y 0
		.amdhsa_system_sgpr_workgroup_id_z 0
		.amdhsa_system_sgpr_workgroup_info 0
		.amdhsa_system_vgpr_workitem_id 0
		.amdhsa_next_free_vgpr 1
		.amdhsa_next_free_sgpr 1
		.amdhsa_reserve_vcc 0
		.amdhsa_float_round_mode_32 0
		.amdhsa_float_round_mode_16_64 0
		.amdhsa_float_denorm_mode_32 3
		.amdhsa_float_denorm_mode_16_64 3
		.amdhsa_dx10_clamp 1
		.amdhsa_ieee_mode 1
		.amdhsa_fp16_overflow 0
		.amdhsa_workgroup_processor_mode 1
		.amdhsa_memory_ordered 1
		.amdhsa_forward_progress 0
		.amdhsa_shared_vgpr_count 0
		.amdhsa_exception_fp_ieee_invalid_op 0
		.amdhsa_exception_fp_denorm_src 0
		.amdhsa_exception_fp_ieee_div_zero 0
		.amdhsa_exception_fp_ieee_overflow 0
		.amdhsa_exception_fp_ieee_underflow 0
		.amdhsa_exception_fp_ieee_inexact 0
		.amdhsa_exception_int_div_zero 0
	.end_amdhsa_kernel
	.section	.text._ZN7rocprim17ROCPRIM_400000_NS6detail17trampoline_kernelINS0_14default_configENS1_32segmented_reduce_config_selectorIN3c104HalfEEEZNS1_21segmented_reduce_implIS3_PKS6_PS6_PKlS6_N6hipcub16HIPCUB_304000_NS6detail27convert_result_type_wrapperISA_SB_N2at6native12_GLOBAL__N_110CustomProdEEEEE10hipError_tPvRmT0_T1_jT2_SS_T4_T3_P12ihipStream_tbEUlT_E_NS1_11comp_targetILNS1_3genE8ELNS1_11target_archE1030ELNS1_3gpuE2ELNS1_3repE0EEENS1_30default_config_static_selectorELNS0_4arch9wavefront6targetE0EEEvSR_,"axG",@progbits,_ZN7rocprim17ROCPRIM_400000_NS6detail17trampoline_kernelINS0_14default_configENS1_32segmented_reduce_config_selectorIN3c104HalfEEEZNS1_21segmented_reduce_implIS3_PKS6_PS6_PKlS6_N6hipcub16HIPCUB_304000_NS6detail27convert_result_type_wrapperISA_SB_N2at6native12_GLOBAL__N_110CustomProdEEEEE10hipError_tPvRmT0_T1_jT2_SS_T4_T3_P12ihipStream_tbEUlT_E_NS1_11comp_targetILNS1_3genE8ELNS1_11target_archE1030ELNS1_3gpuE2ELNS1_3repE0EEENS1_30default_config_static_selectorELNS0_4arch9wavefront6targetE0EEEvSR_,comdat
.Lfunc_end245:
	.size	_ZN7rocprim17ROCPRIM_400000_NS6detail17trampoline_kernelINS0_14default_configENS1_32segmented_reduce_config_selectorIN3c104HalfEEEZNS1_21segmented_reduce_implIS3_PKS6_PS6_PKlS6_N6hipcub16HIPCUB_304000_NS6detail27convert_result_type_wrapperISA_SB_N2at6native12_GLOBAL__N_110CustomProdEEEEE10hipError_tPvRmT0_T1_jT2_SS_T4_T3_P12ihipStream_tbEUlT_E_NS1_11comp_targetILNS1_3genE8ELNS1_11target_archE1030ELNS1_3gpuE2ELNS1_3repE0EEENS1_30default_config_static_selectorELNS0_4arch9wavefront6targetE0EEEvSR_, .Lfunc_end245-_ZN7rocprim17ROCPRIM_400000_NS6detail17trampoline_kernelINS0_14default_configENS1_32segmented_reduce_config_selectorIN3c104HalfEEEZNS1_21segmented_reduce_implIS3_PKS6_PS6_PKlS6_N6hipcub16HIPCUB_304000_NS6detail27convert_result_type_wrapperISA_SB_N2at6native12_GLOBAL__N_110CustomProdEEEEE10hipError_tPvRmT0_T1_jT2_SS_T4_T3_P12ihipStream_tbEUlT_E_NS1_11comp_targetILNS1_3genE8ELNS1_11target_archE1030ELNS1_3gpuE2ELNS1_3repE0EEENS1_30default_config_static_selectorELNS0_4arch9wavefront6targetE0EEEvSR_
                                        ; -- End function
	.section	.AMDGPU.csdata,"",@progbits
; Kernel info:
; codeLenInByte = 0
; NumSgprs: 0
; NumVgprs: 0
; ScratchSize: 0
; MemoryBound: 0
; FloatMode: 240
; IeeeMode: 1
; LDSByteSize: 0 bytes/workgroup (compile time only)
; SGPRBlocks: 0
; VGPRBlocks: 0
; NumSGPRsForWavesPerEU: 1
; NumVGPRsForWavesPerEU: 1
; Occupancy: 16
; WaveLimiterHint : 0
; COMPUTE_PGM_RSRC2:SCRATCH_EN: 0
; COMPUTE_PGM_RSRC2:USER_SGPR: 15
; COMPUTE_PGM_RSRC2:TRAP_HANDLER: 0
; COMPUTE_PGM_RSRC2:TGID_X_EN: 1
; COMPUTE_PGM_RSRC2:TGID_Y_EN: 0
; COMPUTE_PGM_RSRC2:TGID_Z_EN: 0
; COMPUTE_PGM_RSRC2:TIDIG_COMP_CNT: 0
	.section	.text._ZN2at6native12_GLOBAL__N_129segment_reduce_forward_kernelIN3c108BFloat16ElEEvNS0_13ReductionTypeEPT_PKS6_PKT0_SC_llbS6_lllllll,"axG",@progbits,_ZN2at6native12_GLOBAL__N_129segment_reduce_forward_kernelIN3c108BFloat16ElEEvNS0_13ReductionTypeEPT_PKS6_PKT0_SC_llbS6_lllllll,comdat
	.globl	_ZN2at6native12_GLOBAL__N_129segment_reduce_forward_kernelIN3c108BFloat16ElEEvNS0_13ReductionTypeEPT_PKS6_PKT0_SC_llbS6_lllllll ; -- Begin function _ZN2at6native12_GLOBAL__N_129segment_reduce_forward_kernelIN3c108BFloat16ElEEvNS0_13ReductionTypeEPT_PKS6_PKT0_SC_llbS6_lllllll
	.p2align	8
	.type	_ZN2at6native12_GLOBAL__N_129segment_reduce_forward_kernelIN3c108BFloat16ElEEvNS0_13ReductionTypeEPT_PKS6_PKT0_SC_llbS6_lllllll,@function
_ZN2at6native12_GLOBAL__N_129segment_reduce_forward_kernelIN3c108BFloat16ElEEvNS0_13ReductionTypeEPT_PKS6_PKT0_SC_llbS6_lllllll: ; @_ZN2at6native12_GLOBAL__N_129segment_reduce_forward_kernelIN3c108BFloat16ElEEvNS0_13ReductionTypeEPT_PKS6_PKT0_SC_llbS6_lllllll
; %bb.0:
	s_clause 0x2
	s_load_b128 s[28:31], s[0:1], 0x28
	s_load_b32 s2, s[0:1], 0x84
	s_load_b256 s[20:27], s[0:1], 0x40
	v_mov_b32_e32 v2, 0
	s_delay_alu instid0(VALU_DEP_1)
	v_mov_b32_e32 v1, v2
	s_waitcnt lgkmcnt(0)
	s_and_b32 s2, s2, 0xffff
	s_mul_i32 s3, s20, s29
	s_mul_hi_u32 s4, s20, s28
	s_mul_i32 s5, s21, s28
	s_mul_i32 s6, s20, s28
	v_mad_u64_u32 v[4:5], null, s2, s15, v[0:1]
	s_add_i32 s2, s4, s3
	s_mul_i32 s3, s6, s23
	s_mul_hi_u32 s4, s6, s22
	s_add_i32 s2, s2, s5
	s_add_i32 s3, s4, s3
	s_mul_i32 s2, s2, s22
	s_delay_alu instid0(SALU_CYCLE_1) | instskip(SKIP_1) | instid1(SALU_CYCLE_1)
	s_add_i32 s3, s3, s2
	s_mul_i32 s2, s6, s22
	v_cmp_gt_i64_e32 vcc_lo, s[2:3], v[4:5]
	s_and_saveexec_b32 s2, vcc_lo
	s_cbranch_execz .LBB246_37
; %bb.1:
	v_or_b32_e32 v3, s23, v5
                                        ; implicit-def: $vgpr12_vgpr13
	s_mov_b32 s2, exec_lo
	s_delay_alu instid0(VALU_DEP_1)
	v_cmpx_ne_u64_e32 0, v[2:3]
	s_xor_b32 s3, exec_lo, s2
	s_cbranch_execz .LBB246_3
; %bb.2:
	s_ashr_i32 s4, s23, 31
	s_delay_alu instid0(SALU_CYCLE_1) | instskip(SKIP_2) | instid1(SALU_CYCLE_1)
	s_add_u32 s6, s22, s4
	s_mov_b32 s5, s4
	s_addc_u32 s7, s23, s4
	s_xor_b64 s[6:7], s[6:7], s[4:5]
	s_delay_alu instid0(SALU_CYCLE_1) | instskip(SKIP_3) | instid1(VALU_DEP_1)
	v_cvt_f32_u32_e32 v0, s6
	v_cvt_f32_u32_e32 v1, s7
	s_sub_u32 s2, 0, s6
	s_subb_u32 s5, 0, s7
	v_fmamk_f32 v0, v1, 0x4f800000, v0
	s_delay_alu instid0(VALU_DEP_1) | instskip(SKIP_2) | instid1(VALU_DEP_1)
	v_rcp_f32_e32 v0, v0
	s_waitcnt_depctr 0xfff
	v_mul_f32_e32 v0, 0x5f7ffffc, v0
	v_mul_f32_e32 v1, 0x2f800000, v0
	s_delay_alu instid0(VALU_DEP_1) | instskip(NEXT) | instid1(VALU_DEP_1)
	v_trunc_f32_e32 v1, v1
	v_fmamk_f32 v0, v1, 0xcf800000, v0
	v_cvt_u32_f32_e32 v1, v1
	s_delay_alu instid0(VALU_DEP_2) | instskip(NEXT) | instid1(VALU_DEP_2)
	v_cvt_u32_f32_e32 v0, v0
	v_mul_lo_u32 v2, s2, v1
	s_delay_alu instid0(VALU_DEP_2) | instskip(SKIP_1) | instid1(VALU_DEP_2)
	v_mul_hi_u32 v3, s2, v0
	v_mul_lo_u32 v6, s5, v0
	v_add_nc_u32_e32 v2, v3, v2
	v_mul_lo_u32 v3, s2, v0
	s_delay_alu instid0(VALU_DEP_2) | instskip(NEXT) | instid1(VALU_DEP_2)
	v_add_nc_u32_e32 v2, v2, v6
	v_mul_hi_u32 v6, v0, v3
	s_delay_alu instid0(VALU_DEP_2)
	v_mul_lo_u32 v7, v0, v2
	v_mul_hi_u32 v8, v0, v2
	v_mul_hi_u32 v9, v1, v3
	v_mul_lo_u32 v3, v1, v3
	v_mul_hi_u32 v10, v1, v2
	v_mul_lo_u32 v2, v1, v2
	v_add_co_u32 v6, vcc_lo, v6, v7
	v_add_co_ci_u32_e32 v7, vcc_lo, 0, v8, vcc_lo
	s_delay_alu instid0(VALU_DEP_2) | instskip(NEXT) | instid1(VALU_DEP_2)
	v_add_co_u32 v3, vcc_lo, v6, v3
	v_add_co_ci_u32_e32 v3, vcc_lo, v7, v9, vcc_lo
	v_add_co_ci_u32_e32 v6, vcc_lo, 0, v10, vcc_lo
	v_ashrrev_i32_e32 v9, 31, v5
	s_delay_alu instid0(VALU_DEP_3) | instskip(NEXT) | instid1(VALU_DEP_3)
	v_add_co_u32 v2, vcc_lo, v3, v2
	v_add_co_ci_u32_e32 v3, vcc_lo, 0, v6, vcc_lo
	s_delay_alu instid0(VALU_DEP_2) | instskip(NEXT) | instid1(VALU_DEP_2)
	v_add_co_u32 v0, vcc_lo, v0, v2
	v_add_co_ci_u32_e32 v1, vcc_lo, v1, v3, vcc_lo
	s_delay_alu instid0(VALU_DEP_2) | instskip(SKIP_1) | instid1(VALU_DEP_3)
	v_mul_hi_u32 v2, s2, v0
	v_mul_lo_u32 v6, s5, v0
	v_mul_lo_u32 v3, s2, v1
	s_delay_alu instid0(VALU_DEP_1) | instskip(SKIP_1) | instid1(VALU_DEP_2)
	v_add_nc_u32_e32 v2, v2, v3
	v_mul_lo_u32 v3, s2, v0
	v_add_nc_u32_e32 v2, v2, v6
	s_delay_alu instid0(VALU_DEP_2) | instskip(NEXT) | instid1(VALU_DEP_2)
	v_mul_hi_u32 v6, v0, v3
	v_mul_lo_u32 v7, v0, v2
	v_mul_hi_u32 v8, v0, v2
	v_mul_hi_u32 v10, v1, v3
	v_mul_lo_u32 v3, v1, v3
	v_mul_hi_u32 v11, v1, v2
	v_mul_lo_u32 v2, v1, v2
	v_add_co_u32 v6, vcc_lo, v6, v7
	v_add_co_ci_u32_e32 v7, vcc_lo, 0, v8, vcc_lo
	s_delay_alu instid0(VALU_DEP_2) | instskip(NEXT) | instid1(VALU_DEP_2)
	v_add_co_u32 v3, vcc_lo, v6, v3
	v_add_co_ci_u32_e32 v3, vcc_lo, v7, v10, vcc_lo
	v_add_co_ci_u32_e32 v6, vcc_lo, 0, v11, vcc_lo
	v_add_co_u32 v7, vcc_lo, v4, v9
	v_add_co_ci_u32_e32 v8, vcc_lo, v5, v9, vcc_lo
	s_delay_alu instid0(VALU_DEP_4) | instskip(NEXT) | instid1(VALU_DEP_4)
	v_add_co_u32 v2, vcc_lo, v3, v2
	v_add_co_ci_u32_e32 v3, vcc_lo, 0, v6, vcc_lo
	s_delay_alu instid0(VALU_DEP_4) | instskip(NEXT) | instid1(VALU_DEP_3)
	v_xor_b32_e32 v10, v7, v9
	v_add_co_u32 v6, vcc_lo, v0, v2
	s_delay_alu instid0(VALU_DEP_3) | instskip(SKIP_1) | instid1(VALU_DEP_3)
	v_add_co_ci_u32_e32 v11, vcc_lo, v1, v3, vcc_lo
	v_xor_b32_e32 v8, v8, v9
	v_mul_hi_u32 v12, v10, v6
	s_delay_alu instid0(VALU_DEP_3) | instskip(NEXT) | instid1(VALU_DEP_3)
	v_mad_u64_u32 v[0:1], null, v10, v11, 0
	v_mad_u64_u32 v[2:3], null, v8, v6, 0
	;; [unrolled: 1-line block ×3, first 2 shown]
	s_delay_alu instid0(VALU_DEP_3) | instskip(NEXT) | instid1(VALU_DEP_4)
	v_add_co_u32 v0, vcc_lo, v12, v0
	v_add_co_ci_u32_e32 v1, vcc_lo, 0, v1, vcc_lo
	s_delay_alu instid0(VALU_DEP_2) | instskip(NEXT) | instid1(VALU_DEP_2)
	v_add_co_u32 v0, vcc_lo, v0, v2
	v_add_co_ci_u32_e32 v0, vcc_lo, v1, v3, vcc_lo
	v_add_co_ci_u32_e32 v1, vcc_lo, 0, v7, vcc_lo
	s_delay_alu instid0(VALU_DEP_2) | instskip(NEXT) | instid1(VALU_DEP_2)
	v_add_co_u32 v2, vcc_lo, v0, v6
	v_add_co_ci_u32_e32 v3, vcc_lo, 0, v1, vcc_lo
	s_delay_alu instid0(VALU_DEP_2) | instskip(SKIP_1) | instid1(VALU_DEP_3)
	v_mul_lo_u32 v6, s7, v2
	v_mad_u64_u32 v[0:1], null, s6, v2, 0
	v_mul_lo_u32 v7, s6, v3
	s_delay_alu instid0(VALU_DEP_2) | instskip(NEXT) | instid1(VALU_DEP_2)
	v_sub_co_u32 v0, vcc_lo, v10, v0
	v_add3_u32 v1, v1, v7, v6
	s_delay_alu instid0(VALU_DEP_1) | instskip(NEXT) | instid1(VALU_DEP_1)
	v_sub_nc_u32_e32 v6, v8, v1
	v_subrev_co_ci_u32_e64 v6, s2, s7, v6, vcc_lo
	v_add_co_u32 v7, s2, v2, 2
	s_delay_alu instid0(VALU_DEP_1) | instskip(SKIP_3) | instid1(VALU_DEP_3)
	v_add_co_ci_u32_e64 v10, s2, 0, v3, s2
	v_sub_co_u32 v11, s2, v0, s6
	v_sub_co_ci_u32_e32 v1, vcc_lo, v8, v1, vcc_lo
	v_subrev_co_ci_u32_e64 v6, s2, 0, v6, s2
	v_cmp_le_u32_e32 vcc_lo, s6, v11
	s_delay_alu instid0(VALU_DEP_3) | instskip(SKIP_1) | instid1(VALU_DEP_4)
	v_cmp_eq_u32_e64 s2, s7, v1
	v_cndmask_b32_e64 v8, 0, -1, vcc_lo
	v_cmp_le_u32_e32 vcc_lo, s7, v6
	v_cndmask_b32_e64 v11, 0, -1, vcc_lo
	v_cmp_le_u32_e32 vcc_lo, s6, v0
	v_cndmask_b32_e64 v0, 0, -1, vcc_lo
	v_cmp_le_u32_e32 vcc_lo, s7, v1
	v_cndmask_b32_e64 v12, 0, -1, vcc_lo
	v_cmp_eq_u32_e32 vcc_lo, s7, v6
	s_delay_alu instid0(VALU_DEP_2) | instskip(SKIP_3) | instid1(VALU_DEP_3)
	v_cndmask_b32_e64 v0, v12, v0, s2
	v_cndmask_b32_e32 v6, v11, v8, vcc_lo
	v_add_co_u32 v8, vcc_lo, v2, 1
	v_add_co_ci_u32_e32 v11, vcc_lo, 0, v3, vcc_lo
	v_cmp_ne_u32_e32 vcc_lo, 0, v6
	s_delay_alu instid0(VALU_DEP_2) | instskip(SKIP_2) | instid1(VALU_DEP_3)
	v_dual_cndmask_b32 v1, v11, v10 :: v_dual_cndmask_b32 v6, v8, v7
	v_cmp_ne_u32_e32 vcc_lo, 0, v0
	v_xor_b32_e32 v0, s4, v9
	v_dual_cndmask_b32 v2, v2, v6 :: v_dual_cndmask_b32 v1, v3, v1
	s_delay_alu instid0(VALU_DEP_1) | instskip(NEXT) | instid1(VALU_DEP_2)
	v_xor_b32_e32 v2, v2, v0
	v_xor_b32_e32 v1, v1, v0
	s_delay_alu instid0(VALU_DEP_2) | instskip(NEXT) | instid1(VALU_DEP_2)
	v_sub_co_u32 v12, vcc_lo, v2, v0
	v_sub_co_ci_u32_e32 v13, vcc_lo, v1, v0, vcc_lo
.LBB246_3:
	s_or_saveexec_b32 s2, s3
	s_clause 0x1
	s_load_b256 s[4:11], s[0:1], 0x8
	s_load_b256 s[12:19], s[0:1], 0x60
	s_xor_b32 exec_lo, exec_lo, s2
	s_cbranch_execz .LBB246_5
; %bb.4:
	v_cvt_f32_u32_e32 v0, s22
	s_sub_i32 s3, 0, s22
	v_mov_b32_e32 v13, 0
	s_delay_alu instid0(VALU_DEP_2) | instskip(SKIP_2) | instid1(VALU_DEP_1)
	v_rcp_iflag_f32_e32 v0, v0
	s_waitcnt_depctr 0xfff
	v_mul_f32_e32 v0, 0x4f7ffffe, v0
	v_cvt_u32_f32_e32 v0, v0
	s_delay_alu instid0(VALU_DEP_1) | instskip(NEXT) | instid1(VALU_DEP_1)
	v_mul_lo_u32 v1, s3, v0
	v_mul_hi_u32 v1, v0, v1
	s_delay_alu instid0(VALU_DEP_1) | instskip(NEXT) | instid1(VALU_DEP_1)
	v_add_nc_u32_e32 v0, v0, v1
	v_mul_hi_u32 v0, v4, v0
	s_delay_alu instid0(VALU_DEP_1) | instskip(SKIP_1) | instid1(VALU_DEP_2)
	v_mul_lo_u32 v1, v0, s22
	v_add_nc_u32_e32 v2, 1, v0
	v_sub_nc_u32_e32 v1, v4, v1
	s_delay_alu instid0(VALU_DEP_1) | instskip(SKIP_1) | instid1(VALU_DEP_2)
	v_subrev_nc_u32_e32 v3, s22, v1
	v_cmp_le_u32_e32 vcc_lo, s22, v1
	v_dual_cndmask_b32 v1, v1, v3 :: v_dual_cndmask_b32 v0, v0, v2
	s_delay_alu instid0(VALU_DEP_1) | instskip(NEXT) | instid1(VALU_DEP_2)
	v_cmp_le_u32_e32 vcc_lo, s22, v1
	v_add_nc_u32_e32 v2, 1, v0
	s_delay_alu instid0(VALU_DEP_1)
	v_cndmask_b32_e32 v12, v0, v2, vcc_lo
.LBB246_5:
	s_or_b32 exec_lo, exec_lo, s2
	v_or_b32_e32 v1, s29, v13
	v_mov_b32_e32 v0, 0
                                        ; implicit-def: $vgpr6_vgpr7
	s_mov_b32 s2, exec_lo
	s_delay_alu instid0(VALU_DEP_1)
	v_cmpx_ne_u64_e32 0, v[0:1]
	s_xor_b32 s3, exec_lo, s2
	s_cbranch_execz .LBB246_7
; %bb.6:
	s_waitcnt lgkmcnt(0)
	s_ashr_i32 s18, s29, 31
	s_delay_alu instid0(SALU_CYCLE_1) | instskip(SKIP_2) | instid1(SALU_CYCLE_1)
	s_add_u32 s20, s28, s18
	s_mov_b32 s19, s18
	s_addc_u32 s21, s29, s18
	s_xor_b64 s[20:21], s[20:21], s[18:19]
	s_delay_alu instid0(SALU_CYCLE_1) | instskip(SKIP_3) | instid1(VALU_DEP_1)
	v_cvt_f32_u32_e32 v0, s20
	v_cvt_f32_u32_e32 v1, s21
	s_sub_u32 s2, 0, s20
	s_subb_u32 s19, 0, s21
	v_fmamk_f32 v0, v1, 0x4f800000, v0
	s_delay_alu instid0(VALU_DEP_1) | instskip(SKIP_2) | instid1(VALU_DEP_1)
	v_rcp_f32_e32 v0, v0
	s_waitcnt_depctr 0xfff
	v_mul_f32_e32 v0, 0x5f7ffffc, v0
	v_mul_f32_e32 v1, 0x2f800000, v0
	s_delay_alu instid0(VALU_DEP_1) | instskip(NEXT) | instid1(VALU_DEP_1)
	v_trunc_f32_e32 v1, v1
	v_fmamk_f32 v0, v1, 0xcf800000, v0
	v_cvt_u32_f32_e32 v1, v1
	s_delay_alu instid0(VALU_DEP_2) | instskip(NEXT) | instid1(VALU_DEP_2)
	v_cvt_u32_f32_e32 v0, v0
	v_mul_lo_u32 v2, s2, v1
	s_delay_alu instid0(VALU_DEP_2) | instskip(SKIP_1) | instid1(VALU_DEP_2)
	v_mul_hi_u32 v3, s2, v0
	v_mul_lo_u32 v6, s19, v0
	v_add_nc_u32_e32 v2, v3, v2
	v_mul_lo_u32 v3, s2, v0
	s_delay_alu instid0(VALU_DEP_2) | instskip(NEXT) | instid1(VALU_DEP_2)
	v_add_nc_u32_e32 v2, v2, v6
	v_mul_hi_u32 v6, v0, v3
	s_delay_alu instid0(VALU_DEP_2)
	v_mul_lo_u32 v7, v0, v2
	v_mul_hi_u32 v8, v0, v2
	v_mul_hi_u32 v9, v1, v3
	v_mul_lo_u32 v3, v1, v3
	v_mul_hi_u32 v10, v1, v2
	v_mul_lo_u32 v2, v1, v2
	v_add_co_u32 v6, vcc_lo, v6, v7
	v_add_co_ci_u32_e32 v7, vcc_lo, 0, v8, vcc_lo
	s_delay_alu instid0(VALU_DEP_2) | instskip(NEXT) | instid1(VALU_DEP_2)
	v_add_co_u32 v3, vcc_lo, v6, v3
	v_add_co_ci_u32_e32 v3, vcc_lo, v7, v9, vcc_lo
	v_add_co_ci_u32_e32 v6, vcc_lo, 0, v10, vcc_lo
	v_ashrrev_i32_e32 v9, 31, v13
	s_delay_alu instid0(VALU_DEP_3) | instskip(NEXT) | instid1(VALU_DEP_3)
	v_add_co_u32 v2, vcc_lo, v3, v2
	v_add_co_ci_u32_e32 v3, vcc_lo, 0, v6, vcc_lo
	s_delay_alu instid0(VALU_DEP_2) | instskip(NEXT) | instid1(VALU_DEP_2)
	v_add_co_u32 v0, vcc_lo, v0, v2
	v_add_co_ci_u32_e32 v1, vcc_lo, v1, v3, vcc_lo
	s_delay_alu instid0(VALU_DEP_2) | instskip(SKIP_1) | instid1(VALU_DEP_3)
	v_mul_hi_u32 v2, s2, v0
	v_mul_lo_u32 v6, s19, v0
	v_mul_lo_u32 v3, s2, v1
	s_delay_alu instid0(VALU_DEP_1) | instskip(SKIP_1) | instid1(VALU_DEP_2)
	v_add_nc_u32_e32 v2, v2, v3
	v_mul_lo_u32 v3, s2, v0
	v_add_nc_u32_e32 v2, v2, v6
	s_delay_alu instid0(VALU_DEP_2) | instskip(NEXT) | instid1(VALU_DEP_2)
	v_mul_hi_u32 v6, v0, v3
	v_mul_lo_u32 v7, v0, v2
	v_mul_hi_u32 v8, v0, v2
	v_mul_hi_u32 v10, v1, v3
	v_mul_lo_u32 v3, v1, v3
	v_mul_hi_u32 v11, v1, v2
	v_mul_lo_u32 v2, v1, v2
	v_add_co_u32 v6, vcc_lo, v6, v7
	v_add_co_ci_u32_e32 v7, vcc_lo, 0, v8, vcc_lo
	s_delay_alu instid0(VALU_DEP_2) | instskip(NEXT) | instid1(VALU_DEP_2)
	v_add_co_u32 v3, vcc_lo, v6, v3
	v_add_co_ci_u32_e32 v3, vcc_lo, v7, v10, vcc_lo
	v_add_co_ci_u32_e32 v6, vcc_lo, 0, v11, vcc_lo
	v_add_co_u32 v7, vcc_lo, v12, v9
	v_add_co_ci_u32_e32 v8, vcc_lo, v13, v9, vcc_lo
	s_delay_alu instid0(VALU_DEP_4) | instskip(NEXT) | instid1(VALU_DEP_4)
	v_add_co_u32 v2, vcc_lo, v3, v2
	v_add_co_ci_u32_e32 v3, vcc_lo, 0, v6, vcc_lo
	s_delay_alu instid0(VALU_DEP_4) | instskip(NEXT) | instid1(VALU_DEP_3)
	v_xor_b32_e32 v10, v7, v9
	v_add_co_u32 v6, vcc_lo, v0, v2
	s_delay_alu instid0(VALU_DEP_3) | instskip(SKIP_1) | instid1(VALU_DEP_3)
	v_add_co_ci_u32_e32 v11, vcc_lo, v1, v3, vcc_lo
	v_xor_b32_e32 v8, v8, v9
	v_mul_hi_u32 v14, v10, v6
	s_delay_alu instid0(VALU_DEP_3) | instskip(NEXT) | instid1(VALU_DEP_3)
	v_mad_u64_u32 v[0:1], null, v10, v11, 0
	v_mad_u64_u32 v[2:3], null, v8, v6, 0
	;; [unrolled: 1-line block ×3, first 2 shown]
	s_delay_alu instid0(VALU_DEP_3) | instskip(NEXT) | instid1(VALU_DEP_4)
	v_add_co_u32 v0, vcc_lo, v14, v0
	v_add_co_ci_u32_e32 v1, vcc_lo, 0, v1, vcc_lo
	s_delay_alu instid0(VALU_DEP_2) | instskip(NEXT) | instid1(VALU_DEP_2)
	v_add_co_u32 v0, vcc_lo, v0, v2
	v_add_co_ci_u32_e32 v0, vcc_lo, v1, v3, vcc_lo
	v_add_co_ci_u32_e32 v1, vcc_lo, 0, v7, vcc_lo
	s_delay_alu instid0(VALU_DEP_2) | instskip(NEXT) | instid1(VALU_DEP_2)
	v_add_co_u32 v2, vcc_lo, v0, v6
	v_add_co_ci_u32_e32 v3, vcc_lo, 0, v1, vcc_lo
	s_delay_alu instid0(VALU_DEP_2) | instskip(SKIP_1) | instid1(VALU_DEP_3)
	v_mul_lo_u32 v6, s21, v2
	v_mad_u64_u32 v[0:1], null, s20, v2, 0
	v_mul_lo_u32 v7, s20, v3
	s_delay_alu instid0(VALU_DEP_2) | instskip(NEXT) | instid1(VALU_DEP_2)
	v_sub_co_u32 v0, vcc_lo, v10, v0
	v_add3_u32 v1, v1, v7, v6
	s_delay_alu instid0(VALU_DEP_1) | instskip(NEXT) | instid1(VALU_DEP_1)
	v_sub_nc_u32_e32 v6, v8, v1
	v_subrev_co_ci_u32_e64 v6, s2, s21, v6, vcc_lo
	v_add_co_u32 v7, s2, v2, 2
	s_delay_alu instid0(VALU_DEP_1) | instskip(SKIP_3) | instid1(VALU_DEP_3)
	v_add_co_ci_u32_e64 v10, s2, 0, v3, s2
	v_sub_co_u32 v11, s2, v0, s20
	v_sub_co_ci_u32_e32 v1, vcc_lo, v8, v1, vcc_lo
	v_subrev_co_ci_u32_e64 v6, s2, 0, v6, s2
	v_cmp_le_u32_e32 vcc_lo, s20, v11
	s_delay_alu instid0(VALU_DEP_3) | instskip(SKIP_1) | instid1(VALU_DEP_4)
	v_cmp_eq_u32_e64 s2, s21, v1
	v_cndmask_b32_e64 v8, 0, -1, vcc_lo
	v_cmp_le_u32_e32 vcc_lo, s21, v6
	v_cndmask_b32_e64 v11, 0, -1, vcc_lo
	v_cmp_le_u32_e32 vcc_lo, s20, v0
	v_cndmask_b32_e64 v0, 0, -1, vcc_lo
	v_cmp_le_u32_e32 vcc_lo, s21, v1
	v_cndmask_b32_e64 v14, 0, -1, vcc_lo
	v_cmp_eq_u32_e32 vcc_lo, s21, v6
	s_delay_alu instid0(VALU_DEP_2) | instskip(SKIP_3) | instid1(VALU_DEP_3)
	v_cndmask_b32_e64 v0, v14, v0, s2
	v_cndmask_b32_e32 v6, v11, v8, vcc_lo
	v_add_co_u32 v8, vcc_lo, v2, 1
	v_add_co_ci_u32_e32 v11, vcc_lo, 0, v3, vcc_lo
	v_cmp_ne_u32_e32 vcc_lo, 0, v6
	s_delay_alu instid0(VALU_DEP_2) | instskip(SKIP_2) | instid1(VALU_DEP_3)
	v_dual_cndmask_b32 v1, v11, v10 :: v_dual_cndmask_b32 v6, v8, v7
	v_cmp_ne_u32_e32 vcc_lo, 0, v0
	v_xor_b32_e32 v0, s18, v9
	v_dual_cndmask_b32 v2, v2, v6 :: v_dual_cndmask_b32 v1, v3, v1
	s_delay_alu instid0(VALU_DEP_1) | instskip(NEXT) | instid1(VALU_DEP_2)
	v_xor_b32_e32 v2, v2, v0
	v_xor_b32_e32 v1, v1, v0
	s_delay_alu instid0(VALU_DEP_2) | instskip(NEXT) | instid1(VALU_DEP_2)
	v_sub_co_u32 v6, vcc_lo, v2, v0
	v_sub_co_ci_u32_e32 v7, vcc_lo, v1, v0, vcc_lo
.LBB246_7:
	s_and_not1_saveexec_b32 s2, s3
	s_cbranch_execz .LBB246_9
; %bb.8:
	v_cvt_f32_u32_e32 v0, s28
	s_sub_i32 s3, 0, s28
	v_mov_b32_e32 v7, 0
	s_delay_alu instid0(VALU_DEP_2) | instskip(SKIP_2) | instid1(VALU_DEP_1)
	v_rcp_iflag_f32_e32 v0, v0
	s_waitcnt_depctr 0xfff
	v_mul_f32_e32 v0, 0x4f7ffffe, v0
	v_cvt_u32_f32_e32 v0, v0
	s_delay_alu instid0(VALU_DEP_1) | instskip(NEXT) | instid1(VALU_DEP_1)
	v_mul_lo_u32 v1, s3, v0
	v_mul_hi_u32 v1, v0, v1
	s_delay_alu instid0(VALU_DEP_1) | instskip(NEXT) | instid1(VALU_DEP_1)
	v_add_nc_u32_e32 v0, v0, v1
	v_mul_hi_u32 v0, v12, v0
	s_delay_alu instid0(VALU_DEP_1) | instskip(SKIP_1) | instid1(VALU_DEP_2)
	v_mul_lo_u32 v1, v0, s28
	v_add_nc_u32_e32 v2, 1, v0
	v_sub_nc_u32_e32 v1, v12, v1
	s_delay_alu instid0(VALU_DEP_1) | instskip(SKIP_1) | instid1(VALU_DEP_2)
	v_subrev_nc_u32_e32 v3, s28, v1
	v_cmp_le_u32_e32 vcc_lo, s28, v1
	v_dual_cndmask_b32 v1, v1, v3 :: v_dual_cndmask_b32 v0, v0, v2
	s_delay_alu instid0(VALU_DEP_1) | instskip(NEXT) | instid1(VALU_DEP_2)
	v_cmp_le_u32_e32 vcc_lo, s28, v1
	v_add_nc_u32_e32 v2, 1, v0
	s_delay_alu instid0(VALU_DEP_1)
	v_cndmask_b32_e32 v6, v0, v2, vcc_lo
.LBB246_9:
	s_or_b32 exec_lo, exec_lo, s2
	s_waitcnt lgkmcnt(0)
	s_load_b32 s18, s[0:1], 0x38
	v_mul_lo_u32 v2, v7, s28
	v_mul_lo_u32 v3, v6, s29
	v_mad_u64_u32 v[14:15], null, v6, s28, 0
	s_load_b32 s1, s[0:1], 0x0
	v_mul_lo_u32 v18, v12, s23
	v_mad_u64_u32 v[10:11], null, v12, s22, 0
	s_delay_alu instid0(VALU_DEP_3)
	v_add3_u32 v15, v15, v3, v2
	s_waitcnt lgkmcnt(0)
	s_lshr_b32 s2, s18, 16
	s_add_u32 s3, s28, 1
	s_addc_u32 s19, s29, 0
	s_mul_i32 s17, s3, s17
	s_mul_hi_u32 s20, s3, s16
	s_mul_i32 s3, s3, s16
	s_mul_i32 s19, s19, s16
	s_add_i32 s16, s20, s17
	v_mul_lo_u32 v8, s3, v7
	s_add_i32 s16, s16, s19
	v_mad_u64_u32 v[0:1], null, s3, v6, 0
	v_mul_lo_u32 v9, s16, v6
	s_delay_alu instid0(VALU_DEP_1) | instskip(SKIP_2) | instid1(VALU_DEP_3)
	v_add3_u32 v1, v1, v8, v9
	v_sub_co_u32 v8, vcc_lo, v12, v14
	v_sub_co_ci_u32_e32 v9, vcc_lo, v13, v15, vcc_lo
	v_lshlrev_b64 v[0:1], 3, v[0:1]
	v_mul_lo_u32 v13, v13, s22
	s_delay_alu instid0(VALU_DEP_3) | instskip(NEXT) | instid1(VALU_DEP_3)
	v_lshlrev_b64 v[16:17], 3, v[8:9]
	v_add_co_u32 v0, vcc_lo, s10, v0
	s_delay_alu instid0(VALU_DEP_4) | instskip(NEXT) | instid1(VALU_DEP_4)
	v_add_co_ci_u32_e32 v1, vcc_lo, s11, v1, vcc_lo
	v_add3_u32 v11, v11, v18, v13
	s_delay_alu instid0(VALU_DEP_3) | instskip(NEXT) | instid1(VALU_DEP_3)
	v_add_co_u32 v0, vcc_lo, v0, v16
	v_add_co_ci_u32_e32 v1, vcc_lo, v1, v17, vcc_lo
	v_mov_b32_e32 v18, s2
	s_mov_b32 s10, exec_lo
	global_load_b128 v[0:3], v[0:1], off
	s_waitcnt vmcnt(0)
	v_cmpx_lt_i64_e64 v[0:1], v[2:3]
	s_cbranch_execz .LBB246_28
; %bb.10:
	v_mul_lo_u32 v18, v7, s26
	v_mul_lo_u32 v19, v6, s27
	v_mad_u64_u32 v[12:13], null, v6, s26, 0
	s_cmp_lg_u32 s1, 0
	s_cselect_b32 s11, -1, 0
	s_and_b32 s0, s1, -3
	s_delay_alu instid0(SALU_CYCLE_1) | instskip(NEXT) | instid1(VALU_DEP_1)
	s_cmp_lg_u32 s0, 1
	v_add3_u32 v13, v13, v19, v18
	v_lshlrev_b64 v[18:19], 1, v[0:1]
	s_delay_alu instid0(VALU_DEP_2) | instskip(NEXT) | instid1(VALU_DEP_1)
	v_lshlrev_b64 v[12:13], 1, v[12:13]
	v_add_co_u32 v18, vcc_lo, v12, v18
	s_delay_alu instid0(VALU_DEP_2) | instskip(SKIP_1) | instid1(VALU_DEP_3)
	v_add_co_ci_u32_e32 v19, vcc_lo, v13, v19, vcc_lo
	v_lshlrev_b64 v[12:13], 1, v[4:5]
	v_mul_lo_u32 v23, s25, v18
	s_delay_alu instid0(VALU_DEP_3) | instskip(SKIP_1) | instid1(VALU_DEP_4)
	v_mul_lo_u32 v22, s24, v19
	v_mov_b32_e32 v19, s2
	v_mad_u64_u32 v[20:21], null, s24, v18, v[12:13]
	v_lshlrev_b64 v[12:13], 1, v[10:11]
	s_delay_alu instid0(VALU_DEP_2) | instskip(NEXT) | instid1(VALU_DEP_2)
	v_add3_u32 v18, v23, v21, v22
	v_sub_co_u32 v12, vcc_lo, v20, v12
	v_mov_b32_e32 v20, s2
	s_delay_alu instid0(VALU_DEP_3) | instskip(NEXT) | instid1(VALU_DEP_3)
	v_sub_co_ci_u32_e32 v13, vcc_lo, v18, v13, vcc_lo
	v_add_co_u32 v12, vcc_lo, s6, v12
	s_mov_b32 s6, 0
	s_delay_alu instid0(VALU_DEP_2)
	v_add_co_ci_u32_e32 v13, vcc_lo, s7, v13, vcc_lo
	s_cselect_b32 s7, -1, 0
	s_lshl_b64 s[2:3], s[24:25], 1
	s_branch .LBB246_12
.LBB246_11:                             ;   in Loop: Header=BB246_12 Depth=1
	v_add_co_u32 v0, vcc_lo, v0, 1
	v_add_co_ci_u32_e32 v1, vcc_lo, 0, v1, vcc_lo
	v_add_co_u32 v12, s0, v12, s2
	s_delay_alu instid0(VALU_DEP_1) | instskip(NEXT) | instid1(VALU_DEP_3)
	v_add_co_ci_u32_e64 v13, s0, s3, v13, s0
	v_cmp_ge_i64_e32 vcc_lo, v[0:1], v[2:3]
	v_mov_b32_e32 v19, v18
	v_mov_b32_e32 v20, v22
	s_or_b32 s6, vcc_lo, s6
	s_delay_alu instid0(SALU_CYCLE_1)
	s_and_not1_b32 exec_lo, exec_lo, s6
	s_cbranch_execz .LBB246_27
.LBB246_12:                             ; =>This Inner Loop Header: Depth=1
	global_load_u16 v18, v[12:13], off
	s_and_b32 vcc_lo, exec_lo, s11
	s_waitcnt vmcnt(0)
	v_and_b32_e32 v21, 0xffff, v18
	s_cbranch_vccz .LBB246_18
; %bb.13:                               ;   in Loop: Header=BB246_12 Depth=1
	s_and_b32 vcc_lo, exec_lo, s7
	s_cbranch_vccz .LBB246_19
; %bb.14:                               ;   in Loop: Header=BB246_12 Depth=1
	s_cmp_lt_i32 s1, 4
	s_cbranch_scc1 .LBB246_20
; %bb.15:                               ;   in Loop: Header=BB246_12 Depth=1
	v_mov_b32_e32 v22, v20
	v_mov_b32_e32 v18, v19
	s_cmp_eq_u32 s1, 4
	s_cbranch_scc0 .LBB246_17
; %bb.16:                               ;   in Loop: Header=BB246_12 Depth=1
	v_lshlrev_b32_e32 v18, 16, v20
	v_lshlrev_b32_e32 v22, 16, v21
	s_delay_alu instid0(VALU_DEP_1) | instskip(NEXT) | instid1(VALU_DEP_1)
	v_mul_f32_e32 v18, v22, v18
	v_bfe_u32 v22, v18, 16, 1
	v_cmp_o_f32_e32 vcc_lo, v18, v18
	s_delay_alu instid0(VALU_DEP_2) | instskip(NEXT) | instid1(VALU_DEP_1)
	v_add3_u32 v22, v18, v22, 0x7fff
	v_lshrrev_b32_e32 v22, 16, v22
	s_delay_alu instid0(VALU_DEP_1) | instskip(NEXT) | instid1(VALU_DEP_1)
	v_cndmask_b32_e32 v22, 0x7fc0, v22, vcc_lo
	v_mov_b32_e32 v18, v22
.LBB246_17:                             ;   in Loop: Header=BB246_12 Depth=1
	s_cbranch_execz .LBB246_21
	s_branch .LBB246_23
.LBB246_18:                             ;   in Loop: Header=BB246_12 Depth=1
                                        ; implicit-def: $vgpr22
                                        ; implicit-def: $vgpr18
	s_branch .LBB246_26
.LBB246_19:                             ;   in Loop: Header=BB246_12 Depth=1
                                        ; implicit-def: $vgpr22
                                        ; implicit-def: $vgpr18
	s_cbranch_execnz .LBB246_24
	s_branch .LBB246_25
.LBB246_20:                             ;   in Loop: Header=BB246_12 Depth=1
                                        ; implicit-def: $vgpr22
                                        ; implicit-def: $vgpr18
.LBB246_21:                             ;   in Loop: Header=BB246_12 Depth=1
	v_mov_b32_e32 v22, v20
	v_mov_b32_e32 v18, v19
	s_cmp_lg_u32 s1, 2
	s_cbranch_scc1 .LBB246_23
; %bb.22:                               ;   in Loop: Header=BB246_12 Depth=1
	v_lshlrev_b32_e32 v18, 16, v21
	v_lshlrev_b32_e32 v22, 16, v20
	s_delay_alu instid0(VALU_DEP_2) | instskip(NEXT) | instid1(VALU_DEP_2)
	v_cmp_u_f32_e32 vcc_lo, v18, v18
	v_cmp_lt_f32_e64 s0, v18, v22
	s_delay_alu instid0(VALU_DEP_1) | instskip(SKIP_1) | instid1(VALU_DEP_1)
	s_or_b32 vcc_lo, vcc_lo, s0
	v_cndmask_b32_e32 v22, v19, v21, vcc_lo
	v_mov_b32_e32 v18, v22
.LBB246_23:                             ;   in Loop: Header=BB246_12 Depth=1
	s_branch .LBB246_25
.LBB246_24:                             ;   in Loop: Header=BB246_12 Depth=1
	v_lshlrev_b32_e32 v18, 16, v20
	v_lshlrev_b32_e32 v22, 16, v21
	s_delay_alu instid0(VALU_DEP_1) | instskip(NEXT) | instid1(VALU_DEP_1)
	v_add_f32_e32 v18, v22, v18
	v_bfe_u32 v22, v18, 16, 1
	v_cmp_o_f32_e32 vcc_lo, v18, v18
	s_delay_alu instid0(VALU_DEP_2) | instskip(NEXT) | instid1(VALU_DEP_1)
	v_add3_u32 v22, v18, v22, 0x7fff
	v_lshrrev_b32_e32 v22, 16, v22
	s_delay_alu instid0(VALU_DEP_1) | instskip(NEXT) | instid1(VALU_DEP_1)
	v_cndmask_b32_e32 v22, 0x7fc0, v22, vcc_lo
	v_mov_b32_e32 v18, v22
.LBB246_25:                             ;   in Loop: Header=BB246_12 Depth=1
	s_cbranch_execnz .LBB246_11
.LBB246_26:                             ;   in Loop: Header=BB246_12 Depth=1
	s_delay_alu instid0(VALU_DEP_1) | instskip(SKIP_1) | instid1(VALU_DEP_2)
	v_lshlrev_b32_e32 v18, 16, v21
	v_lshlrev_b32_e32 v20, 16, v20
	v_cmp_u_f32_e32 vcc_lo, v18, v18
	s_delay_alu instid0(VALU_DEP_2) | instskip(NEXT) | instid1(VALU_DEP_1)
	v_cmp_lt_f32_e64 s0, v20, v18
	s_or_b32 vcc_lo, vcc_lo, s0
	v_cndmask_b32_e32 v18, v19, v21, vcc_lo
	s_delay_alu instid0(VALU_DEP_1)
	v_mov_b32_e32 v22, v18
	s_branch .LBB246_11
.LBB246_27:
	s_or_b32 exec_lo, exec_lo, s6
.LBB246_28:
	s_delay_alu instid0(SALU_CYCLE_1) | instskip(SKIP_4) | instid1(VALU_DEP_1)
	s_or_b32 exec_lo, exec_lo, s10
	v_mul_lo_u32 v2, v15, s30
	v_mul_lo_u32 v3, v14, s31
	v_mad_u64_u32 v[0:1], null, v14, s30, 0
	s_mov_b32 s0, exec_lo
	v_add3_u32 v1, v1, v3, v2
	s_delay_alu instid0(VALU_DEP_1) | instskip(NEXT) | instid1(VALU_DEP_1)
	v_lshlrev_b64 v[0:1], 3, v[0:1]
	v_add_co_u32 v0, vcc_lo, s8, v0
	s_delay_alu instid0(VALU_DEP_2) | instskip(NEXT) | instid1(VALU_DEP_2)
	v_add_co_ci_u32_e32 v1, vcc_lo, s9, v1, vcc_lo
	v_add_co_u32 v0, vcc_lo, v0, v16
	s_delay_alu instid0(VALU_DEP_2)
	v_add_co_ci_u32_e32 v1, vcc_lo, v1, v17, vcc_lo
	global_load_b64 v[0:1], v[0:1], off
	s_waitcnt vmcnt(0)
	v_cmpx_lt_i64_e32 -1, v[0:1]
	s_xor_b32 s0, exec_lo, s0
	s_cbranch_execz .LBB246_36
; %bb.29:
	s_bitcmp1_b32 s18, 0
	v_cmp_ne_u64_e32 vcc_lo, 0, v[0:1]
	s_cselect_b32 s2, -1, 0
	s_cmp_lg_u32 s1, 1
	v_mov_b32_e32 v2, 0x7fc0
	s_cselect_b32 s3, -1, 0
	s_delay_alu instid0(SALU_CYCLE_1) | instskip(NEXT) | instid1(SALU_CYCLE_1)
	s_or_b32 s2, s3, s2
	s_or_b32 s3, s2, vcc_lo
	s_delay_alu instid0(SALU_CYCLE_1)
	s_and_saveexec_b32 s2, s3
	s_cbranch_execz .LBB246_35
; %bb.30:
	s_cmp_eq_u32 s1, 1
	s_cselect_b32 s1, -1, 0
	s_delay_alu instid0(SALU_CYCLE_1) | instskip(NEXT) | instid1(SALU_CYCLE_1)
	s_and_b32 s3, s1, vcc_lo
	s_and_saveexec_b32 s1, s3
	s_cbranch_execz .LBB246_34
; %bb.31:
	v_lshlrev_b32_e32 v2, 16, v18
	s_mov_b32 s3, exec_lo
	s_delay_alu instid0(VALU_DEP_1)
	v_cmpx_o_f32_e32 v2, v2
	s_cbranch_execz .LBB246_33
; %bb.32:
	v_clz_i32_u32_e32 v3, v1
	s_delay_alu instid0(VALU_DEP_1) | instskip(NEXT) | instid1(VALU_DEP_1)
	v_min_u32_e32 v3, 32, v3
	v_lshlrev_b64 v[0:1], v3, v[0:1]
	s_delay_alu instid0(VALU_DEP_1) | instskip(NEXT) | instid1(VALU_DEP_1)
	v_min_u32_e32 v0, 1, v0
	v_or_b32_e32 v0, v1, v0
	v_sub_nc_u32_e32 v1, 32, v3
	s_delay_alu instid0(VALU_DEP_2) | instskip(NEXT) | instid1(VALU_DEP_1)
	v_cvt_f32_u32_e32 v0, v0
	v_ldexp_f32 v0, v0, v1
	s_delay_alu instid0(VALU_DEP_1) | instskip(NEXT) | instid1(VALU_DEP_1)
	v_bfe_u32 v1, v0, 16, 1
	v_add3_u32 v0, v0, v1, 0x7fff
	s_delay_alu instid0(VALU_DEP_1) | instskip(NEXT) | instid1(VALU_DEP_1)
	v_and_b32_e32 v0, 0xffff0000, v0
	v_div_scale_f32 v1, null, v0, v0, v2
	s_delay_alu instid0(VALU_DEP_1) | instskip(SKIP_2) | instid1(VALU_DEP_1)
	v_rcp_f32_e32 v3, v1
	s_waitcnt_depctr 0xfff
	v_fma_f32 v12, -v1, v3, 1.0
	v_fmac_f32_e32 v3, v12, v3
	v_div_scale_f32 v12, vcc_lo, v2, v0, v2
	s_delay_alu instid0(VALU_DEP_1) | instskip(NEXT) | instid1(VALU_DEP_1)
	v_mul_f32_e32 v13, v12, v3
	v_fma_f32 v14, -v1, v13, v12
	s_delay_alu instid0(VALU_DEP_1) | instskip(NEXT) | instid1(VALU_DEP_1)
	v_fmac_f32_e32 v13, v14, v3
	v_fma_f32 v1, -v1, v13, v12
	s_delay_alu instid0(VALU_DEP_1) | instskip(NEXT) | instid1(VALU_DEP_1)
	v_div_fmas_f32 v1, v1, v3, v13
	v_div_fixup_f32 v0, v1, v0, v2
	s_delay_alu instid0(VALU_DEP_1) | instskip(SKIP_1) | instid1(VALU_DEP_2)
	v_bfe_u32 v1, v0, 16, 1
	v_cmp_o_f32_e32 vcc_lo, v0, v0
	v_add3_u32 v1, v0, v1, 0x7fff
	s_delay_alu instid0(VALU_DEP_1) | instskip(NEXT) | instid1(VALU_DEP_1)
	v_lshrrev_b32_e32 v1, 16, v1
	v_cndmask_b32_e32 v18, 0x7fc0, v1, vcc_lo
.LBB246_33:
	s_or_b32 exec_lo, exec_lo, s3
.LBB246_34:
	s_delay_alu instid0(SALU_CYCLE_1) | instskip(NEXT) | instid1(VALU_DEP_1)
	s_or_b32 exec_lo, exec_lo, s1
	v_mov_b32_e32 v2, v18
.LBB246_35:
	s_or_b32 exec_lo, exec_lo, s2
	s_mul_i32 s1, s14, s13
	s_mul_hi_u32 s2, s14, s12
	s_mul_i32 s3, s15, s12
	s_add_i32 s1, s2, s1
	s_mul_i32 s2, s14, s12
	s_add_i32 s1, s1, s3
	v_mul_lo_u32 v12, s2, v7
	v_mul_lo_u32 v3, s1, v6
	v_mad_u64_u32 v[0:1], null, s2, v6, 0
	v_mul_lo_u32 v9, v9, s12
	v_mul_lo_u32 v13, v8, s13
	v_mad_u64_u32 v[6:7], null, v8, s12, 0
	s_delay_alu instid0(VALU_DEP_4) | instskip(SKIP_2) | instid1(VALU_DEP_4)
	v_add3_u32 v1, v1, v12, v3
	v_sub_co_u32 v3, vcc_lo, v4, v10
	v_sub_co_ci_u32_e32 v4, vcc_lo, v5, v11, vcc_lo
	v_add3_u32 v7, v7, v13, v9
	s_delay_alu instid0(VALU_DEP_4) | instskip(NEXT) | instid1(VALU_DEP_2)
	v_lshlrev_b64 v[0:1], 1, v[0:1]
	v_lshlrev_b64 v[5:6], 1, v[6:7]
	s_delay_alu instid0(VALU_DEP_2) | instskip(NEXT) | instid1(VALU_DEP_3)
	v_add_co_u32 v7, vcc_lo, s4, v0
	v_add_co_ci_u32_e32 v8, vcc_lo, s5, v1, vcc_lo
	v_lshlrev_b64 v[0:1], 1, v[3:4]
	s_delay_alu instid0(VALU_DEP_3) | instskip(NEXT) | instid1(VALU_DEP_3)
	v_add_co_u32 v3, vcc_lo, v7, v5
	v_add_co_ci_u32_e32 v4, vcc_lo, v8, v6, vcc_lo
	s_delay_alu instid0(VALU_DEP_2) | instskip(NEXT) | instid1(VALU_DEP_2)
	v_add_co_u32 v0, vcc_lo, v3, v0
	v_add_co_ci_u32_e32 v1, vcc_lo, v4, v1, vcc_lo
	global_store_b16 v[0:1], v2, off
.LBB246_36:
	s_and_not1_saveexec_b32 s0, s0
	s_cbranch_execnz .LBB246_38
.LBB246_37:
	s_nop 0
	s_sendmsg sendmsg(MSG_DEALLOC_VGPRS)
	s_endpgm
.LBB246_38:
	s_cbranch_execnz .LBB246_40
; %bb.39:
	; divergent unreachable
	s_nop 0
	s_sendmsg sendmsg(MSG_DEALLOC_VGPRS)
	s_endpgm
.LBB246_40:
	s_trap 2
	s_sendmsg_rtn_b32 s0, sendmsg(MSG_RTN_GET_DOORBELL)
	s_mov_b32 ttmp2, m0
	s_waitcnt lgkmcnt(0)
	s_and_b32 s0, s0, 0x3ff
	s_delay_alu instid0(SALU_CYCLE_1) | instskip(NEXT) | instid1(SALU_CYCLE_1)
	s_bitset1_b32 s0, 10
	s_mov_b32 m0, s0
	s_sendmsg sendmsg(MSG_INTERRUPT)
	s_mov_b32 m0, ttmp2
.LBB246_41:                             ; =>This Inner Loop Header: Depth=1
	s_sethalt 5
	s_branch .LBB246_41
	.section	.rodata,"a",@progbits
	.p2align	6, 0x0
	.amdhsa_kernel _ZN2at6native12_GLOBAL__N_129segment_reduce_forward_kernelIN3c108BFloat16ElEEvNS0_13ReductionTypeEPT_PKS6_PKT0_SC_llbS6_lllllll
		.amdhsa_group_segment_fixed_size 0
		.amdhsa_private_segment_fixed_size 0
		.amdhsa_kernarg_size 376
		.amdhsa_user_sgpr_count 15
		.amdhsa_user_sgpr_dispatch_ptr 0
		.amdhsa_user_sgpr_queue_ptr 0
		.amdhsa_user_sgpr_kernarg_segment_ptr 1
		.amdhsa_user_sgpr_dispatch_id 0
		.amdhsa_user_sgpr_private_segment_size 0
		.amdhsa_wavefront_size32 1
		.amdhsa_uses_dynamic_stack 0
		.amdhsa_enable_private_segment 0
		.amdhsa_system_sgpr_workgroup_id_x 1
		.amdhsa_system_sgpr_workgroup_id_y 0
		.amdhsa_system_sgpr_workgroup_id_z 0
		.amdhsa_system_sgpr_workgroup_info 0
		.amdhsa_system_vgpr_workitem_id 0
		.amdhsa_next_free_vgpr 24
		.amdhsa_next_free_sgpr 32
		.amdhsa_reserve_vcc 1
		.amdhsa_float_round_mode_32 0
		.amdhsa_float_round_mode_16_64 0
		.amdhsa_float_denorm_mode_32 3
		.amdhsa_float_denorm_mode_16_64 3
		.amdhsa_dx10_clamp 1
		.amdhsa_ieee_mode 1
		.amdhsa_fp16_overflow 0
		.amdhsa_workgroup_processor_mode 1
		.amdhsa_memory_ordered 1
		.amdhsa_forward_progress 0
		.amdhsa_shared_vgpr_count 0
		.amdhsa_exception_fp_ieee_invalid_op 0
		.amdhsa_exception_fp_denorm_src 0
		.amdhsa_exception_fp_ieee_div_zero 0
		.amdhsa_exception_fp_ieee_overflow 0
		.amdhsa_exception_fp_ieee_underflow 0
		.amdhsa_exception_fp_ieee_inexact 0
		.amdhsa_exception_int_div_zero 0
	.end_amdhsa_kernel
	.section	.text._ZN2at6native12_GLOBAL__N_129segment_reduce_forward_kernelIN3c108BFloat16ElEEvNS0_13ReductionTypeEPT_PKS6_PKT0_SC_llbS6_lllllll,"axG",@progbits,_ZN2at6native12_GLOBAL__N_129segment_reduce_forward_kernelIN3c108BFloat16ElEEvNS0_13ReductionTypeEPT_PKS6_PKT0_SC_llbS6_lllllll,comdat
.Lfunc_end246:
	.size	_ZN2at6native12_GLOBAL__N_129segment_reduce_forward_kernelIN3c108BFloat16ElEEvNS0_13ReductionTypeEPT_PKS6_PKT0_SC_llbS6_lllllll, .Lfunc_end246-_ZN2at6native12_GLOBAL__N_129segment_reduce_forward_kernelIN3c108BFloat16ElEEvNS0_13ReductionTypeEPT_PKS6_PKT0_SC_llbS6_lllllll
                                        ; -- End function
	.section	.AMDGPU.csdata,"",@progbits
; Kernel info:
; codeLenInByte = 3712
; NumSgprs: 34
; NumVgprs: 24
; ScratchSize: 0
; MemoryBound: 0
; FloatMode: 240
; IeeeMode: 1
; LDSByteSize: 0 bytes/workgroup (compile time only)
; SGPRBlocks: 4
; VGPRBlocks: 2
; NumSGPRsForWavesPerEU: 34
; NumVGPRsForWavesPerEU: 24
; Occupancy: 16
; WaveLimiterHint : 0
; COMPUTE_PGM_RSRC2:SCRATCH_EN: 0
; COMPUTE_PGM_RSRC2:USER_SGPR: 15
; COMPUTE_PGM_RSRC2:TRAP_HANDLER: 0
; COMPUTE_PGM_RSRC2:TGID_X_EN: 1
; COMPUTE_PGM_RSRC2:TGID_Y_EN: 0
; COMPUTE_PGM_RSRC2:TGID_Z_EN: 0
; COMPUTE_PGM_RSRC2:TIDIG_COMP_CNT: 0
	.section	.text._ZN7rocprim17ROCPRIM_400000_NS6detail17trampoline_kernelINS0_14default_configENS1_32segmented_reduce_config_selectorIN3c108BFloat16EEEZNS1_21segmented_reduce_implIS3_PKS6_PS6_PKlS6_N6hipcub16HIPCUB_304000_NS6detail27convert_result_type_wrapperISA_SB_N2at6native12_GLOBAL__N_19CustomMaxEEEEE10hipError_tPvRmT0_T1_jT2_SS_T4_T3_P12ihipStream_tbEUlT_E_NS1_11comp_targetILNS1_3genE0ELNS1_11target_archE4294967295ELNS1_3gpuE0ELNS1_3repE0EEENS1_30default_config_static_selectorELNS0_4arch9wavefront6targetE0EEEvSR_,"axG",@progbits,_ZN7rocprim17ROCPRIM_400000_NS6detail17trampoline_kernelINS0_14default_configENS1_32segmented_reduce_config_selectorIN3c108BFloat16EEEZNS1_21segmented_reduce_implIS3_PKS6_PS6_PKlS6_N6hipcub16HIPCUB_304000_NS6detail27convert_result_type_wrapperISA_SB_N2at6native12_GLOBAL__N_19CustomMaxEEEEE10hipError_tPvRmT0_T1_jT2_SS_T4_T3_P12ihipStream_tbEUlT_E_NS1_11comp_targetILNS1_3genE0ELNS1_11target_archE4294967295ELNS1_3gpuE0ELNS1_3repE0EEENS1_30default_config_static_selectorELNS0_4arch9wavefront6targetE0EEEvSR_,comdat
	.globl	_ZN7rocprim17ROCPRIM_400000_NS6detail17trampoline_kernelINS0_14default_configENS1_32segmented_reduce_config_selectorIN3c108BFloat16EEEZNS1_21segmented_reduce_implIS3_PKS6_PS6_PKlS6_N6hipcub16HIPCUB_304000_NS6detail27convert_result_type_wrapperISA_SB_N2at6native12_GLOBAL__N_19CustomMaxEEEEE10hipError_tPvRmT0_T1_jT2_SS_T4_T3_P12ihipStream_tbEUlT_E_NS1_11comp_targetILNS1_3genE0ELNS1_11target_archE4294967295ELNS1_3gpuE0ELNS1_3repE0EEENS1_30default_config_static_selectorELNS0_4arch9wavefront6targetE0EEEvSR_ ; -- Begin function _ZN7rocprim17ROCPRIM_400000_NS6detail17trampoline_kernelINS0_14default_configENS1_32segmented_reduce_config_selectorIN3c108BFloat16EEEZNS1_21segmented_reduce_implIS3_PKS6_PS6_PKlS6_N6hipcub16HIPCUB_304000_NS6detail27convert_result_type_wrapperISA_SB_N2at6native12_GLOBAL__N_19CustomMaxEEEEE10hipError_tPvRmT0_T1_jT2_SS_T4_T3_P12ihipStream_tbEUlT_E_NS1_11comp_targetILNS1_3genE0ELNS1_11target_archE4294967295ELNS1_3gpuE0ELNS1_3repE0EEENS1_30default_config_static_selectorELNS0_4arch9wavefront6targetE0EEEvSR_
	.p2align	8
	.type	_ZN7rocprim17ROCPRIM_400000_NS6detail17trampoline_kernelINS0_14default_configENS1_32segmented_reduce_config_selectorIN3c108BFloat16EEEZNS1_21segmented_reduce_implIS3_PKS6_PS6_PKlS6_N6hipcub16HIPCUB_304000_NS6detail27convert_result_type_wrapperISA_SB_N2at6native12_GLOBAL__N_19CustomMaxEEEEE10hipError_tPvRmT0_T1_jT2_SS_T4_T3_P12ihipStream_tbEUlT_E_NS1_11comp_targetILNS1_3genE0ELNS1_11target_archE4294967295ELNS1_3gpuE0ELNS1_3repE0EEENS1_30default_config_static_selectorELNS0_4arch9wavefront6targetE0EEEvSR_,@function
_ZN7rocprim17ROCPRIM_400000_NS6detail17trampoline_kernelINS0_14default_configENS1_32segmented_reduce_config_selectorIN3c108BFloat16EEEZNS1_21segmented_reduce_implIS3_PKS6_PS6_PKlS6_N6hipcub16HIPCUB_304000_NS6detail27convert_result_type_wrapperISA_SB_N2at6native12_GLOBAL__N_19CustomMaxEEEEE10hipError_tPvRmT0_T1_jT2_SS_T4_T3_P12ihipStream_tbEUlT_E_NS1_11comp_targetILNS1_3genE0ELNS1_11target_archE4294967295ELNS1_3gpuE0ELNS1_3repE0EEENS1_30default_config_static_selectorELNS0_4arch9wavefront6targetE0EEEvSR_: ; @_ZN7rocprim17ROCPRIM_400000_NS6detail17trampoline_kernelINS0_14default_configENS1_32segmented_reduce_config_selectorIN3c108BFloat16EEEZNS1_21segmented_reduce_implIS3_PKS6_PS6_PKlS6_N6hipcub16HIPCUB_304000_NS6detail27convert_result_type_wrapperISA_SB_N2at6native12_GLOBAL__N_19CustomMaxEEEEE10hipError_tPvRmT0_T1_jT2_SS_T4_T3_P12ihipStream_tbEUlT_E_NS1_11comp_targetILNS1_3genE0ELNS1_11target_archE4294967295ELNS1_3gpuE0ELNS1_3repE0EEENS1_30default_config_static_selectorELNS0_4arch9wavefront6targetE0EEEvSR_
; %bb.0:
	.section	.rodata,"a",@progbits
	.p2align	6, 0x0
	.amdhsa_kernel _ZN7rocprim17ROCPRIM_400000_NS6detail17trampoline_kernelINS0_14default_configENS1_32segmented_reduce_config_selectorIN3c108BFloat16EEEZNS1_21segmented_reduce_implIS3_PKS6_PS6_PKlS6_N6hipcub16HIPCUB_304000_NS6detail27convert_result_type_wrapperISA_SB_N2at6native12_GLOBAL__N_19CustomMaxEEEEE10hipError_tPvRmT0_T1_jT2_SS_T4_T3_P12ihipStream_tbEUlT_E_NS1_11comp_targetILNS1_3genE0ELNS1_11target_archE4294967295ELNS1_3gpuE0ELNS1_3repE0EEENS1_30default_config_static_selectorELNS0_4arch9wavefront6targetE0EEEvSR_
		.amdhsa_group_segment_fixed_size 0
		.amdhsa_private_segment_fixed_size 0
		.amdhsa_kernarg_size 48
		.amdhsa_user_sgpr_count 15
		.amdhsa_user_sgpr_dispatch_ptr 0
		.amdhsa_user_sgpr_queue_ptr 0
		.amdhsa_user_sgpr_kernarg_segment_ptr 1
		.amdhsa_user_sgpr_dispatch_id 0
		.amdhsa_user_sgpr_private_segment_size 0
		.amdhsa_wavefront_size32 1
		.amdhsa_uses_dynamic_stack 0
		.amdhsa_enable_private_segment 0
		.amdhsa_system_sgpr_workgroup_id_x 1
		.amdhsa_system_sgpr_workgroup_id_y 0
		.amdhsa_system_sgpr_workgroup_id_z 0
		.amdhsa_system_sgpr_workgroup_info 0
		.amdhsa_system_vgpr_workitem_id 0
		.amdhsa_next_free_vgpr 1
		.amdhsa_next_free_sgpr 1
		.amdhsa_reserve_vcc 0
		.amdhsa_float_round_mode_32 0
		.amdhsa_float_round_mode_16_64 0
		.amdhsa_float_denorm_mode_32 3
		.amdhsa_float_denorm_mode_16_64 3
		.amdhsa_dx10_clamp 1
		.amdhsa_ieee_mode 1
		.amdhsa_fp16_overflow 0
		.amdhsa_workgroup_processor_mode 1
		.amdhsa_memory_ordered 1
		.amdhsa_forward_progress 0
		.amdhsa_shared_vgpr_count 0
		.amdhsa_exception_fp_ieee_invalid_op 0
		.amdhsa_exception_fp_denorm_src 0
		.amdhsa_exception_fp_ieee_div_zero 0
		.amdhsa_exception_fp_ieee_overflow 0
		.amdhsa_exception_fp_ieee_underflow 0
		.amdhsa_exception_fp_ieee_inexact 0
		.amdhsa_exception_int_div_zero 0
	.end_amdhsa_kernel
	.section	.text._ZN7rocprim17ROCPRIM_400000_NS6detail17trampoline_kernelINS0_14default_configENS1_32segmented_reduce_config_selectorIN3c108BFloat16EEEZNS1_21segmented_reduce_implIS3_PKS6_PS6_PKlS6_N6hipcub16HIPCUB_304000_NS6detail27convert_result_type_wrapperISA_SB_N2at6native12_GLOBAL__N_19CustomMaxEEEEE10hipError_tPvRmT0_T1_jT2_SS_T4_T3_P12ihipStream_tbEUlT_E_NS1_11comp_targetILNS1_3genE0ELNS1_11target_archE4294967295ELNS1_3gpuE0ELNS1_3repE0EEENS1_30default_config_static_selectorELNS0_4arch9wavefront6targetE0EEEvSR_,"axG",@progbits,_ZN7rocprim17ROCPRIM_400000_NS6detail17trampoline_kernelINS0_14default_configENS1_32segmented_reduce_config_selectorIN3c108BFloat16EEEZNS1_21segmented_reduce_implIS3_PKS6_PS6_PKlS6_N6hipcub16HIPCUB_304000_NS6detail27convert_result_type_wrapperISA_SB_N2at6native12_GLOBAL__N_19CustomMaxEEEEE10hipError_tPvRmT0_T1_jT2_SS_T4_T3_P12ihipStream_tbEUlT_E_NS1_11comp_targetILNS1_3genE0ELNS1_11target_archE4294967295ELNS1_3gpuE0ELNS1_3repE0EEENS1_30default_config_static_selectorELNS0_4arch9wavefront6targetE0EEEvSR_,comdat
.Lfunc_end247:
	.size	_ZN7rocprim17ROCPRIM_400000_NS6detail17trampoline_kernelINS0_14default_configENS1_32segmented_reduce_config_selectorIN3c108BFloat16EEEZNS1_21segmented_reduce_implIS3_PKS6_PS6_PKlS6_N6hipcub16HIPCUB_304000_NS6detail27convert_result_type_wrapperISA_SB_N2at6native12_GLOBAL__N_19CustomMaxEEEEE10hipError_tPvRmT0_T1_jT2_SS_T4_T3_P12ihipStream_tbEUlT_E_NS1_11comp_targetILNS1_3genE0ELNS1_11target_archE4294967295ELNS1_3gpuE0ELNS1_3repE0EEENS1_30default_config_static_selectorELNS0_4arch9wavefront6targetE0EEEvSR_, .Lfunc_end247-_ZN7rocprim17ROCPRIM_400000_NS6detail17trampoline_kernelINS0_14default_configENS1_32segmented_reduce_config_selectorIN3c108BFloat16EEEZNS1_21segmented_reduce_implIS3_PKS6_PS6_PKlS6_N6hipcub16HIPCUB_304000_NS6detail27convert_result_type_wrapperISA_SB_N2at6native12_GLOBAL__N_19CustomMaxEEEEE10hipError_tPvRmT0_T1_jT2_SS_T4_T3_P12ihipStream_tbEUlT_E_NS1_11comp_targetILNS1_3genE0ELNS1_11target_archE4294967295ELNS1_3gpuE0ELNS1_3repE0EEENS1_30default_config_static_selectorELNS0_4arch9wavefront6targetE0EEEvSR_
                                        ; -- End function
	.section	.AMDGPU.csdata,"",@progbits
; Kernel info:
; codeLenInByte = 0
; NumSgprs: 0
; NumVgprs: 0
; ScratchSize: 0
; MemoryBound: 0
; FloatMode: 240
; IeeeMode: 1
; LDSByteSize: 0 bytes/workgroup (compile time only)
; SGPRBlocks: 0
; VGPRBlocks: 0
; NumSGPRsForWavesPerEU: 1
; NumVGPRsForWavesPerEU: 1
; Occupancy: 16
; WaveLimiterHint : 0
; COMPUTE_PGM_RSRC2:SCRATCH_EN: 0
; COMPUTE_PGM_RSRC2:USER_SGPR: 15
; COMPUTE_PGM_RSRC2:TRAP_HANDLER: 0
; COMPUTE_PGM_RSRC2:TGID_X_EN: 1
; COMPUTE_PGM_RSRC2:TGID_Y_EN: 0
; COMPUTE_PGM_RSRC2:TGID_Z_EN: 0
; COMPUTE_PGM_RSRC2:TIDIG_COMP_CNT: 0
	.section	.text._ZN7rocprim17ROCPRIM_400000_NS6detail17trampoline_kernelINS0_14default_configENS1_32segmented_reduce_config_selectorIN3c108BFloat16EEEZNS1_21segmented_reduce_implIS3_PKS6_PS6_PKlS6_N6hipcub16HIPCUB_304000_NS6detail27convert_result_type_wrapperISA_SB_N2at6native12_GLOBAL__N_19CustomMaxEEEEE10hipError_tPvRmT0_T1_jT2_SS_T4_T3_P12ihipStream_tbEUlT_E_NS1_11comp_targetILNS1_3genE5ELNS1_11target_archE942ELNS1_3gpuE9ELNS1_3repE0EEENS1_30default_config_static_selectorELNS0_4arch9wavefront6targetE0EEEvSR_,"axG",@progbits,_ZN7rocprim17ROCPRIM_400000_NS6detail17trampoline_kernelINS0_14default_configENS1_32segmented_reduce_config_selectorIN3c108BFloat16EEEZNS1_21segmented_reduce_implIS3_PKS6_PS6_PKlS6_N6hipcub16HIPCUB_304000_NS6detail27convert_result_type_wrapperISA_SB_N2at6native12_GLOBAL__N_19CustomMaxEEEEE10hipError_tPvRmT0_T1_jT2_SS_T4_T3_P12ihipStream_tbEUlT_E_NS1_11comp_targetILNS1_3genE5ELNS1_11target_archE942ELNS1_3gpuE9ELNS1_3repE0EEENS1_30default_config_static_selectorELNS0_4arch9wavefront6targetE0EEEvSR_,comdat
	.globl	_ZN7rocprim17ROCPRIM_400000_NS6detail17trampoline_kernelINS0_14default_configENS1_32segmented_reduce_config_selectorIN3c108BFloat16EEEZNS1_21segmented_reduce_implIS3_PKS6_PS6_PKlS6_N6hipcub16HIPCUB_304000_NS6detail27convert_result_type_wrapperISA_SB_N2at6native12_GLOBAL__N_19CustomMaxEEEEE10hipError_tPvRmT0_T1_jT2_SS_T4_T3_P12ihipStream_tbEUlT_E_NS1_11comp_targetILNS1_3genE5ELNS1_11target_archE942ELNS1_3gpuE9ELNS1_3repE0EEENS1_30default_config_static_selectorELNS0_4arch9wavefront6targetE0EEEvSR_ ; -- Begin function _ZN7rocprim17ROCPRIM_400000_NS6detail17trampoline_kernelINS0_14default_configENS1_32segmented_reduce_config_selectorIN3c108BFloat16EEEZNS1_21segmented_reduce_implIS3_PKS6_PS6_PKlS6_N6hipcub16HIPCUB_304000_NS6detail27convert_result_type_wrapperISA_SB_N2at6native12_GLOBAL__N_19CustomMaxEEEEE10hipError_tPvRmT0_T1_jT2_SS_T4_T3_P12ihipStream_tbEUlT_E_NS1_11comp_targetILNS1_3genE5ELNS1_11target_archE942ELNS1_3gpuE9ELNS1_3repE0EEENS1_30default_config_static_selectorELNS0_4arch9wavefront6targetE0EEEvSR_
	.p2align	8
	.type	_ZN7rocprim17ROCPRIM_400000_NS6detail17trampoline_kernelINS0_14default_configENS1_32segmented_reduce_config_selectorIN3c108BFloat16EEEZNS1_21segmented_reduce_implIS3_PKS6_PS6_PKlS6_N6hipcub16HIPCUB_304000_NS6detail27convert_result_type_wrapperISA_SB_N2at6native12_GLOBAL__N_19CustomMaxEEEEE10hipError_tPvRmT0_T1_jT2_SS_T4_T3_P12ihipStream_tbEUlT_E_NS1_11comp_targetILNS1_3genE5ELNS1_11target_archE942ELNS1_3gpuE9ELNS1_3repE0EEENS1_30default_config_static_selectorELNS0_4arch9wavefront6targetE0EEEvSR_,@function
_ZN7rocprim17ROCPRIM_400000_NS6detail17trampoline_kernelINS0_14default_configENS1_32segmented_reduce_config_selectorIN3c108BFloat16EEEZNS1_21segmented_reduce_implIS3_PKS6_PS6_PKlS6_N6hipcub16HIPCUB_304000_NS6detail27convert_result_type_wrapperISA_SB_N2at6native12_GLOBAL__N_19CustomMaxEEEEE10hipError_tPvRmT0_T1_jT2_SS_T4_T3_P12ihipStream_tbEUlT_E_NS1_11comp_targetILNS1_3genE5ELNS1_11target_archE942ELNS1_3gpuE9ELNS1_3repE0EEENS1_30default_config_static_selectorELNS0_4arch9wavefront6targetE0EEEvSR_: ; @_ZN7rocprim17ROCPRIM_400000_NS6detail17trampoline_kernelINS0_14default_configENS1_32segmented_reduce_config_selectorIN3c108BFloat16EEEZNS1_21segmented_reduce_implIS3_PKS6_PS6_PKlS6_N6hipcub16HIPCUB_304000_NS6detail27convert_result_type_wrapperISA_SB_N2at6native12_GLOBAL__N_19CustomMaxEEEEE10hipError_tPvRmT0_T1_jT2_SS_T4_T3_P12ihipStream_tbEUlT_E_NS1_11comp_targetILNS1_3genE5ELNS1_11target_archE942ELNS1_3gpuE9ELNS1_3repE0EEENS1_30default_config_static_selectorELNS0_4arch9wavefront6targetE0EEEvSR_
; %bb.0:
	.section	.rodata,"a",@progbits
	.p2align	6, 0x0
	.amdhsa_kernel _ZN7rocprim17ROCPRIM_400000_NS6detail17trampoline_kernelINS0_14default_configENS1_32segmented_reduce_config_selectorIN3c108BFloat16EEEZNS1_21segmented_reduce_implIS3_PKS6_PS6_PKlS6_N6hipcub16HIPCUB_304000_NS6detail27convert_result_type_wrapperISA_SB_N2at6native12_GLOBAL__N_19CustomMaxEEEEE10hipError_tPvRmT0_T1_jT2_SS_T4_T3_P12ihipStream_tbEUlT_E_NS1_11comp_targetILNS1_3genE5ELNS1_11target_archE942ELNS1_3gpuE9ELNS1_3repE0EEENS1_30default_config_static_selectorELNS0_4arch9wavefront6targetE0EEEvSR_
		.amdhsa_group_segment_fixed_size 0
		.amdhsa_private_segment_fixed_size 0
		.amdhsa_kernarg_size 48
		.amdhsa_user_sgpr_count 15
		.amdhsa_user_sgpr_dispatch_ptr 0
		.amdhsa_user_sgpr_queue_ptr 0
		.amdhsa_user_sgpr_kernarg_segment_ptr 1
		.amdhsa_user_sgpr_dispatch_id 0
		.amdhsa_user_sgpr_private_segment_size 0
		.amdhsa_wavefront_size32 1
		.amdhsa_uses_dynamic_stack 0
		.amdhsa_enable_private_segment 0
		.amdhsa_system_sgpr_workgroup_id_x 1
		.amdhsa_system_sgpr_workgroup_id_y 0
		.amdhsa_system_sgpr_workgroup_id_z 0
		.amdhsa_system_sgpr_workgroup_info 0
		.amdhsa_system_vgpr_workitem_id 0
		.amdhsa_next_free_vgpr 1
		.amdhsa_next_free_sgpr 1
		.amdhsa_reserve_vcc 0
		.amdhsa_float_round_mode_32 0
		.amdhsa_float_round_mode_16_64 0
		.amdhsa_float_denorm_mode_32 3
		.amdhsa_float_denorm_mode_16_64 3
		.amdhsa_dx10_clamp 1
		.amdhsa_ieee_mode 1
		.amdhsa_fp16_overflow 0
		.amdhsa_workgroup_processor_mode 1
		.amdhsa_memory_ordered 1
		.amdhsa_forward_progress 0
		.amdhsa_shared_vgpr_count 0
		.amdhsa_exception_fp_ieee_invalid_op 0
		.amdhsa_exception_fp_denorm_src 0
		.amdhsa_exception_fp_ieee_div_zero 0
		.amdhsa_exception_fp_ieee_overflow 0
		.amdhsa_exception_fp_ieee_underflow 0
		.amdhsa_exception_fp_ieee_inexact 0
		.amdhsa_exception_int_div_zero 0
	.end_amdhsa_kernel
	.section	.text._ZN7rocprim17ROCPRIM_400000_NS6detail17trampoline_kernelINS0_14default_configENS1_32segmented_reduce_config_selectorIN3c108BFloat16EEEZNS1_21segmented_reduce_implIS3_PKS6_PS6_PKlS6_N6hipcub16HIPCUB_304000_NS6detail27convert_result_type_wrapperISA_SB_N2at6native12_GLOBAL__N_19CustomMaxEEEEE10hipError_tPvRmT0_T1_jT2_SS_T4_T3_P12ihipStream_tbEUlT_E_NS1_11comp_targetILNS1_3genE5ELNS1_11target_archE942ELNS1_3gpuE9ELNS1_3repE0EEENS1_30default_config_static_selectorELNS0_4arch9wavefront6targetE0EEEvSR_,"axG",@progbits,_ZN7rocprim17ROCPRIM_400000_NS6detail17trampoline_kernelINS0_14default_configENS1_32segmented_reduce_config_selectorIN3c108BFloat16EEEZNS1_21segmented_reduce_implIS3_PKS6_PS6_PKlS6_N6hipcub16HIPCUB_304000_NS6detail27convert_result_type_wrapperISA_SB_N2at6native12_GLOBAL__N_19CustomMaxEEEEE10hipError_tPvRmT0_T1_jT2_SS_T4_T3_P12ihipStream_tbEUlT_E_NS1_11comp_targetILNS1_3genE5ELNS1_11target_archE942ELNS1_3gpuE9ELNS1_3repE0EEENS1_30default_config_static_selectorELNS0_4arch9wavefront6targetE0EEEvSR_,comdat
.Lfunc_end248:
	.size	_ZN7rocprim17ROCPRIM_400000_NS6detail17trampoline_kernelINS0_14default_configENS1_32segmented_reduce_config_selectorIN3c108BFloat16EEEZNS1_21segmented_reduce_implIS3_PKS6_PS6_PKlS6_N6hipcub16HIPCUB_304000_NS6detail27convert_result_type_wrapperISA_SB_N2at6native12_GLOBAL__N_19CustomMaxEEEEE10hipError_tPvRmT0_T1_jT2_SS_T4_T3_P12ihipStream_tbEUlT_E_NS1_11comp_targetILNS1_3genE5ELNS1_11target_archE942ELNS1_3gpuE9ELNS1_3repE0EEENS1_30default_config_static_selectorELNS0_4arch9wavefront6targetE0EEEvSR_, .Lfunc_end248-_ZN7rocprim17ROCPRIM_400000_NS6detail17trampoline_kernelINS0_14default_configENS1_32segmented_reduce_config_selectorIN3c108BFloat16EEEZNS1_21segmented_reduce_implIS3_PKS6_PS6_PKlS6_N6hipcub16HIPCUB_304000_NS6detail27convert_result_type_wrapperISA_SB_N2at6native12_GLOBAL__N_19CustomMaxEEEEE10hipError_tPvRmT0_T1_jT2_SS_T4_T3_P12ihipStream_tbEUlT_E_NS1_11comp_targetILNS1_3genE5ELNS1_11target_archE942ELNS1_3gpuE9ELNS1_3repE0EEENS1_30default_config_static_selectorELNS0_4arch9wavefront6targetE0EEEvSR_
                                        ; -- End function
	.section	.AMDGPU.csdata,"",@progbits
; Kernel info:
; codeLenInByte = 0
; NumSgprs: 0
; NumVgprs: 0
; ScratchSize: 0
; MemoryBound: 0
; FloatMode: 240
; IeeeMode: 1
; LDSByteSize: 0 bytes/workgroup (compile time only)
; SGPRBlocks: 0
; VGPRBlocks: 0
; NumSGPRsForWavesPerEU: 1
; NumVGPRsForWavesPerEU: 1
; Occupancy: 16
; WaveLimiterHint : 0
; COMPUTE_PGM_RSRC2:SCRATCH_EN: 0
; COMPUTE_PGM_RSRC2:USER_SGPR: 15
; COMPUTE_PGM_RSRC2:TRAP_HANDLER: 0
; COMPUTE_PGM_RSRC2:TGID_X_EN: 1
; COMPUTE_PGM_RSRC2:TGID_Y_EN: 0
; COMPUTE_PGM_RSRC2:TGID_Z_EN: 0
; COMPUTE_PGM_RSRC2:TIDIG_COMP_CNT: 0
	.section	.text._ZN7rocprim17ROCPRIM_400000_NS6detail17trampoline_kernelINS0_14default_configENS1_32segmented_reduce_config_selectorIN3c108BFloat16EEEZNS1_21segmented_reduce_implIS3_PKS6_PS6_PKlS6_N6hipcub16HIPCUB_304000_NS6detail27convert_result_type_wrapperISA_SB_N2at6native12_GLOBAL__N_19CustomMaxEEEEE10hipError_tPvRmT0_T1_jT2_SS_T4_T3_P12ihipStream_tbEUlT_E_NS1_11comp_targetILNS1_3genE10ELNS1_11target_archE1201ELNS1_3gpuE5ELNS1_3repE0EEENS1_30default_config_static_selectorELNS0_4arch9wavefront6targetE0EEEvSR_,"axG",@progbits,_ZN7rocprim17ROCPRIM_400000_NS6detail17trampoline_kernelINS0_14default_configENS1_32segmented_reduce_config_selectorIN3c108BFloat16EEEZNS1_21segmented_reduce_implIS3_PKS6_PS6_PKlS6_N6hipcub16HIPCUB_304000_NS6detail27convert_result_type_wrapperISA_SB_N2at6native12_GLOBAL__N_19CustomMaxEEEEE10hipError_tPvRmT0_T1_jT2_SS_T4_T3_P12ihipStream_tbEUlT_E_NS1_11comp_targetILNS1_3genE10ELNS1_11target_archE1201ELNS1_3gpuE5ELNS1_3repE0EEENS1_30default_config_static_selectorELNS0_4arch9wavefront6targetE0EEEvSR_,comdat
	.globl	_ZN7rocprim17ROCPRIM_400000_NS6detail17trampoline_kernelINS0_14default_configENS1_32segmented_reduce_config_selectorIN3c108BFloat16EEEZNS1_21segmented_reduce_implIS3_PKS6_PS6_PKlS6_N6hipcub16HIPCUB_304000_NS6detail27convert_result_type_wrapperISA_SB_N2at6native12_GLOBAL__N_19CustomMaxEEEEE10hipError_tPvRmT0_T1_jT2_SS_T4_T3_P12ihipStream_tbEUlT_E_NS1_11comp_targetILNS1_3genE10ELNS1_11target_archE1201ELNS1_3gpuE5ELNS1_3repE0EEENS1_30default_config_static_selectorELNS0_4arch9wavefront6targetE0EEEvSR_ ; -- Begin function _ZN7rocprim17ROCPRIM_400000_NS6detail17trampoline_kernelINS0_14default_configENS1_32segmented_reduce_config_selectorIN3c108BFloat16EEEZNS1_21segmented_reduce_implIS3_PKS6_PS6_PKlS6_N6hipcub16HIPCUB_304000_NS6detail27convert_result_type_wrapperISA_SB_N2at6native12_GLOBAL__N_19CustomMaxEEEEE10hipError_tPvRmT0_T1_jT2_SS_T4_T3_P12ihipStream_tbEUlT_E_NS1_11comp_targetILNS1_3genE10ELNS1_11target_archE1201ELNS1_3gpuE5ELNS1_3repE0EEENS1_30default_config_static_selectorELNS0_4arch9wavefront6targetE0EEEvSR_
	.p2align	8
	.type	_ZN7rocprim17ROCPRIM_400000_NS6detail17trampoline_kernelINS0_14default_configENS1_32segmented_reduce_config_selectorIN3c108BFloat16EEEZNS1_21segmented_reduce_implIS3_PKS6_PS6_PKlS6_N6hipcub16HIPCUB_304000_NS6detail27convert_result_type_wrapperISA_SB_N2at6native12_GLOBAL__N_19CustomMaxEEEEE10hipError_tPvRmT0_T1_jT2_SS_T4_T3_P12ihipStream_tbEUlT_E_NS1_11comp_targetILNS1_3genE10ELNS1_11target_archE1201ELNS1_3gpuE5ELNS1_3repE0EEENS1_30default_config_static_selectorELNS0_4arch9wavefront6targetE0EEEvSR_,@function
_ZN7rocprim17ROCPRIM_400000_NS6detail17trampoline_kernelINS0_14default_configENS1_32segmented_reduce_config_selectorIN3c108BFloat16EEEZNS1_21segmented_reduce_implIS3_PKS6_PS6_PKlS6_N6hipcub16HIPCUB_304000_NS6detail27convert_result_type_wrapperISA_SB_N2at6native12_GLOBAL__N_19CustomMaxEEEEE10hipError_tPvRmT0_T1_jT2_SS_T4_T3_P12ihipStream_tbEUlT_E_NS1_11comp_targetILNS1_3genE10ELNS1_11target_archE1201ELNS1_3gpuE5ELNS1_3repE0EEENS1_30default_config_static_selectorELNS0_4arch9wavefront6targetE0EEEvSR_: ; @_ZN7rocprim17ROCPRIM_400000_NS6detail17trampoline_kernelINS0_14default_configENS1_32segmented_reduce_config_selectorIN3c108BFloat16EEEZNS1_21segmented_reduce_implIS3_PKS6_PS6_PKlS6_N6hipcub16HIPCUB_304000_NS6detail27convert_result_type_wrapperISA_SB_N2at6native12_GLOBAL__N_19CustomMaxEEEEE10hipError_tPvRmT0_T1_jT2_SS_T4_T3_P12ihipStream_tbEUlT_E_NS1_11comp_targetILNS1_3genE10ELNS1_11target_archE1201ELNS1_3gpuE5ELNS1_3repE0EEENS1_30default_config_static_selectorELNS0_4arch9wavefront6targetE0EEEvSR_
; %bb.0:
	.section	.rodata,"a",@progbits
	.p2align	6, 0x0
	.amdhsa_kernel _ZN7rocprim17ROCPRIM_400000_NS6detail17trampoline_kernelINS0_14default_configENS1_32segmented_reduce_config_selectorIN3c108BFloat16EEEZNS1_21segmented_reduce_implIS3_PKS6_PS6_PKlS6_N6hipcub16HIPCUB_304000_NS6detail27convert_result_type_wrapperISA_SB_N2at6native12_GLOBAL__N_19CustomMaxEEEEE10hipError_tPvRmT0_T1_jT2_SS_T4_T3_P12ihipStream_tbEUlT_E_NS1_11comp_targetILNS1_3genE10ELNS1_11target_archE1201ELNS1_3gpuE5ELNS1_3repE0EEENS1_30default_config_static_selectorELNS0_4arch9wavefront6targetE0EEEvSR_
		.amdhsa_group_segment_fixed_size 0
		.amdhsa_private_segment_fixed_size 0
		.amdhsa_kernarg_size 48
		.amdhsa_user_sgpr_count 15
		.amdhsa_user_sgpr_dispatch_ptr 0
		.amdhsa_user_sgpr_queue_ptr 0
		.amdhsa_user_sgpr_kernarg_segment_ptr 1
		.amdhsa_user_sgpr_dispatch_id 0
		.amdhsa_user_sgpr_private_segment_size 0
		.amdhsa_wavefront_size32 1
		.amdhsa_uses_dynamic_stack 0
		.amdhsa_enable_private_segment 0
		.amdhsa_system_sgpr_workgroup_id_x 1
		.amdhsa_system_sgpr_workgroup_id_y 0
		.amdhsa_system_sgpr_workgroup_id_z 0
		.amdhsa_system_sgpr_workgroup_info 0
		.amdhsa_system_vgpr_workitem_id 0
		.amdhsa_next_free_vgpr 1
		.amdhsa_next_free_sgpr 1
		.amdhsa_reserve_vcc 0
		.amdhsa_float_round_mode_32 0
		.amdhsa_float_round_mode_16_64 0
		.amdhsa_float_denorm_mode_32 3
		.amdhsa_float_denorm_mode_16_64 3
		.amdhsa_dx10_clamp 1
		.amdhsa_ieee_mode 1
		.amdhsa_fp16_overflow 0
		.amdhsa_workgroup_processor_mode 1
		.amdhsa_memory_ordered 1
		.amdhsa_forward_progress 0
		.amdhsa_shared_vgpr_count 0
		.amdhsa_exception_fp_ieee_invalid_op 0
		.amdhsa_exception_fp_denorm_src 0
		.amdhsa_exception_fp_ieee_div_zero 0
		.amdhsa_exception_fp_ieee_overflow 0
		.amdhsa_exception_fp_ieee_underflow 0
		.amdhsa_exception_fp_ieee_inexact 0
		.amdhsa_exception_int_div_zero 0
	.end_amdhsa_kernel
	.section	.text._ZN7rocprim17ROCPRIM_400000_NS6detail17trampoline_kernelINS0_14default_configENS1_32segmented_reduce_config_selectorIN3c108BFloat16EEEZNS1_21segmented_reduce_implIS3_PKS6_PS6_PKlS6_N6hipcub16HIPCUB_304000_NS6detail27convert_result_type_wrapperISA_SB_N2at6native12_GLOBAL__N_19CustomMaxEEEEE10hipError_tPvRmT0_T1_jT2_SS_T4_T3_P12ihipStream_tbEUlT_E_NS1_11comp_targetILNS1_3genE10ELNS1_11target_archE1201ELNS1_3gpuE5ELNS1_3repE0EEENS1_30default_config_static_selectorELNS0_4arch9wavefront6targetE0EEEvSR_,"axG",@progbits,_ZN7rocprim17ROCPRIM_400000_NS6detail17trampoline_kernelINS0_14default_configENS1_32segmented_reduce_config_selectorIN3c108BFloat16EEEZNS1_21segmented_reduce_implIS3_PKS6_PS6_PKlS6_N6hipcub16HIPCUB_304000_NS6detail27convert_result_type_wrapperISA_SB_N2at6native12_GLOBAL__N_19CustomMaxEEEEE10hipError_tPvRmT0_T1_jT2_SS_T4_T3_P12ihipStream_tbEUlT_E_NS1_11comp_targetILNS1_3genE10ELNS1_11target_archE1201ELNS1_3gpuE5ELNS1_3repE0EEENS1_30default_config_static_selectorELNS0_4arch9wavefront6targetE0EEEvSR_,comdat
.Lfunc_end249:
	.size	_ZN7rocprim17ROCPRIM_400000_NS6detail17trampoline_kernelINS0_14default_configENS1_32segmented_reduce_config_selectorIN3c108BFloat16EEEZNS1_21segmented_reduce_implIS3_PKS6_PS6_PKlS6_N6hipcub16HIPCUB_304000_NS6detail27convert_result_type_wrapperISA_SB_N2at6native12_GLOBAL__N_19CustomMaxEEEEE10hipError_tPvRmT0_T1_jT2_SS_T4_T3_P12ihipStream_tbEUlT_E_NS1_11comp_targetILNS1_3genE10ELNS1_11target_archE1201ELNS1_3gpuE5ELNS1_3repE0EEENS1_30default_config_static_selectorELNS0_4arch9wavefront6targetE0EEEvSR_, .Lfunc_end249-_ZN7rocprim17ROCPRIM_400000_NS6detail17trampoline_kernelINS0_14default_configENS1_32segmented_reduce_config_selectorIN3c108BFloat16EEEZNS1_21segmented_reduce_implIS3_PKS6_PS6_PKlS6_N6hipcub16HIPCUB_304000_NS6detail27convert_result_type_wrapperISA_SB_N2at6native12_GLOBAL__N_19CustomMaxEEEEE10hipError_tPvRmT0_T1_jT2_SS_T4_T3_P12ihipStream_tbEUlT_E_NS1_11comp_targetILNS1_3genE10ELNS1_11target_archE1201ELNS1_3gpuE5ELNS1_3repE0EEENS1_30default_config_static_selectorELNS0_4arch9wavefront6targetE0EEEvSR_
                                        ; -- End function
	.section	.AMDGPU.csdata,"",@progbits
; Kernel info:
; codeLenInByte = 0
; NumSgprs: 0
; NumVgprs: 0
; ScratchSize: 0
; MemoryBound: 0
; FloatMode: 240
; IeeeMode: 1
; LDSByteSize: 0 bytes/workgroup (compile time only)
; SGPRBlocks: 0
; VGPRBlocks: 0
; NumSGPRsForWavesPerEU: 1
; NumVGPRsForWavesPerEU: 1
; Occupancy: 16
; WaveLimiterHint : 0
; COMPUTE_PGM_RSRC2:SCRATCH_EN: 0
; COMPUTE_PGM_RSRC2:USER_SGPR: 15
; COMPUTE_PGM_RSRC2:TRAP_HANDLER: 0
; COMPUTE_PGM_RSRC2:TGID_X_EN: 1
; COMPUTE_PGM_RSRC2:TGID_Y_EN: 0
; COMPUTE_PGM_RSRC2:TGID_Z_EN: 0
; COMPUTE_PGM_RSRC2:TIDIG_COMP_CNT: 0
	.section	.text._ZN7rocprim17ROCPRIM_400000_NS6detail17trampoline_kernelINS0_14default_configENS1_32segmented_reduce_config_selectorIN3c108BFloat16EEEZNS1_21segmented_reduce_implIS3_PKS6_PS6_PKlS6_N6hipcub16HIPCUB_304000_NS6detail27convert_result_type_wrapperISA_SB_N2at6native12_GLOBAL__N_19CustomMaxEEEEE10hipError_tPvRmT0_T1_jT2_SS_T4_T3_P12ihipStream_tbEUlT_E_NS1_11comp_targetILNS1_3genE4ELNS1_11target_archE910ELNS1_3gpuE8ELNS1_3repE0EEENS1_30default_config_static_selectorELNS0_4arch9wavefront6targetE0EEEvSR_,"axG",@progbits,_ZN7rocprim17ROCPRIM_400000_NS6detail17trampoline_kernelINS0_14default_configENS1_32segmented_reduce_config_selectorIN3c108BFloat16EEEZNS1_21segmented_reduce_implIS3_PKS6_PS6_PKlS6_N6hipcub16HIPCUB_304000_NS6detail27convert_result_type_wrapperISA_SB_N2at6native12_GLOBAL__N_19CustomMaxEEEEE10hipError_tPvRmT0_T1_jT2_SS_T4_T3_P12ihipStream_tbEUlT_E_NS1_11comp_targetILNS1_3genE4ELNS1_11target_archE910ELNS1_3gpuE8ELNS1_3repE0EEENS1_30default_config_static_selectorELNS0_4arch9wavefront6targetE0EEEvSR_,comdat
	.globl	_ZN7rocprim17ROCPRIM_400000_NS6detail17trampoline_kernelINS0_14default_configENS1_32segmented_reduce_config_selectorIN3c108BFloat16EEEZNS1_21segmented_reduce_implIS3_PKS6_PS6_PKlS6_N6hipcub16HIPCUB_304000_NS6detail27convert_result_type_wrapperISA_SB_N2at6native12_GLOBAL__N_19CustomMaxEEEEE10hipError_tPvRmT0_T1_jT2_SS_T4_T3_P12ihipStream_tbEUlT_E_NS1_11comp_targetILNS1_3genE4ELNS1_11target_archE910ELNS1_3gpuE8ELNS1_3repE0EEENS1_30default_config_static_selectorELNS0_4arch9wavefront6targetE0EEEvSR_ ; -- Begin function _ZN7rocprim17ROCPRIM_400000_NS6detail17trampoline_kernelINS0_14default_configENS1_32segmented_reduce_config_selectorIN3c108BFloat16EEEZNS1_21segmented_reduce_implIS3_PKS6_PS6_PKlS6_N6hipcub16HIPCUB_304000_NS6detail27convert_result_type_wrapperISA_SB_N2at6native12_GLOBAL__N_19CustomMaxEEEEE10hipError_tPvRmT0_T1_jT2_SS_T4_T3_P12ihipStream_tbEUlT_E_NS1_11comp_targetILNS1_3genE4ELNS1_11target_archE910ELNS1_3gpuE8ELNS1_3repE0EEENS1_30default_config_static_selectorELNS0_4arch9wavefront6targetE0EEEvSR_
	.p2align	8
	.type	_ZN7rocprim17ROCPRIM_400000_NS6detail17trampoline_kernelINS0_14default_configENS1_32segmented_reduce_config_selectorIN3c108BFloat16EEEZNS1_21segmented_reduce_implIS3_PKS6_PS6_PKlS6_N6hipcub16HIPCUB_304000_NS6detail27convert_result_type_wrapperISA_SB_N2at6native12_GLOBAL__N_19CustomMaxEEEEE10hipError_tPvRmT0_T1_jT2_SS_T4_T3_P12ihipStream_tbEUlT_E_NS1_11comp_targetILNS1_3genE4ELNS1_11target_archE910ELNS1_3gpuE8ELNS1_3repE0EEENS1_30default_config_static_selectorELNS0_4arch9wavefront6targetE0EEEvSR_,@function
_ZN7rocprim17ROCPRIM_400000_NS6detail17trampoline_kernelINS0_14default_configENS1_32segmented_reduce_config_selectorIN3c108BFloat16EEEZNS1_21segmented_reduce_implIS3_PKS6_PS6_PKlS6_N6hipcub16HIPCUB_304000_NS6detail27convert_result_type_wrapperISA_SB_N2at6native12_GLOBAL__N_19CustomMaxEEEEE10hipError_tPvRmT0_T1_jT2_SS_T4_T3_P12ihipStream_tbEUlT_E_NS1_11comp_targetILNS1_3genE4ELNS1_11target_archE910ELNS1_3gpuE8ELNS1_3repE0EEENS1_30default_config_static_selectorELNS0_4arch9wavefront6targetE0EEEvSR_: ; @_ZN7rocprim17ROCPRIM_400000_NS6detail17trampoline_kernelINS0_14default_configENS1_32segmented_reduce_config_selectorIN3c108BFloat16EEEZNS1_21segmented_reduce_implIS3_PKS6_PS6_PKlS6_N6hipcub16HIPCUB_304000_NS6detail27convert_result_type_wrapperISA_SB_N2at6native12_GLOBAL__N_19CustomMaxEEEEE10hipError_tPvRmT0_T1_jT2_SS_T4_T3_P12ihipStream_tbEUlT_E_NS1_11comp_targetILNS1_3genE4ELNS1_11target_archE910ELNS1_3gpuE8ELNS1_3repE0EEENS1_30default_config_static_selectorELNS0_4arch9wavefront6targetE0EEEvSR_
; %bb.0:
	.section	.rodata,"a",@progbits
	.p2align	6, 0x0
	.amdhsa_kernel _ZN7rocprim17ROCPRIM_400000_NS6detail17trampoline_kernelINS0_14default_configENS1_32segmented_reduce_config_selectorIN3c108BFloat16EEEZNS1_21segmented_reduce_implIS3_PKS6_PS6_PKlS6_N6hipcub16HIPCUB_304000_NS6detail27convert_result_type_wrapperISA_SB_N2at6native12_GLOBAL__N_19CustomMaxEEEEE10hipError_tPvRmT0_T1_jT2_SS_T4_T3_P12ihipStream_tbEUlT_E_NS1_11comp_targetILNS1_3genE4ELNS1_11target_archE910ELNS1_3gpuE8ELNS1_3repE0EEENS1_30default_config_static_selectorELNS0_4arch9wavefront6targetE0EEEvSR_
		.amdhsa_group_segment_fixed_size 0
		.amdhsa_private_segment_fixed_size 0
		.amdhsa_kernarg_size 48
		.amdhsa_user_sgpr_count 15
		.amdhsa_user_sgpr_dispatch_ptr 0
		.amdhsa_user_sgpr_queue_ptr 0
		.amdhsa_user_sgpr_kernarg_segment_ptr 1
		.amdhsa_user_sgpr_dispatch_id 0
		.amdhsa_user_sgpr_private_segment_size 0
		.amdhsa_wavefront_size32 1
		.amdhsa_uses_dynamic_stack 0
		.amdhsa_enable_private_segment 0
		.amdhsa_system_sgpr_workgroup_id_x 1
		.amdhsa_system_sgpr_workgroup_id_y 0
		.amdhsa_system_sgpr_workgroup_id_z 0
		.amdhsa_system_sgpr_workgroup_info 0
		.amdhsa_system_vgpr_workitem_id 0
		.amdhsa_next_free_vgpr 1
		.amdhsa_next_free_sgpr 1
		.amdhsa_reserve_vcc 0
		.amdhsa_float_round_mode_32 0
		.amdhsa_float_round_mode_16_64 0
		.amdhsa_float_denorm_mode_32 3
		.amdhsa_float_denorm_mode_16_64 3
		.amdhsa_dx10_clamp 1
		.amdhsa_ieee_mode 1
		.amdhsa_fp16_overflow 0
		.amdhsa_workgroup_processor_mode 1
		.amdhsa_memory_ordered 1
		.amdhsa_forward_progress 0
		.amdhsa_shared_vgpr_count 0
		.amdhsa_exception_fp_ieee_invalid_op 0
		.amdhsa_exception_fp_denorm_src 0
		.amdhsa_exception_fp_ieee_div_zero 0
		.amdhsa_exception_fp_ieee_overflow 0
		.amdhsa_exception_fp_ieee_underflow 0
		.amdhsa_exception_fp_ieee_inexact 0
		.amdhsa_exception_int_div_zero 0
	.end_amdhsa_kernel
	.section	.text._ZN7rocprim17ROCPRIM_400000_NS6detail17trampoline_kernelINS0_14default_configENS1_32segmented_reduce_config_selectorIN3c108BFloat16EEEZNS1_21segmented_reduce_implIS3_PKS6_PS6_PKlS6_N6hipcub16HIPCUB_304000_NS6detail27convert_result_type_wrapperISA_SB_N2at6native12_GLOBAL__N_19CustomMaxEEEEE10hipError_tPvRmT0_T1_jT2_SS_T4_T3_P12ihipStream_tbEUlT_E_NS1_11comp_targetILNS1_3genE4ELNS1_11target_archE910ELNS1_3gpuE8ELNS1_3repE0EEENS1_30default_config_static_selectorELNS0_4arch9wavefront6targetE0EEEvSR_,"axG",@progbits,_ZN7rocprim17ROCPRIM_400000_NS6detail17trampoline_kernelINS0_14default_configENS1_32segmented_reduce_config_selectorIN3c108BFloat16EEEZNS1_21segmented_reduce_implIS3_PKS6_PS6_PKlS6_N6hipcub16HIPCUB_304000_NS6detail27convert_result_type_wrapperISA_SB_N2at6native12_GLOBAL__N_19CustomMaxEEEEE10hipError_tPvRmT0_T1_jT2_SS_T4_T3_P12ihipStream_tbEUlT_E_NS1_11comp_targetILNS1_3genE4ELNS1_11target_archE910ELNS1_3gpuE8ELNS1_3repE0EEENS1_30default_config_static_selectorELNS0_4arch9wavefront6targetE0EEEvSR_,comdat
.Lfunc_end250:
	.size	_ZN7rocprim17ROCPRIM_400000_NS6detail17trampoline_kernelINS0_14default_configENS1_32segmented_reduce_config_selectorIN3c108BFloat16EEEZNS1_21segmented_reduce_implIS3_PKS6_PS6_PKlS6_N6hipcub16HIPCUB_304000_NS6detail27convert_result_type_wrapperISA_SB_N2at6native12_GLOBAL__N_19CustomMaxEEEEE10hipError_tPvRmT0_T1_jT2_SS_T4_T3_P12ihipStream_tbEUlT_E_NS1_11comp_targetILNS1_3genE4ELNS1_11target_archE910ELNS1_3gpuE8ELNS1_3repE0EEENS1_30default_config_static_selectorELNS0_4arch9wavefront6targetE0EEEvSR_, .Lfunc_end250-_ZN7rocprim17ROCPRIM_400000_NS6detail17trampoline_kernelINS0_14default_configENS1_32segmented_reduce_config_selectorIN3c108BFloat16EEEZNS1_21segmented_reduce_implIS3_PKS6_PS6_PKlS6_N6hipcub16HIPCUB_304000_NS6detail27convert_result_type_wrapperISA_SB_N2at6native12_GLOBAL__N_19CustomMaxEEEEE10hipError_tPvRmT0_T1_jT2_SS_T4_T3_P12ihipStream_tbEUlT_E_NS1_11comp_targetILNS1_3genE4ELNS1_11target_archE910ELNS1_3gpuE8ELNS1_3repE0EEENS1_30default_config_static_selectorELNS0_4arch9wavefront6targetE0EEEvSR_
                                        ; -- End function
	.section	.AMDGPU.csdata,"",@progbits
; Kernel info:
; codeLenInByte = 0
; NumSgprs: 0
; NumVgprs: 0
; ScratchSize: 0
; MemoryBound: 0
; FloatMode: 240
; IeeeMode: 1
; LDSByteSize: 0 bytes/workgroup (compile time only)
; SGPRBlocks: 0
; VGPRBlocks: 0
; NumSGPRsForWavesPerEU: 1
; NumVGPRsForWavesPerEU: 1
; Occupancy: 16
; WaveLimiterHint : 0
; COMPUTE_PGM_RSRC2:SCRATCH_EN: 0
; COMPUTE_PGM_RSRC2:USER_SGPR: 15
; COMPUTE_PGM_RSRC2:TRAP_HANDLER: 0
; COMPUTE_PGM_RSRC2:TGID_X_EN: 1
; COMPUTE_PGM_RSRC2:TGID_Y_EN: 0
; COMPUTE_PGM_RSRC2:TGID_Z_EN: 0
; COMPUTE_PGM_RSRC2:TIDIG_COMP_CNT: 0
	.section	.text._ZN7rocprim17ROCPRIM_400000_NS6detail17trampoline_kernelINS0_14default_configENS1_32segmented_reduce_config_selectorIN3c108BFloat16EEEZNS1_21segmented_reduce_implIS3_PKS6_PS6_PKlS6_N6hipcub16HIPCUB_304000_NS6detail27convert_result_type_wrapperISA_SB_N2at6native12_GLOBAL__N_19CustomMaxEEEEE10hipError_tPvRmT0_T1_jT2_SS_T4_T3_P12ihipStream_tbEUlT_E_NS1_11comp_targetILNS1_3genE3ELNS1_11target_archE908ELNS1_3gpuE7ELNS1_3repE0EEENS1_30default_config_static_selectorELNS0_4arch9wavefront6targetE0EEEvSR_,"axG",@progbits,_ZN7rocprim17ROCPRIM_400000_NS6detail17trampoline_kernelINS0_14default_configENS1_32segmented_reduce_config_selectorIN3c108BFloat16EEEZNS1_21segmented_reduce_implIS3_PKS6_PS6_PKlS6_N6hipcub16HIPCUB_304000_NS6detail27convert_result_type_wrapperISA_SB_N2at6native12_GLOBAL__N_19CustomMaxEEEEE10hipError_tPvRmT0_T1_jT2_SS_T4_T3_P12ihipStream_tbEUlT_E_NS1_11comp_targetILNS1_3genE3ELNS1_11target_archE908ELNS1_3gpuE7ELNS1_3repE0EEENS1_30default_config_static_selectorELNS0_4arch9wavefront6targetE0EEEvSR_,comdat
	.globl	_ZN7rocprim17ROCPRIM_400000_NS6detail17trampoline_kernelINS0_14default_configENS1_32segmented_reduce_config_selectorIN3c108BFloat16EEEZNS1_21segmented_reduce_implIS3_PKS6_PS6_PKlS6_N6hipcub16HIPCUB_304000_NS6detail27convert_result_type_wrapperISA_SB_N2at6native12_GLOBAL__N_19CustomMaxEEEEE10hipError_tPvRmT0_T1_jT2_SS_T4_T3_P12ihipStream_tbEUlT_E_NS1_11comp_targetILNS1_3genE3ELNS1_11target_archE908ELNS1_3gpuE7ELNS1_3repE0EEENS1_30default_config_static_selectorELNS0_4arch9wavefront6targetE0EEEvSR_ ; -- Begin function _ZN7rocprim17ROCPRIM_400000_NS6detail17trampoline_kernelINS0_14default_configENS1_32segmented_reduce_config_selectorIN3c108BFloat16EEEZNS1_21segmented_reduce_implIS3_PKS6_PS6_PKlS6_N6hipcub16HIPCUB_304000_NS6detail27convert_result_type_wrapperISA_SB_N2at6native12_GLOBAL__N_19CustomMaxEEEEE10hipError_tPvRmT0_T1_jT2_SS_T4_T3_P12ihipStream_tbEUlT_E_NS1_11comp_targetILNS1_3genE3ELNS1_11target_archE908ELNS1_3gpuE7ELNS1_3repE0EEENS1_30default_config_static_selectorELNS0_4arch9wavefront6targetE0EEEvSR_
	.p2align	8
	.type	_ZN7rocprim17ROCPRIM_400000_NS6detail17trampoline_kernelINS0_14default_configENS1_32segmented_reduce_config_selectorIN3c108BFloat16EEEZNS1_21segmented_reduce_implIS3_PKS6_PS6_PKlS6_N6hipcub16HIPCUB_304000_NS6detail27convert_result_type_wrapperISA_SB_N2at6native12_GLOBAL__N_19CustomMaxEEEEE10hipError_tPvRmT0_T1_jT2_SS_T4_T3_P12ihipStream_tbEUlT_E_NS1_11comp_targetILNS1_3genE3ELNS1_11target_archE908ELNS1_3gpuE7ELNS1_3repE0EEENS1_30default_config_static_selectorELNS0_4arch9wavefront6targetE0EEEvSR_,@function
_ZN7rocprim17ROCPRIM_400000_NS6detail17trampoline_kernelINS0_14default_configENS1_32segmented_reduce_config_selectorIN3c108BFloat16EEEZNS1_21segmented_reduce_implIS3_PKS6_PS6_PKlS6_N6hipcub16HIPCUB_304000_NS6detail27convert_result_type_wrapperISA_SB_N2at6native12_GLOBAL__N_19CustomMaxEEEEE10hipError_tPvRmT0_T1_jT2_SS_T4_T3_P12ihipStream_tbEUlT_E_NS1_11comp_targetILNS1_3genE3ELNS1_11target_archE908ELNS1_3gpuE7ELNS1_3repE0EEENS1_30default_config_static_selectorELNS0_4arch9wavefront6targetE0EEEvSR_: ; @_ZN7rocprim17ROCPRIM_400000_NS6detail17trampoline_kernelINS0_14default_configENS1_32segmented_reduce_config_selectorIN3c108BFloat16EEEZNS1_21segmented_reduce_implIS3_PKS6_PS6_PKlS6_N6hipcub16HIPCUB_304000_NS6detail27convert_result_type_wrapperISA_SB_N2at6native12_GLOBAL__N_19CustomMaxEEEEE10hipError_tPvRmT0_T1_jT2_SS_T4_T3_P12ihipStream_tbEUlT_E_NS1_11comp_targetILNS1_3genE3ELNS1_11target_archE908ELNS1_3gpuE7ELNS1_3repE0EEENS1_30default_config_static_selectorELNS0_4arch9wavefront6targetE0EEEvSR_
; %bb.0:
	.section	.rodata,"a",@progbits
	.p2align	6, 0x0
	.amdhsa_kernel _ZN7rocprim17ROCPRIM_400000_NS6detail17trampoline_kernelINS0_14default_configENS1_32segmented_reduce_config_selectorIN3c108BFloat16EEEZNS1_21segmented_reduce_implIS3_PKS6_PS6_PKlS6_N6hipcub16HIPCUB_304000_NS6detail27convert_result_type_wrapperISA_SB_N2at6native12_GLOBAL__N_19CustomMaxEEEEE10hipError_tPvRmT0_T1_jT2_SS_T4_T3_P12ihipStream_tbEUlT_E_NS1_11comp_targetILNS1_3genE3ELNS1_11target_archE908ELNS1_3gpuE7ELNS1_3repE0EEENS1_30default_config_static_selectorELNS0_4arch9wavefront6targetE0EEEvSR_
		.amdhsa_group_segment_fixed_size 0
		.amdhsa_private_segment_fixed_size 0
		.amdhsa_kernarg_size 48
		.amdhsa_user_sgpr_count 15
		.amdhsa_user_sgpr_dispatch_ptr 0
		.amdhsa_user_sgpr_queue_ptr 0
		.amdhsa_user_sgpr_kernarg_segment_ptr 1
		.amdhsa_user_sgpr_dispatch_id 0
		.amdhsa_user_sgpr_private_segment_size 0
		.amdhsa_wavefront_size32 1
		.amdhsa_uses_dynamic_stack 0
		.amdhsa_enable_private_segment 0
		.amdhsa_system_sgpr_workgroup_id_x 1
		.amdhsa_system_sgpr_workgroup_id_y 0
		.amdhsa_system_sgpr_workgroup_id_z 0
		.amdhsa_system_sgpr_workgroup_info 0
		.amdhsa_system_vgpr_workitem_id 0
		.amdhsa_next_free_vgpr 1
		.amdhsa_next_free_sgpr 1
		.amdhsa_reserve_vcc 0
		.amdhsa_float_round_mode_32 0
		.amdhsa_float_round_mode_16_64 0
		.amdhsa_float_denorm_mode_32 3
		.amdhsa_float_denorm_mode_16_64 3
		.amdhsa_dx10_clamp 1
		.amdhsa_ieee_mode 1
		.amdhsa_fp16_overflow 0
		.amdhsa_workgroup_processor_mode 1
		.amdhsa_memory_ordered 1
		.amdhsa_forward_progress 0
		.amdhsa_shared_vgpr_count 0
		.amdhsa_exception_fp_ieee_invalid_op 0
		.amdhsa_exception_fp_denorm_src 0
		.amdhsa_exception_fp_ieee_div_zero 0
		.amdhsa_exception_fp_ieee_overflow 0
		.amdhsa_exception_fp_ieee_underflow 0
		.amdhsa_exception_fp_ieee_inexact 0
		.amdhsa_exception_int_div_zero 0
	.end_amdhsa_kernel
	.section	.text._ZN7rocprim17ROCPRIM_400000_NS6detail17trampoline_kernelINS0_14default_configENS1_32segmented_reduce_config_selectorIN3c108BFloat16EEEZNS1_21segmented_reduce_implIS3_PKS6_PS6_PKlS6_N6hipcub16HIPCUB_304000_NS6detail27convert_result_type_wrapperISA_SB_N2at6native12_GLOBAL__N_19CustomMaxEEEEE10hipError_tPvRmT0_T1_jT2_SS_T4_T3_P12ihipStream_tbEUlT_E_NS1_11comp_targetILNS1_3genE3ELNS1_11target_archE908ELNS1_3gpuE7ELNS1_3repE0EEENS1_30default_config_static_selectorELNS0_4arch9wavefront6targetE0EEEvSR_,"axG",@progbits,_ZN7rocprim17ROCPRIM_400000_NS6detail17trampoline_kernelINS0_14default_configENS1_32segmented_reduce_config_selectorIN3c108BFloat16EEEZNS1_21segmented_reduce_implIS3_PKS6_PS6_PKlS6_N6hipcub16HIPCUB_304000_NS6detail27convert_result_type_wrapperISA_SB_N2at6native12_GLOBAL__N_19CustomMaxEEEEE10hipError_tPvRmT0_T1_jT2_SS_T4_T3_P12ihipStream_tbEUlT_E_NS1_11comp_targetILNS1_3genE3ELNS1_11target_archE908ELNS1_3gpuE7ELNS1_3repE0EEENS1_30default_config_static_selectorELNS0_4arch9wavefront6targetE0EEEvSR_,comdat
.Lfunc_end251:
	.size	_ZN7rocprim17ROCPRIM_400000_NS6detail17trampoline_kernelINS0_14default_configENS1_32segmented_reduce_config_selectorIN3c108BFloat16EEEZNS1_21segmented_reduce_implIS3_PKS6_PS6_PKlS6_N6hipcub16HIPCUB_304000_NS6detail27convert_result_type_wrapperISA_SB_N2at6native12_GLOBAL__N_19CustomMaxEEEEE10hipError_tPvRmT0_T1_jT2_SS_T4_T3_P12ihipStream_tbEUlT_E_NS1_11comp_targetILNS1_3genE3ELNS1_11target_archE908ELNS1_3gpuE7ELNS1_3repE0EEENS1_30default_config_static_selectorELNS0_4arch9wavefront6targetE0EEEvSR_, .Lfunc_end251-_ZN7rocprim17ROCPRIM_400000_NS6detail17trampoline_kernelINS0_14default_configENS1_32segmented_reduce_config_selectorIN3c108BFloat16EEEZNS1_21segmented_reduce_implIS3_PKS6_PS6_PKlS6_N6hipcub16HIPCUB_304000_NS6detail27convert_result_type_wrapperISA_SB_N2at6native12_GLOBAL__N_19CustomMaxEEEEE10hipError_tPvRmT0_T1_jT2_SS_T4_T3_P12ihipStream_tbEUlT_E_NS1_11comp_targetILNS1_3genE3ELNS1_11target_archE908ELNS1_3gpuE7ELNS1_3repE0EEENS1_30default_config_static_selectorELNS0_4arch9wavefront6targetE0EEEvSR_
                                        ; -- End function
	.section	.AMDGPU.csdata,"",@progbits
; Kernel info:
; codeLenInByte = 0
; NumSgprs: 0
; NumVgprs: 0
; ScratchSize: 0
; MemoryBound: 0
; FloatMode: 240
; IeeeMode: 1
; LDSByteSize: 0 bytes/workgroup (compile time only)
; SGPRBlocks: 0
; VGPRBlocks: 0
; NumSGPRsForWavesPerEU: 1
; NumVGPRsForWavesPerEU: 1
; Occupancy: 16
; WaveLimiterHint : 0
; COMPUTE_PGM_RSRC2:SCRATCH_EN: 0
; COMPUTE_PGM_RSRC2:USER_SGPR: 15
; COMPUTE_PGM_RSRC2:TRAP_HANDLER: 0
; COMPUTE_PGM_RSRC2:TGID_X_EN: 1
; COMPUTE_PGM_RSRC2:TGID_Y_EN: 0
; COMPUTE_PGM_RSRC2:TGID_Z_EN: 0
; COMPUTE_PGM_RSRC2:TIDIG_COMP_CNT: 0
	.section	.text._ZN7rocprim17ROCPRIM_400000_NS6detail17trampoline_kernelINS0_14default_configENS1_32segmented_reduce_config_selectorIN3c108BFloat16EEEZNS1_21segmented_reduce_implIS3_PKS6_PS6_PKlS6_N6hipcub16HIPCUB_304000_NS6detail27convert_result_type_wrapperISA_SB_N2at6native12_GLOBAL__N_19CustomMaxEEEEE10hipError_tPvRmT0_T1_jT2_SS_T4_T3_P12ihipStream_tbEUlT_E_NS1_11comp_targetILNS1_3genE2ELNS1_11target_archE906ELNS1_3gpuE6ELNS1_3repE0EEENS1_30default_config_static_selectorELNS0_4arch9wavefront6targetE0EEEvSR_,"axG",@progbits,_ZN7rocprim17ROCPRIM_400000_NS6detail17trampoline_kernelINS0_14default_configENS1_32segmented_reduce_config_selectorIN3c108BFloat16EEEZNS1_21segmented_reduce_implIS3_PKS6_PS6_PKlS6_N6hipcub16HIPCUB_304000_NS6detail27convert_result_type_wrapperISA_SB_N2at6native12_GLOBAL__N_19CustomMaxEEEEE10hipError_tPvRmT0_T1_jT2_SS_T4_T3_P12ihipStream_tbEUlT_E_NS1_11comp_targetILNS1_3genE2ELNS1_11target_archE906ELNS1_3gpuE6ELNS1_3repE0EEENS1_30default_config_static_selectorELNS0_4arch9wavefront6targetE0EEEvSR_,comdat
	.globl	_ZN7rocprim17ROCPRIM_400000_NS6detail17trampoline_kernelINS0_14default_configENS1_32segmented_reduce_config_selectorIN3c108BFloat16EEEZNS1_21segmented_reduce_implIS3_PKS6_PS6_PKlS6_N6hipcub16HIPCUB_304000_NS6detail27convert_result_type_wrapperISA_SB_N2at6native12_GLOBAL__N_19CustomMaxEEEEE10hipError_tPvRmT0_T1_jT2_SS_T4_T3_P12ihipStream_tbEUlT_E_NS1_11comp_targetILNS1_3genE2ELNS1_11target_archE906ELNS1_3gpuE6ELNS1_3repE0EEENS1_30default_config_static_selectorELNS0_4arch9wavefront6targetE0EEEvSR_ ; -- Begin function _ZN7rocprim17ROCPRIM_400000_NS6detail17trampoline_kernelINS0_14default_configENS1_32segmented_reduce_config_selectorIN3c108BFloat16EEEZNS1_21segmented_reduce_implIS3_PKS6_PS6_PKlS6_N6hipcub16HIPCUB_304000_NS6detail27convert_result_type_wrapperISA_SB_N2at6native12_GLOBAL__N_19CustomMaxEEEEE10hipError_tPvRmT0_T1_jT2_SS_T4_T3_P12ihipStream_tbEUlT_E_NS1_11comp_targetILNS1_3genE2ELNS1_11target_archE906ELNS1_3gpuE6ELNS1_3repE0EEENS1_30default_config_static_selectorELNS0_4arch9wavefront6targetE0EEEvSR_
	.p2align	8
	.type	_ZN7rocprim17ROCPRIM_400000_NS6detail17trampoline_kernelINS0_14default_configENS1_32segmented_reduce_config_selectorIN3c108BFloat16EEEZNS1_21segmented_reduce_implIS3_PKS6_PS6_PKlS6_N6hipcub16HIPCUB_304000_NS6detail27convert_result_type_wrapperISA_SB_N2at6native12_GLOBAL__N_19CustomMaxEEEEE10hipError_tPvRmT0_T1_jT2_SS_T4_T3_P12ihipStream_tbEUlT_E_NS1_11comp_targetILNS1_3genE2ELNS1_11target_archE906ELNS1_3gpuE6ELNS1_3repE0EEENS1_30default_config_static_selectorELNS0_4arch9wavefront6targetE0EEEvSR_,@function
_ZN7rocprim17ROCPRIM_400000_NS6detail17trampoline_kernelINS0_14default_configENS1_32segmented_reduce_config_selectorIN3c108BFloat16EEEZNS1_21segmented_reduce_implIS3_PKS6_PS6_PKlS6_N6hipcub16HIPCUB_304000_NS6detail27convert_result_type_wrapperISA_SB_N2at6native12_GLOBAL__N_19CustomMaxEEEEE10hipError_tPvRmT0_T1_jT2_SS_T4_T3_P12ihipStream_tbEUlT_E_NS1_11comp_targetILNS1_3genE2ELNS1_11target_archE906ELNS1_3gpuE6ELNS1_3repE0EEENS1_30default_config_static_selectorELNS0_4arch9wavefront6targetE0EEEvSR_: ; @_ZN7rocprim17ROCPRIM_400000_NS6detail17trampoline_kernelINS0_14default_configENS1_32segmented_reduce_config_selectorIN3c108BFloat16EEEZNS1_21segmented_reduce_implIS3_PKS6_PS6_PKlS6_N6hipcub16HIPCUB_304000_NS6detail27convert_result_type_wrapperISA_SB_N2at6native12_GLOBAL__N_19CustomMaxEEEEE10hipError_tPvRmT0_T1_jT2_SS_T4_T3_P12ihipStream_tbEUlT_E_NS1_11comp_targetILNS1_3genE2ELNS1_11target_archE906ELNS1_3gpuE6ELNS1_3repE0EEENS1_30default_config_static_selectorELNS0_4arch9wavefront6targetE0EEEvSR_
; %bb.0:
	.section	.rodata,"a",@progbits
	.p2align	6, 0x0
	.amdhsa_kernel _ZN7rocprim17ROCPRIM_400000_NS6detail17trampoline_kernelINS0_14default_configENS1_32segmented_reduce_config_selectorIN3c108BFloat16EEEZNS1_21segmented_reduce_implIS3_PKS6_PS6_PKlS6_N6hipcub16HIPCUB_304000_NS6detail27convert_result_type_wrapperISA_SB_N2at6native12_GLOBAL__N_19CustomMaxEEEEE10hipError_tPvRmT0_T1_jT2_SS_T4_T3_P12ihipStream_tbEUlT_E_NS1_11comp_targetILNS1_3genE2ELNS1_11target_archE906ELNS1_3gpuE6ELNS1_3repE0EEENS1_30default_config_static_selectorELNS0_4arch9wavefront6targetE0EEEvSR_
		.amdhsa_group_segment_fixed_size 0
		.amdhsa_private_segment_fixed_size 0
		.amdhsa_kernarg_size 48
		.amdhsa_user_sgpr_count 15
		.amdhsa_user_sgpr_dispatch_ptr 0
		.amdhsa_user_sgpr_queue_ptr 0
		.amdhsa_user_sgpr_kernarg_segment_ptr 1
		.amdhsa_user_sgpr_dispatch_id 0
		.amdhsa_user_sgpr_private_segment_size 0
		.amdhsa_wavefront_size32 1
		.amdhsa_uses_dynamic_stack 0
		.amdhsa_enable_private_segment 0
		.amdhsa_system_sgpr_workgroup_id_x 1
		.amdhsa_system_sgpr_workgroup_id_y 0
		.amdhsa_system_sgpr_workgroup_id_z 0
		.amdhsa_system_sgpr_workgroup_info 0
		.amdhsa_system_vgpr_workitem_id 0
		.amdhsa_next_free_vgpr 1
		.amdhsa_next_free_sgpr 1
		.amdhsa_reserve_vcc 0
		.amdhsa_float_round_mode_32 0
		.amdhsa_float_round_mode_16_64 0
		.amdhsa_float_denorm_mode_32 3
		.amdhsa_float_denorm_mode_16_64 3
		.amdhsa_dx10_clamp 1
		.amdhsa_ieee_mode 1
		.amdhsa_fp16_overflow 0
		.amdhsa_workgroup_processor_mode 1
		.amdhsa_memory_ordered 1
		.amdhsa_forward_progress 0
		.amdhsa_shared_vgpr_count 0
		.amdhsa_exception_fp_ieee_invalid_op 0
		.amdhsa_exception_fp_denorm_src 0
		.amdhsa_exception_fp_ieee_div_zero 0
		.amdhsa_exception_fp_ieee_overflow 0
		.amdhsa_exception_fp_ieee_underflow 0
		.amdhsa_exception_fp_ieee_inexact 0
		.amdhsa_exception_int_div_zero 0
	.end_amdhsa_kernel
	.section	.text._ZN7rocprim17ROCPRIM_400000_NS6detail17trampoline_kernelINS0_14default_configENS1_32segmented_reduce_config_selectorIN3c108BFloat16EEEZNS1_21segmented_reduce_implIS3_PKS6_PS6_PKlS6_N6hipcub16HIPCUB_304000_NS6detail27convert_result_type_wrapperISA_SB_N2at6native12_GLOBAL__N_19CustomMaxEEEEE10hipError_tPvRmT0_T1_jT2_SS_T4_T3_P12ihipStream_tbEUlT_E_NS1_11comp_targetILNS1_3genE2ELNS1_11target_archE906ELNS1_3gpuE6ELNS1_3repE0EEENS1_30default_config_static_selectorELNS0_4arch9wavefront6targetE0EEEvSR_,"axG",@progbits,_ZN7rocprim17ROCPRIM_400000_NS6detail17trampoline_kernelINS0_14default_configENS1_32segmented_reduce_config_selectorIN3c108BFloat16EEEZNS1_21segmented_reduce_implIS3_PKS6_PS6_PKlS6_N6hipcub16HIPCUB_304000_NS6detail27convert_result_type_wrapperISA_SB_N2at6native12_GLOBAL__N_19CustomMaxEEEEE10hipError_tPvRmT0_T1_jT2_SS_T4_T3_P12ihipStream_tbEUlT_E_NS1_11comp_targetILNS1_3genE2ELNS1_11target_archE906ELNS1_3gpuE6ELNS1_3repE0EEENS1_30default_config_static_selectorELNS0_4arch9wavefront6targetE0EEEvSR_,comdat
.Lfunc_end252:
	.size	_ZN7rocprim17ROCPRIM_400000_NS6detail17trampoline_kernelINS0_14default_configENS1_32segmented_reduce_config_selectorIN3c108BFloat16EEEZNS1_21segmented_reduce_implIS3_PKS6_PS6_PKlS6_N6hipcub16HIPCUB_304000_NS6detail27convert_result_type_wrapperISA_SB_N2at6native12_GLOBAL__N_19CustomMaxEEEEE10hipError_tPvRmT0_T1_jT2_SS_T4_T3_P12ihipStream_tbEUlT_E_NS1_11comp_targetILNS1_3genE2ELNS1_11target_archE906ELNS1_3gpuE6ELNS1_3repE0EEENS1_30default_config_static_selectorELNS0_4arch9wavefront6targetE0EEEvSR_, .Lfunc_end252-_ZN7rocprim17ROCPRIM_400000_NS6detail17trampoline_kernelINS0_14default_configENS1_32segmented_reduce_config_selectorIN3c108BFloat16EEEZNS1_21segmented_reduce_implIS3_PKS6_PS6_PKlS6_N6hipcub16HIPCUB_304000_NS6detail27convert_result_type_wrapperISA_SB_N2at6native12_GLOBAL__N_19CustomMaxEEEEE10hipError_tPvRmT0_T1_jT2_SS_T4_T3_P12ihipStream_tbEUlT_E_NS1_11comp_targetILNS1_3genE2ELNS1_11target_archE906ELNS1_3gpuE6ELNS1_3repE0EEENS1_30default_config_static_selectorELNS0_4arch9wavefront6targetE0EEEvSR_
                                        ; -- End function
	.section	.AMDGPU.csdata,"",@progbits
; Kernel info:
; codeLenInByte = 0
; NumSgprs: 0
; NumVgprs: 0
; ScratchSize: 0
; MemoryBound: 0
; FloatMode: 240
; IeeeMode: 1
; LDSByteSize: 0 bytes/workgroup (compile time only)
; SGPRBlocks: 0
; VGPRBlocks: 0
; NumSGPRsForWavesPerEU: 1
; NumVGPRsForWavesPerEU: 1
; Occupancy: 16
; WaveLimiterHint : 0
; COMPUTE_PGM_RSRC2:SCRATCH_EN: 0
; COMPUTE_PGM_RSRC2:USER_SGPR: 15
; COMPUTE_PGM_RSRC2:TRAP_HANDLER: 0
; COMPUTE_PGM_RSRC2:TGID_X_EN: 1
; COMPUTE_PGM_RSRC2:TGID_Y_EN: 0
; COMPUTE_PGM_RSRC2:TGID_Z_EN: 0
; COMPUTE_PGM_RSRC2:TIDIG_COMP_CNT: 0
	.section	.text._ZN7rocprim17ROCPRIM_400000_NS6detail17trampoline_kernelINS0_14default_configENS1_32segmented_reduce_config_selectorIN3c108BFloat16EEEZNS1_21segmented_reduce_implIS3_PKS6_PS6_PKlS6_N6hipcub16HIPCUB_304000_NS6detail27convert_result_type_wrapperISA_SB_N2at6native12_GLOBAL__N_19CustomMaxEEEEE10hipError_tPvRmT0_T1_jT2_SS_T4_T3_P12ihipStream_tbEUlT_E_NS1_11comp_targetILNS1_3genE9ELNS1_11target_archE1100ELNS1_3gpuE3ELNS1_3repE0EEENS1_30default_config_static_selectorELNS0_4arch9wavefront6targetE0EEEvSR_,"axG",@progbits,_ZN7rocprim17ROCPRIM_400000_NS6detail17trampoline_kernelINS0_14default_configENS1_32segmented_reduce_config_selectorIN3c108BFloat16EEEZNS1_21segmented_reduce_implIS3_PKS6_PS6_PKlS6_N6hipcub16HIPCUB_304000_NS6detail27convert_result_type_wrapperISA_SB_N2at6native12_GLOBAL__N_19CustomMaxEEEEE10hipError_tPvRmT0_T1_jT2_SS_T4_T3_P12ihipStream_tbEUlT_E_NS1_11comp_targetILNS1_3genE9ELNS1_11target_archE1100ELNS1_3gpuE3ELNS1_3repE0EEENS1_30default_config_static_selectorELNS0_4arch9wavefront6targetE0EEEvSR_,comdat
	.globl	_ZN7rocprim17ROCPRIM_400000_NS6detail17trampoline_kernelINS0_14default_configENS1_32segmented_reduce_config_selectorIN3c108BFloat16EEEZNS1_21segmented_reduce_implIS3_PKS6_PS6_PKlS6_N6hipcub16HIPCUB_304000_NS6detail27convert_result_type_wrapperISA_SB_N2at6native12_GLOBAL__N_19CustomMaxEEEEE10hipError_tPvRmT0_T1_jT2_SS_T4_T3_P12ihipStream_tbEUlT_E_NS1_11comp_targetILNS1_3genE9ELNS1_11target_archE1100ELNS1_3gpuE3ELNS1_3repE0EEENS1_30default_config_static_selectorELNS0_4arch9wavefront6targetE0EEEvSR_ ; -- Begin function _ZN7rocprim17ROCPRIM_400000_NS6detail17trampoline_kernelINS0_14default_configENS1_32segmented_reduce_config_selectorIN3c108BFloat16EEEZNS1_21segmented_reduce_implIS3_PKS6_PS6_PKlS6_N6hipcub16HIPCUB_304000_NS6detail27convert_result_type_wrapperISA_SB_N2at6native12_GLOBAL__N_19CustomMaxEEEEE10hipError_tPvRmT0_T1_jT2_SS_T4_T3_P12ihipStream_tbEUlT_E_NS1_11comp_targetILNS1_3genE9ELNS1_11target_archE1100ELNS1_3gpuE3ELNS1_3repE0EEENS1_30default_config_static_selectorELNS0_4arch9wavefront6targetE0EEEvSR_
	.p2align	8
	.type	_ZN7rocprim17ROCPRIM_400000_NS6detail17trampoline_kernelINS0_14default_configENS1_32segmented_reduce_config_selectorIN3c108BFloat16EEEZNS1_21segmented_reduce_implIS3_PKS6_PS6_PKlS6_N6hipcub16HIPCUB_304000_NS6detail27convert_result_type_wrapperISA_SB_N2at6native12_GLOBAL__N_19CustomMaxEEEEE10hipError_tPvRmT0_T1_jT2_SS_T4_T3_P12ihipStream_tbEUlT_E_NS1_11comp_targetILNS1_3genE9ELNS1_11target_archE1100ELNS1_3gpuE3ELNS1_3repE0EEENS1_30default_config_static_selectorELNS0_4arch9wavefront6targetE0EEEvSR_,@function
_ZN7rocprim17ROCPRIM_400000_NS6detail17trampoline_kernelINS0_14default_configENS1_32segmented_reduce_config_selectorIN3c108BFloat16EEEZNS1_21segmented_reduce_implIS3_PKS6_PS6_PKlS6_N6hipcub16HIPCUB_304000_NS6detail27convert_result_type_wrapperISA_SB_N2at6native12_GLOBAL__N_19CustomMaxEEEEE10hipError_tPvRmT0_T1_jT2_SS_T4_T3_P12ihipStream_tbEUlT_E_NS1_11comp_targetILNS1_3genE9ELNS1_11target_archE1100ELNS1_3gpuE3ELNS1_3repE0EEENS1_30default_config_static_selectorELNS0_4arch9wavefront6targetE0EEEvSR_: ; @_ZN7rocprim17ROCPRIM_400000_NS6detail17trampoline_kernelINS0_14default_configENS1_32segmented_reduce_config_selectorIN3c108BFloat16EEEZNS1_21segmented_reduce_implIS3_PKS6_PS6_PKlS6_N6hipcub16HIPCUB_304000_NS6detail27convert_result_type_wrapperISA_SB_N2at6native12_GLOBAL__N_19CustomMaxEEEEE10hipError_tPvRmT0_T1_jT2_SS_T4_T3_P12ihipStream_tbEUlT_E_NS1_11comp_targetILNS1_3genE9ELNS1_11target_archE1100ELNS1_3gpuE3ELNS1_3repE0EEENS1_30default_config_static_selectorELNS0_4arch9wavefront6targetE0EEEvSR_
; %bb.0:
	s_clause 0x2
	s_load_b256 s[16:23], s[0:1], 0x0
	s_load_b32 s4, s[0:1], 0x28
	s_load_b64 s[0:1], s[0:1], 0x20
	s_mov_b32 s24, s15
	s_mov_b32 s25, 0
	s_waitcnt lgkmcnt(0)
	s_lshl_b64 s[2:3], s[20:21], 3
	s_lshr_b32 s15, s4, 16
	s_add_u32 s4, s22, s2
	s_addc_u32 s5, s23, s3
	s_add_u32 s6, s0, s2
	s_addc_u32 s7, s1, s3
	s_lshl_b64 s[0:1], s[24:25], 3
	s_delay_alu instid0(SALU_CYCLE_1)
	s_add_u32 s2, s4, s0
	s_addc_u32 s3, s5, s1
	s_add_u32 s0, s6, s0
	s_addc_u32 s1, s7, s1
	s_load_b64 s[26:27], s[2:3], 0x0
	s_load_b64 s[22:23], s[0:1], 0x0
	s_waitcnt lgkmcnt(0)
	v_cmp_gt_i64_e64 s0, s[22:23], s[26:27]
	s_delay_alu instid0(VALU_DEP_1)
	s_and_b32 vcc_lo, exec_lo, s0
	v_cmp_eq_u32_e64 s0, 0, v0
	s_cbranch_vccnz .LBB253_3
; %bb.1:
	s_delay_alu instid0(VALU_DEP_1)
	s_and_b32 s30, s0, exec_lo
	s_cbranch_execz .LBB253_4
; %bb.2:
	v_mov_b32_e32 v1, s15
	s_and_saveexec_b32 s0, s30
	s_cbranch_execnz .LBB253_409
	s_branch .LBB253_410
.LBB253_3:
	s_mov_b32 s30, s25
.LBB253_4:
	s_add_u32 s0, s26, 0x1000
	s_addc_u32 s1, s27, 0
	s_delay_alu instid0(SALU_CYCLE_1) | instskip(NEXT) | instid1(VALU_DEP_1)
	v_cmp_le_i64_e64 s2, s[0:1], s[22:23]
	s_and_b32 vcc_lo, exec_lo, s2
	s_cbranch_vccz .LBB253_133
; %bb.5:
	v_lshlrev_b32_e32 v20, 1, v0
	s_lshl_b64 s[2:3], s[26:27], 1
	s_delay_alu instid0(SALU_CYCLE_1) | instskip(SKIP_1) | instid1(VALU_DEP_1)
	s_add_u32 s4, s16, s2
	s_addc_u32 s5, s17, s3
	v_add_co_u32 v1, s6, s4, v20
	s_delay_alu instid0(VALU_DEP_1) | instskip(NEXT) | instid1(VALU_DEP_2)
	v_add_co_ci_u32_e64 v2, null, s5, 0, s6
	v_add_co_u32 v1, vcc_lo, 0x1000, v1
	s_delay_alu instid0(VALU_DEP_2)
	v_add_co_ci_u32_e32 v2, vcc_lo, 0, v2, vcc_lo
	s_clause 0xf
	global_load_u16 v19, v20, s[4:5]
	global_load_u16 v18, v20, s[4:5] offset:512
	global_load_u16 v17, v20, s[4:5] offset:1024
	;; [unrolled: 1-line block ×7, first 2 shown]
	global_load_u16 v10, v[1:2], off
	global_load_u16 v9, v[1:2], off offset:512
	global_load_u16 v8, v[1:2], off offset:1024
	;; [unrolled: 1-line block ×7, first 2 shown]
	s_mov_b32 s4, exec_lo
	s_waitcnt vmcnt(15)
	v_mov_b32_e32 v11, v19
	v_lshlrev_b32_e32 v1, 16, v19
	s_delay_alu instid0(VALU_DEP_1)
	v_cmpx_o_f32_e32 v1, v1
	s_cbranch_execz .LBB253_9
; %bb.6:
	s_waitcnt vmcnt(14)
	v_dual_mov_b32 v11, v18 :: v_dual_lshlrev_b32 v2, 16, v18
	s_mov_b32 s5, exec_lo
	s_delay_alu instid0(VALU_DEP_1)
	v_cmpx_o_f32_e32 v2, v2
; %bb.7:
	v_cmp_lt_f32_e32 vcc_lo, v1, v2
	v_cndmask_b32_e32 v11, v19, v18, vcc_lo
	s_delay_alu instid0(VALU_DEP_1)
	v_lshlrev_b32_e32 v2, 16, v11
; %bb.8:
	s_or_b32 exec_lo, exec_lo, s5
	s_delay_alu instid0(VALU_DEP_1)
	v_mov_b32_e32 v1, v2
.LBB253_9:
	s_or_b32 exec_lo, exec_lo, s4
	s_delay_alu instid0(SALU_CYCLE_1) | instskip(NEXT) | instid1(VALU_DEP_1)
	s_mov_b32 s4, exec_lo
	v_cmpx_o_f32_e32 v1, v1
	s_cbranch_execz .LBB253_13
; %bb.10:
	s_waitcnt vmcnt(13)
	v_dual_mov_b32 v21, v17 :: v_dual_lshlrev_b32 v2, 16, v17
	s_mov_b32 s5, exec_lo
	s_delay_alu instid0(VALU_DEP_1)
	v_cmpx_o_f32_e32 v2, v2
; %bb.11:
	v_cmp_lt_f32_e32 vcc_lo, v1, v2
	v_cndmask_b32_e32 v21, v11, v17, vcc_lo
	s_delay_alu instid0(VALU_DEP_1)
	v_lshlrev_b32_e32 v2, 16, v21
; %bb.12:
	s_or_b32 exec_lo, exec_lo, s5
	s_delay_alu instid0(VALU_DEP_1)
	v_mov_b32_e32 v1, v2
	v_mov_b32_e32 v11, v21
.LBB253_13:
	s_or_b32 exec_lo, exec_lo, s4
	s_delay_alu instid0(SALU_CYCLE_1) | instskip(NEXT) | instid1(VALU_DEP_2)
	s_mov_b32 s4, exec_lo
	v_cmpx_o_f32_e32 v1, v1
	s_cbranch_execz .LBB253_17
; %bb.14:
	s_waitcnt vmcnt(12)
	v_dual_mov_b32 v21, v16 :: v_dual_lshlrev_b32 v2, 16, v16
	s_mov_b32 s5, exec_lo
	s_delay_alu instid0(VALU_DEP_1)
	v_cmpx_o_f32_e32 v2, v2
; %bb.15:
	v_cmp_lt_f32_e32 vcc_lo, v1, v2
	v_cndmask_b32_e32 v21, v11, v16, vcc_lo
	s_delay_alu instid0(VALU_DEP_1)
	v_lshlrev_b32_e32 v2, 16, v21
; %bb.16:
	s_or_b32 exec_lo, exec_lo, s5
	s_delay_alu instid0(VALU_DEP_1)
	v_mov_b32_e32 v1, v2
	v_mov_b32_e32 v11, v21
.LBB253_17:
	s_or_b32 exec_lo, exec_lo, s4
	s_delay_alu instid0(SALU_CYCLE_1) | instskip(NEXT) | instid1(VALU_DEP_2)
	;; [unrolled: 22-line block ×13, first 2 shown]
	s_mov_b32 s4, exec_lo
	v_cmpx_o_f32_e32 v1, v1
	s_cbranch_execz .LBB253_65
; %bb.62:
	s_waitcnt vmcnt(0)
	v_dual_mov_b32 v2, v3 :: v_dual_lshlrev_b32 v21, 16, v3
	s_mov_b32 s5, exec_lo
	s_delay_alu instid0(VALU_DEP_1)
	v_cmpx_o_f32_e32 v21, v21
; %bb.63:
	v_cmp_lt_f32_e32 vcc_lo, v1, v21
	v_cndmask_b32_e32 v2, v11, v3, vcc_lo
; %bb.64:
	s_or_b32 exec_lo, exec_lo, s5
	s_delay_alu instid0(VALU_DEP_1)
	v_mov_b32_e32 v11, v2
.LBB253_65:
	s_or_b32 exec_lo, exec_lo, s4
	s_add_u32 s4, s26, 0x2000
	s_addc_u32 s5, s27, 0
	s_delay_alu instid0(SALU_CYCLE_1) | instskip(NEXT) | instid1(VALU_DEP_1)
	v_cmp_ge_i64_e64 s4, s[4:5], s[22:23]
	s_and_b32 vcc_lo, exec_lo, s4
	s_cbranch_vccnz .LBB253_134
; %bb.66:
	s_add_u32 s2, s16, s2
	s_addc_u32 s3, s17, s3
	v_add_co_u32 v1, s2, s2, v20
	s_delay_alu instid0(VALU_DEP_1) | instskip(NEXT) | instid1(VALU_DEP_2)
	v_add_co_ci_u32_e64 v2, null, s3, 0, s2
	v_add_co_u32 v1, vcc_lo, 0x2000, v1
	s_delay_alu instid0(VALU_DEP_2)
	v_add_co_ci_u32_e32 v2, vcc_lo, 0, v2, vcc_lo
.LBB253_67:                             ; =>This Inner Loop Header: Depth=1
	s_delay_alu instid0(VALU_DEP_2) | instskip(NEXT) | instid1(VALU_DEP_2)
	v_add_co_u32 v21, vcc_lo, 0x1000, v1
	v_add_co_ci_u32_e32 v22, vcc_lo, 0, v2, vcc_lo
	s_clause 0xf
	global_load_u16 v19, v[1:2], off
	global_load_u16 v18, v[1:2], off offset:512
	global_load_u16 v17, v[1:2], off offset:1024
	;; [unrolled: 1-line block ×7, first 2 shown]
	global_load_u16 v10, v[21:22], off
	global_load_u16 v9, v[21:22], off offset:512
	global_load_u16 v8, v[21:22], off offset:1024
	;; [unrolled: 1-line block ×7, first 2 shown]
	v_lshlrev_b32_e32 v21, 16, v11
	s_mov_b32 s2, exec_lo
	s_delay_alu instid0(VALU_DEP_1)
	v_cmpx_o_f32_e32 v21, v21
	s_cbranch_execz .LBB253_71
; %bb.68:                               ;   in Loop: Header=BB253_67 Depth=1
	s_waitcnt vmcnt(15)
	v_dual_mov_b32 v23, v19 :: v_dual_lshlrev_b32 v22, 16, v19
	s_mov_b32 s3, exec_lo
	s_delay_alu instid0(VALU_DEP_1)
	v_cmpx_o_f32_e32 v22, v22
; %bb.69:                               ;   in Loop: Header=BB253_67 Depth=1
	v_cmp_lt_f32_e32 vcc_lo, v21, v22
	v_cndmask_b32_e32 v23, v11, v19, vcc_lo
	s_delay_alu instid0(VALU_DEP_1)
	v_lshlrev_b32_e32 v22, 16, v23
; %bb.70:                               ;   in Loop: Header=BB253_67 Depth=1
	s_or_b32 exec_lo, exec_lo, s3
	s_delay_alu instid0(VALU_DEP_1)
	v_mov_b32_e32 v21, v22
	v_mov_b32_e32 v11, v23
.LBB253_71:                             ;   in Loop: Header=BB253_67 Depth=1
	s_or_b32 exec_lo, exec_lo, s2
	s_delay_alu instid0(SALU_CYCLE_1) | instskip(NEXT) | instid1(VALU_DEP_2)
	s_mov_b32 s2, exec_lo
	v_cmpx_o_f32_e32 v21, v21
	s_cbranch_execz .LBB253_75
; %bb.72:                               ;   in Loop: Header=BB253_67 Depth=1
	s_waitcnt vmcnt(14)
	v_dual_mov_b32 v23, v18 :: v_dual_lshlrev_b32 v22, 16, v18
	s_mov_b32 s3, exec_lo
	s_delay_alu instid0(VALU_DEP_1)
	v_cmpx_o_f32_e32 v22, v22
; %bb.73:                               ;   in Loop: Header=BB253_67 Depth=1
	v_cmp_lt_f32_e32 vcc_lo, v21, v22
	v_cndmask_b32_e32 v23, v11, v18, vcc_lo
	s_delay_alu instid0(VALU_DEP_1)
	v_lshlrev_b32_e32 v22, 16, v23
; %bb.74:                               ;   in Loop: Header=BB253_67 Depth=1
	s_or_b32 exec_lo, exec_lo, s3
	s_delay_alu instid0(VALU_DEP_1)
	v_mov_b32_e32 v21, v22
	v_mov_b32_e32 v11, v23
.LBB253_75:                             ;   in Loop: Header=BB253_67 Depth=1
	s_or_b32 exec_lo, exec_lo, s2
	s_delay_alu instid0(SALU_CYCLE_1) | instskip(NEXT) | instid1(VALU_DEP_2)
	s_mov_b32 s2, exec_lo
	;; [unrolled: 22-line block ×8, first 2 shown]
	v_cmpx_o_f32_e32 v21, v21
	s_cbranch_execz .LBB253_103
; %bb.100:                              ;   in Loop: Header=BB253_67 Depth=1
	s_waitcnt vmcnt(7)
	v_dual_mov_b32 v23, v10 :: v_dual_lshlrev_b32 v22, 16, v10
	s_mov_b32 s3, exec_lo
	s_delay_alu instid0(VALU_DEP_1)
	v_cmpx_o_f32_e32 v22, v22
; %bb.101:                              ;   in Loop: Header=BB253_67 Depth=1
	v_cmp_lt_f32_e32 vcc_lo, v21, v22
	v_cndmask_b32_e32 v23, v11, v10, vcc_lo
	s_delay_alu instid0(VALU_DEP_1)
	v_lshlrev_b32_e32 v22, 16, v23
; %bb.102:                              ;   in Loop: Header=BB253_67 Depth=1
	s_or_b32 exec_lo, exec_lo, s3
	s_delay_alu instid0(VALU_DEP_1)
	v_mov_b32_e32 v21, v22
	v_mov_b32_e32 v11, v23
.LBB253_103:                            ;   in Loop: Header=BB253_67 Depth=1
	s_or_b32 exec_lo, exec_lo, s2
	s_delay_alu instid0(SALU_CYCLE_1) | instskip(NEXT) | instid1(VALU_DEP_2)
	s_mov_b32 s2, exec_lo
	v_cmpx_o_f32_e32 v21, v21
	s_cbranch_execz .LBB253_107
; %bb.104:                              ;   in Loop: Header=BB253_67 Depth=1
	s_waitcnt vmcnt(6)
	v_dual_mov_b32 v23, v9 :: v_dual_lshlrev_b32 v22, 16, v9
	s_mov_b32 s3, exec_lo
	s_delay_alu instid0(VALU_DEP_1)
	v_cmpx_o_f32_e32 v22, v22
; %bb.105:                              ;   in Loop: Header=BB253_67 Depth=1
	v_cmp_lt_f32_e32 vcc_lo, v21, v22
	v_cndmask_b32_e32 v23, v11, v9, vcc_lo
	s_delay_alu instid0(VALU_DEP_1)
	v_lshlrev_b32_e32 v22, 16, v23
; %bb.106:                              ;   in Loop: Header=BB253_67 Depth=1
	s_or_b32 exec_lo, exec_lo, s3
	s_delay_alu instid0(VALU_DEP_1)
	v_mov_b32_e32 v21, v22
	v_mov_b32_e32 v11, v23
.LBB253_107:                            ;   in Loop: Header=BB253_67 Depth=1
	s_or_b32 exec_lo, exec_lo, s2
	s_delay_alu instid0(SALU_CYCLE_1) | instskip(NEXT) | instid1(VALU_DEP_2)
	s_mov_b32 s2, exec_lo
	;; [unrolled: 22-line block ×7, first 2 shown]
	v_cmpx_o_f32_e32 v21, v21
	s_cbranch_execz .LBB253_131
; %bb.128:                              ;   in Loop: Header=BB253_67 Depth=1
	s_waitcnt vmcnt(0)
	v_dual_mov_b32 v22, v3 :: v_dual_lshlrev_b32 v23, 16, v3
	s_mov_b32 s3, exec_lo
	s_delay_alu instid0(VALU_DEP_1)
	v_cmpx_o_f32_e32 v23, v23
; %bb.129:                              ;   in Loop: Header=BB253_67 Depth=1
	v_cmp_lt_f32_e32 vcc_lo, v21, v23
	v_cndmask_b32_e32 v22, v11, v3, vcc_lo
; %bb.130:                              ;   in Loop: Header=BB253_67 Depth=1
	s_or_b32 exec_lo, exec_lo, s3
	s_delay_alu instid0(VALU_DEP_1)
	v_mov_b32_e32 v11, v22
.LBB253_131:                            ;   in Loop: Header=BB253_67 Depth=1
	s_or_b32 exec_lo, exec_lo, s2
	s_add_u32 s2, s0, 0x1000
	s_addc_u32 s3, s1, 0
	s_add_u32 s0, s0, 0x2000
	s_addc_u32 s1, s1, 0
	v_add_co_u32 v1, vcc_lo, 0x2000, v1
	v_cmp_lt_i64_e64 s0, s[0:1], s[22:23]
	v_add_co_ci_u32_e32 v2, vcc_lo, 0, v2, vcc_lo
	s_delay_alu instid0(VALU_DEP_2)
	s_and_b32 vcc_lo, exec_lo, s0
	s_cbranch_vccz .LBB253_135
; %bb.132:                              ;   in Loop: Header=BB253_67 Depth=1
	s_mov_b64 s[0:1], s[2:3]
	s_branch .LBB253_67
.LBB253_133:
                                        ; implicit-def: $vgpr2
	s_cbranch_execnz .LBB253_300
	s_branch .LBB253_402
.LBB253_134:
	s_mov_b64 s[2:3], s[0:1]
.LBB253_135:
	s_delay_alu instid0(SALU_CYCLE_1) | instskip(SKIP_4) | instid1(VALU_DEP_1)
	s_sub_i32 s31, s22, s2
	s_lshl_b64 s[0:1], s[2:3], 1
	v_cmp_gt_u32_e64 s14, s31, v0
	s_add_u32 s28, s16, s0
	s_addc_u32 s29, s17, s1
	s_and_saveexec_b32 s0, s14
	s_cbranch_execz .LBB253_137
; %bb.136:
	global_load_u16 v19, v20, s[28:29]
.LBB253_137:
	s_or_b32 exec_lo, exec_lo, s0
	v_or_b32_e32 v1, 0x100, v0
	s_delay_alu instid0(VALU_DEP_1) | instskip(NEXT) | instid1(VALU_DEP_1)
	v_cmp_gt_u32_e64 s13, s31, v1
	s_and_saveexec_b32 s0, s13
	s_cbranch_execz .LBB253_139
; %bb.138:
	global_load_u16 v18, v20, s[28:29] offset:512
.LBB253_139:
	s_or_b32 exec_lo, exec_lo, s0
	v_or_b32_e32 v1, 0x200, v0
	s_delay_alu instid0(VALU_DEP_1) | instskip(NEXT) | instid1(VALU_DEP_1)
	v_cmp_gt_u32_e64 s12, s31, v1
	s_and_saveexec_b32 s0, s12
	s_cbranch_execz .LBB253_141
; %bb.140:
	global_load_u16 v17, v20, s[28:29] offset:1024
.LBB253_141:
	;; [unrolled: 9-line block ×7, first 2 shown]
	s_or_b32 exec_lo, exec_lo, s0
	v_or_b32_e32 v1, 0x800, v0
	s_delay_alu instid0(VALU_DEP_1) | instskip(NEXT) | instid1(VALU_DEP_1)
	v_cmp_gt_u32_e64 s6, s31, v1
	s_and_saveexec_b32 s0, s6
	s_cbranch_execz .LBB253_153
; %bb.152:
	v_lshlrev_b32_e32 v1, 1, v1
	global_load_u16 v10, v1, s[28:29]
.LBB253_153:
	s_or_b32 exec_lo, exec_lo, s0
	v_or_b32_e32 v1, 0x900, v0
	s_delay_alu instid0(VALU_DEP_1) | instskip(NEXT) | instid1(VALU_DEP_1)
	v_cmp_gt_u32_e64 s5, s31, v1
	s_and_saveexec_b32 s0, s5
	s_cbranch_execz .LBB253_155
; %bb.154:
	v_lshlrev_b32_e32 v1, 1, v1
	global_load_u16 v9, v1, s[28:29]
.LBB253_155:
	;; [unrolled: 10-line block ×7, first 2 shown]
	s_or_b32 exec_lo, exec_lo, s33
	v_or_b32_e32 v1, 0xf00, v0
	s_delay_alu instid0(VALU_DEP_1)
	v_cmp_gt_u32_e32 vcc_lo, s31, v1
	s_and_saveexec_b32 s31, vcc_lo
	s_cbranch_execnz .LBB253_182
; %bb.166:
	s_or_b32 exec_lo, exec_lo, s31
	s_and_saveexec_b32 s28, s14
	s_cbranch_execnz .LBB253_183
.LBB253_167:
	s_or_b32 exec_lo, exec_lo, s28
	s_and_saveexec_b32 s14, s13
	s_cbranch_execnz .LBB253_188
.LBB253_168:
	s_or_b32 exec_lo, exec_lo, s14
	s_and_saveexec_b32 s13, s12
	s_cbranch_execnz .LBB253_193
.LBB253_169:
	s_or_b32 exec_lo, exec_lo, s13
	s_and_saveexec_b32 s12, s11
	s_cbranch_execnz .LBB253_198
.LBB253_170:
	s_or_b32 exec_lo, exec_lo, s12
	s_and_saveexec_b32 s11, s10
	s_cbranch_execnz .LBB253_203
.LBB253_171:
	s_or_b32 exec_lo, exec_lo, s11
	s_and_saveexec_b32 s10, s9
	s_cbranch_execnz .LBB253_208
.LBB253_172:
	s_or_b32 exec_lo, exec_lo, s10
	s_and_saveexec_b32 s9, s8
	s_cbranch_execnz .LBB253_213
.LBB253_173:
	s_or_b32 exec_lo, exec_lo, s9
	s_and_saveexec_b32 s8, s7
	s_cbranch_execnz .LBB253_218
.LBB253_174:
	s_or_b32 exec_lo, exec_lo, s8
	s_and_saveexec_b32 s7, s6
	s_cbranch_execnz .LBB253_223
.LBB253_175:
	s_or_b32 exec_lo, exec_lo, s7
	s_and_saveexec_b32 s6, s5
	s_cbranch_execnz .LBB253_228
.LBB253_176:
	s_or_b32 exec_lo, exec_lo, s6
	s_and_saveexec_b32 s5, s4
	s_cbranch_execnz .LBB253_233
.LBB253_177:
	s_or_b32 exec_lo, exec_lo, s5
	s_and_saveexec_b32 s4, s3
	s_cbranch_execnz .LBB253_238
.LBB253_178:
	s_or_b32 exec_lo, exec_lo, s4
	s_and_saveexec_b32 s3, s2
	s_cbranch_execnz .LBB253_243
.LBB253_179:
	s_or_b32 exec_lo, exec_lo, s3
	s_and_saveexec_b32 s2, s1
	s_cbranch_execnz .LBB253_248
.LBB253_180:
	s_or_b32 exec_lo, exec_lo, s2
	s_and_saveexec_b32 s1, s0
	s_cbranch_execnz .LBB253_253
.LBB253_181:
	s_or_b32 exec_lo, exec_lo, s1
	s_and_saveexec_b32 s0, vcc_lo
	s_cbranch_execnz .LBB253_258
	s_branch .LBB253_263
.LBB253_182:
	v_lshlrev_b32_e32 v1, 1, v1
	global_load_u16 v3, v1, s[28:29]
	s_or_b32 exec_lo, exec_lo, s31
	s_and_saveexec_b32 s28, s14
	s_cbranch_execz .LBB253_167
.LBB253_183:
	v_lshlrev_b32_e32 v1, 16, v11
	s_mov_b32 s29, exec_lo
	s_delay_alu instid0(VALU_DEP_1)
	v_cmpx_o_f32_e32 v1, v1
	s_cbranch_execz .LBB253_187
; %bb.184:
	s_waitcnt vmcnt(0)
	v_lshlrev_b32_e32 v2, 16, v19
	s_mov_b32 s31, exec_lo
	s_delay_alu instid0(VALU_DEP_1)
	v_cmpx_o_f32_e32 v2, v2
; %bb.185:
	v_cmp_lt_f32_e64 s14, v1, v2
	s_delay_alu instid0(VALU_DEP_1)
	v_cndmask_b32_e64 v19, v11, v19, s14
; %bb.186:
	s_or_b32 exec_lo, exec_lo, s31
	s_delay_alu instid0(VALU_DEP_1)
	v_mov_b32_e32 v11, v19
.LBB253_187:
	s_or_b32 exec_lo, exec_lo, s29
	s_delay_alu instid0(SALU_CYCLE_1)
	s_or_b32 exec_lo, exec_lo, s28
	s_and_saveexec_b32 s14, s13
	s_cbranch_execz .LBB253_168
.LBB253_188:
	v_lshlrev_b32_e32 v1, 16, v11
	s_mov_b32 s28, exec_lo
	s_delay_alu instid0(VALU_DEP_1)
	v_cmpx_o_f32_e32 v1, v1
	s_cbranch_execz .LBB253_192
; %bb.189:
	s_waitcnt vmcnt(0)
	v_lshlrev_b32_e32 v2, 16, v18
	s_mov_b32 s29, exec_lo
	s_delay_alu instid0(VALU_DEP_1)
	v_cmpx_o_f32_e32 v2, v2
; %bb.190:
	v_cmp_lt_f32_e64 s13, v1, v2
	s_delay_alu instid0(VALU_DEP_1)
	v_cndmask_b32_e64 v18, v11, v18, s13
; %bb.191:
	s_or_b32 exec_lo, exec_lo, s29
	s_delay_alu instid0(VALU_DEP_1)
	v_mov_b32_e32 v11, v18
.LBB253_192:
	s_or_b32 exec_lo, exec_lo, s28
	s_delay_alu instid0(SALU_CYCLE_1)
	s_or_b32 exec_lo, exec_lo, s14
	s_and_saveexec_b32 s13, s12
	s_cbranch_execz .LBB253_169
.LBB253_193:
	v_lshlrev_b32_e32 v1, 16, v11
	s_mov_b32 s14, exec_lo
	s_delay_alu instid0(VALU_DEP_1)
	v_cmpx_o_f32_e32 v1, v1
	s_cbranch_execz .LBB253_197
; %bb.194:
	s_waitcnt vmcnt(0)
	v_lshlrev_b32_e32 v2, 16, v17
	s_mov_b32 s28, exec_lo
	s_delay_alu instid0(VALU_DEP_1)
	v_cmpx_o_f32_e32 v2, v2
; %bb.195:
	v_cmp_lt_f32_e64 s12, v1, v2
	s_delay_alu instid0(VALU_DEP_1)
	v_cndmask_b32_e64 v17, v11, v17, s12
; %bb.196:
	s_or_b32 exec_lo, exec_lo, s28
	s_delay_alu instid0(VALU_DEP_1)
	v_mov_b32_e32 v11, v17
.LBB253_197:
	s_or_b32 exec_lo, exec_lo, s14
	s_delay_alu instid0(SALU_CYCLE_1)
	s_or_b32 exec_lo, exec_lo, s13
	s_and_saveexec_b32 s12, s11
	s_cbranch_execz .LBB253_170
.LBB253_198:
	v_lshlrev_b32_e32 v1, 16, v11
	s_mov_b32 s13, exec_lo
	s_delay_alu instid0(VALU_DEP_1)
	v_cmpx_o_f32_e32 v1, v1
	s_cbranch_execz .LBB253_202
; %bb.199:
	s_waitcnt vmcnt(0)
	v_lshlrev_b32_e32 v2, 16, v16
	s_mov_b32 s14, exec_lo
	s_delay_alu instid0(VALU_DEP_1)
	v_cmpx_o_f32_e32 v2, v2
; %bb.200:
	v_cmp_lt_f32_e64 s11, v1, v2
	s_delay_alu instid0(VALU_DEP_1)
	v_cndmask_b32_e64 v16, v11, v16, s11
; %bb.201:
	s_or_b32 exec_lo, exec_lo, s14
	s_delay_alu instid0(VALU_DEP_1)
	v_mov_b32_e32 v11, v16
.LBB253_202:
	s_or_b32 exec_lo, exec_lo, s13
	s_delay_alu instid0(SALU_CYCLE_1)
	s_or_b32 exec_lo, exec_lo, s12
	s_and_saveexec_b32 s11, s10
	s_cbranch_execz .LBB253_171
.LBB253_203:
	v_lshlrev_b32_e32 v1, 16, v11
	s_mov_b32 s12, exec_lo
	s_delay_alu instid0(VALU_DEP_1)
	v_cmpx_o_f32_e32 v1, v1
	s_cbranch_execz .LBB253_207
; %bb.204:
	s_waitcnt vmcnt(0)
	v_lshlrev_b32_e32 v2, 16, v15
	s_mov_b32 s13, exec_lo
	s_delay_alu instid0(VALU_DEP_1)
	v_cmpx_o_f32_e32 v2, v2
; %bb.205:
	v_cmp_lt_f32_e64 s10, v1, v2
	s_delay_alu instid0(VALU_DEP_1)
	v_cndmask_b32_e64 v15, v11, v15, s10
; %bb.206:
	s_or_b32 exec_lo, exec_lo, s13
	s_delay_alu instid0(VALU_DEP_1)
	v_mov_b32_e32 v11, v15
.LBB253_207:
	s_or_b32 exec_lo, exec_lo, s12
	s_delay_alu instid0(SALU_CYCLE_1)
	s_or_b32 exec_lo, exec_lo, s11
	s_and_saveexec_b32 s10, s9
	s_cbranch_execz .LBB253_172
.LBB253_208:
	v_lshlrev_b32_e32 v1, 16, v11
	s_mov_b32 s11, exec_lo
	s_delay_alu instid0(VALU_DEP_1)
	v_cmpx_o_f32_e32 v1, v1
	s_cbranch_execz .LBB253_212
; %bb.209:
	s_waitcnt vmcnt(0)
	v_lshlrev_b32_e32 v2, 16, v14
	s_mov_b32 s12, exec_lo
	s_delay_alu instid0(VALU_DEP_1)
	v_cmpx_o_f32_e32 v2, v2
; %bb.210:
	v_cmp_lt_f32_e64 s9, v1, v2
	s_delay_alu instid0(VALU_DEP_1)
	v_cndmask_b32_e64 v14, v11, v14, s9
; %bb.211:
	s_or_b32 exec_lo, exec_lo, s12
	s_delay_alu instid0(VALU_DEP_1)
	v_mov_b32_e32 v11, v14
.LBB253_212:
	s_or_b32 exec_lo, exec_lo, s11
	s_delay_alu instid0(SALU_CYCLE_1)
	s_or_b32 exec_lo, exec_lo, s10
	s_and_saveexec_b32 s9, s8
	s_cbranch_execz .LBB253_173
.LBB253_213:
	v_lshlrev_b32_e32 v1, 16, v11
	s_mov_b32 s10, exec_lo
	s_delay_alu instid0(VALU_DEP_1)
	v_cmpx_o_f32_e32 v1, v1
	s_cbranch_execz .LBB253_217
; %bb.214:
	s_waitcnt vmcnt(0)
	v_lshlrev_b32_e32 v2, 16, v13
	s_mov_b32 s11, exec_lo
	s_delay_alu instid0(VALU_DEP_1)
	v_cmpx_o_f32_e32 v2, v2
; %bb.215:
	v_cmp_lt_f32_e64 s8, v1, v2
	s_delay_alu instid0(VALU_DEP_1)
	v_cndmask_b32_e64 v13, v11, v13, s8
; %bb.216:
	s_or_b32 exec_lo, exec_lo, s11
	s_delay_alu instid0(VALU_DEP_1)
	v_mov_b32_e32 v11, v13
.LBB253_217:
	s_or_b32 exec_lo, exec_lo, s10
	s_delay_alu instid0(SALU_CYCLE_1)
	s_or_b32 exec_lo, exec_lo, s9
	s_and_saveexec_b32 s8, s7
	s_cbranch_execz .LBB253_174
.LBB253_218:
	v_lshlrev_b32_e32 v1, 16, v11
	s_mov_b32 s9, exec_lo
	s_delay_alu instid0(VALU_DEP_1)
	v_cmpx_o_f32_e32 v1, v1
	s_cbranch_execz .LBB253_222
; %bb.219:
	s_waitcnt vmcnt(0)
	v_lshlrev_b32_e32 v2, 16, v12
	s_mov_b32 s10, exec_lo
	s_delay_alu instid0(VALU_DEP_1)
	v_cmpx_o_f32_e32 v2, v2
; %bb.220:
	v_cmp_lt_f32_e64 s7, v1, v2
	s_delay_alu instid0(VALU_DEP_1)
	v_cndmask_b32_e64 v12, v11, v12, s7
; %bb.221:
	s_or_b32 exec_lo, exec_lo, s10
	s_delay_alu instid0(VALU_DEP_1)
	v_mov_b32_e32 v11, v12
.LBB253_222:
	s_or_b32 exec_lo, exec_lo, s9
	s_delay_alu instid0(SALU_CYCLE_1)
	s_or_b32 exec_lo, exec_lo, s8
	s_and_saveexec_b32 s7, s6
	s_cbranch_execz .LBB253_175
.LBB253_223:
	v_lshlrev_b32_e32 v1, 16, v11
	s_mov_b32 s8, exec_lo
	s_delay_alu instid0(VALU_DEP_1)
	v_cmpx_o_f32_e32 v1, v1
	s_cbranch_execz .LBB253_227
; %bb.224:
	s_waitcnt vmcnt(0)
	v_lshlrev_b32_e32 v2, 16, v10
	s_mov_b32 s9, exec_lo
	s_delay_alu instid0(VALU_DEP_1)
	v_cmpx_o_f32_e32 v2, v2
; %bb.225:
	v_cmp_lt_f32_e64 s6, v1, v2
	s_delay_alu instid0(VALU_DEP_1)
	v_cndmask_b32_e64 v10, v11, v10, s6
; %bb.226:
	s_or_b32 exec_lo, exec_lo, s9
	s_delay_alu instid0(VALU_DEP_1)
	v_mov_b32_e32 v11, v10
.LBB253_227:
	s_or_b32 exec_lo, exec_lo, s8
	s_delay_alu instid0(SALU_CYCLE_1)
	s_or_b32 exec_lo, exec_lo, s7
	s_and_saveexec_b32 s6, s5
	s_cbranch_execz .LBB253_176
.LBB253_228:
	v_lshlrev_b32_e32 v1, 16, v11
	s_mov_b32 s7, exec_lo
	s_delay_alu instid0(VALU_DEP_1)
	v_cmpx_o_f32_e32 v1, v1
	s_cbranch_execz .LBB253_232
; %bb.229:
	s_waitcnt vmcnt(0)
	v_lshlrev_b32_e32 v2, 16, v9
	s_mov_b32 s8, exec_lo
	s_delay_alu instid0(VALU_DEP_1)
	v_cmpx_o_f32_e32 v2, v2
; %bb.230:
	v_cmp_lt_f32_e64 s5, v1, v2
	s_delay_alu instid0(VALU_DEP_1)
	v_cndmask_b32_e64 v9, v11, v9, s5
; %bb.231:
	s_or_b32 exec_lo, exec_lo, s8
	s_delay_alu instid0(VALU_DEP_1)
	v_mov_b32_e32 v11, v9
.LBB253_232:
	s_or_b32 exec_lo, exec_lo, s7
	s_delay_alu instid0(SALU_CYCLE_1)
	s_or_b32 exec_lo, exec_lo, s6
	s_and_saveexec_b32 s5, s4
	s_cbranch_execz .LBB253_177
.LBB253_233:
	v_lshlrev_b32_e32 v1, 16, v11
	s_mov_b32 s6, exec_lo
	s_delay_alu instid0(VALU_DEP_1)
	v_cmpx_o_f32_e32 v1, v1
	s_cbranch_execz .LBB253_237
; %bb.234:
	s_waitcnt vmcnt(0)
	v_lshlrev_b32_e32 v2, 16, v8
	s_mov_b32 s7, exec_lo
	s_delay_alu instid0(VALU_DEP_1)
	v_cmpx_o_f32_e32 v2, v2
; %bb.235:
	v_cmp_lt_f32_e64 s4, v1, v2
	s_delay_alu instid0(VALU_DEP_1)
	v_cndmask_b32_e64 v8, v11, v8, s4
; %bb.236:
	s_or_b32 exec_lo, exec_lo, s7
	s_delay_alu instid0(VALU_DEP_1)
	v_mov_b32_e32 v11, v8
.LBB253_237:
	s_or_b32 exec_lo, exec_lo, s6
	s_delay_alu instid0(SALU_CYCLE_1)
	s_or_b32 exec_lo, exec_lo, s5
	s_and_saveexec_b32 s4, s3
	s_cbranch_execz .LBB253_178
.LBB253_238:
	v_lshlrev_b32_e32 v1, 16, v11
	s_mov_b32 s5, exec_lo
	s_delay_alu instid0(VALU_DEP_1)
	v_cmpx_o_f32_e32 v1, v1
	s_cbranch_execz .LBB253_242
; %bb.239:
	s_waitcnt vmcnt(0)
	v_lshlrev_b32_e32 v2, 16, v7
	s_mov_b32 s6, exec_lo
	s_delay_alu instid0(VALU_DEP_1)
	v_cmpx_o_f32_e32 v2, v2
; %bb.240:
	v_cmp_lt_f32_e64 s3, v1, v2
	s_delay_alu instid0(VALU_DEP_1)
	v_cndmask_b32_e64 v7, v11, v7, s3
; %bb.241:
	s_or_b32 exec_lo, exec_lo, s6
	s_delay_alu instid0(VALU_DEP_1)
	v_mov_b32_e32 v11, v7
.LBB253_242:
	s_or_b32 exec_lo, exec_lo, s5
	s_delay_alu instid0(SALU_CYCLE_1)
	s_or_b32 exec_lo, exec_lo, s4
	s_and_saveexec_b32 s3, s2
	s_cbranch_execz .LBB253_179
.LBB253_243:
	v_lshlrev_b32_e32 v1, 16, v11
	s_mov_b32 s4, exec_lo
	s_delay_alu instid0(VALU_DEP_1)
	v_cmpx_o_f32_e32 v1, v1
	s_cbranch_execz .LBB253_247
; %bb.244:
	s_waitcnt vmcnt(0)
	v_lshlrev_b32_e32 v2, 16, v6
	s_mov_b32 s5, exec_lo
	s_delay_alu instid0(VALU_DEP_1)
	v_cmpx_o_f32_e32 v2, v2
; %bb.245:
	v_cmp_lt_f32_e64 s2, v1, v2
	s_delay_alu instid0(VALU_DEP_1)
	v_cndmask_b32_e64 v6, v11, v6, s2
; %bb.246:
	s_or_b32 exec_lo, exec_lo, s5
	s_delay_alu instid0(VALU_DEP_1)
	v_mov_b32_e32 v11, v6
.LBB253_247:
	s_or_b32 exec_lo, exec_lo, s4
	s_delay_alu instid0(SALU_CYCLE_1)
	s_or_b32 exec_lo, exec_lo, s3
	s_and_saveexec_b32 s2, s1
	s_cbranch_execz .LBB253_180
.LBB253_248:
	v_lshlrev_b32_e32 v1, 16, v11
	s_mov_b32 s3, exec_lo
	s_delay_alu instid0(VALU_DEP_1)
	v_cmpx_o_f32_e32 v1, v1
	s_cbranch_execz .LBB253_252
; %bb.249:
	s_waitcnt vmcnt(0)
	v_lshlrev_b32_e32 v2, 16, v5
	s_mov_b32 s4, exec_lo
	s_delay_alu instid0(VALU_DEP_1)
	v_cmpx_o_f32_e32 v2, v2
; %bb.250:
	v_cmp_lt_f32_e64 s1, v1, v2
	s_delay_alu instid0(VALU_DEP_1)
	v_cndmask_b32_e64 v5, v11, v5, s1
; %bb.251:
	s_or_b32 exec_lo, exec_lo, s4
	s_delay_alu instid0(VALU_DEP_1)
	v_mov_b32_e32 v11, v5
.LBB253_252:
	s_or_b32 exec_lo, exec_lo, s3
	s_delay_alu instid0(SALU_CYCLE_1)
	s_or_b32 exec_lo, exec_lo, s2
	s_and_saveexec_b32 s1, s0
	s_cbranch_execz .LBB253_181
.LBB253_253:
	v_lshlrev_b32_e32 v1, 16, v11
	s_mov_b32 s2, exec_lo
	s_delay_alu instid0(VALU_DEP_1)
	v_cmpx_o_f32_e32 v1, v1
	s_cbranch_execz .LBB253_257
; %bb.254:
	s_waitcnt vmcnt(0)
	v_lshlrev_b32_e32 v2, 16, v4
	s_mov_b32 s3, exec_lo
	s_delay_alu instid0(VALU_DEP_1)
	v_cmpx_o_f32_e32 v2, v2
; %bb.255:
	v_cmp_lt_f32_e64 s0, v1, v2
	s_delay_alu instid0(VALU_DEP_1)
	v_cndmask_b32_e64 v4, v11, v4, s0
; %bb.256:
	s_or_b32 exec_lo, exec_lo, s3
	s_delay_alu instid0(VALU_DEP_1)
	v_mov_b32_e32 v11, v4
.LBB253_257:
	s_or_b32 exec_lo, exec_lo, s2
	s_delay_alu instid0(SALU_CYCLE_1)
	s_or_b32 exec_lo, exec_lo, s1
	s_and_saveexec_b32 s0, vcc_lo
	s_cbranch_execz .LBB253_263
.LBB253_258:
	v_lshlrev_b32_e32 v1, 16, v11
	s_mov_b32 s1, exec_lo
	s_delay_alu instid0(VALU_DEP_1)
	v_cmpx_o_f32_e32 v1, v1
	s_cbranch_execz .LBB253_262
; %bb.259:
	s_waitcnt vmcnt(0)
	v_lshlrev_b32_e32 v2, 16, v3
	s_mov_b32 s2, exec_lo
	s_delay_alu instid0(VALU_DEP_1)
	v_cmpx_o_f32_e32 v2, v2
; %bb.260:
	v_cmp_lt_f32_e32 vcc_lo, v1, v2
	v_cndmask_b32_e32 v3, v11, v3, vcc_lo
; %bb.261:
	s_or_b32 exec_lo, exec_lo, s2
	s_delay_alu instid0(VALU_DEP_1)
	v_mov_b32_e32 v11, v3
.LBB253_262:
	s_or_b32 exec_lo, exec_lo, s1
.LBB253_263:
	s_delay_alu instid0(SALU_CYCLE_1) | instskip(SKIP_1) | instid1(VALU_DEP_1)
	s_or_b32 exec_lo, exec_lo, s0
	s_waitcnt vmcnt(0)
	v_and_b32_e32 v3, 0xffff, v11
	s_mov_b32 s0, exec_lo
	s_delay_alu instid0(VALU_DEP_1) | instskip(NEXT) | instid1(VALU_DEP_1)
	v_mov_b32_dpp v1, v3 quad_perm:[1,0,3,2] row_mask:0xf bank_mask:0xf
	v_lshlrev_b32_e32 v2, 16, v1
	s_delay_alu instid0(VALU_DEP_1)
	v_cmpx_o_f32_e32 v2, v2
	s_xor_b32 s0, exec_lo, s0
	s_cbranch_execz .LBB253_267
; %bb.264:
	v_lshlrev_b32_e32 v3, 16, v3
	s_mov_b32 s1, exec_lo
	s_delay_alu instid0(VALU_DEP_1)
	v_cmpx_o_f32_e32 v3, v3
; %bb.265:
	v_cmp_lt_f32_e32 vcc_lo, v2, v3
	v_cndmask_b32_e32 v11, v1, v11, vcc_lo
; %bb.266:
	s_or_b32 exec_lo, exec_lo, s1
	s_delay_alu instid0(VALU_DEP_1)
	v_mov_b32_e32 v1, v11
.LBB253_267:
	s_or_b32 exec_lo, exec_lo, s0
	s_delay_alu instid0(VALU_DEP_1) | instskip(SKIP_1) | instid1(VALU_DEP_1)
	v_and_b32_e32 v4, 0xffff, v1
	s_mov_b32 s0, exec_lo
	v_mov_b32_dpp v2, v4 quad_perm:[2,3,0,1] row_mask:0xf bank_mask:0xf
	s_delay_alu instid0(VALU_DEP_1) | instskip(NEXT) | instid1(VALU_DEP_1)
	v_lshlrev_b32_e32 v3, 16, v2
	v_cmpx_o_f32_e32 v3, v3
	s_cbranch_execz .LBB253_271
; %bb.268:
	v_lshlrev_b32_e32 v4, 16, v4
	s_mov_b32 s1, exec_lo
	s_delay_alu instid0(VALU_DEP_1)
	v_cmpx_o_f32_e32 v4, v4
; %bb.269:
	v_cmp_lt_f32_e32 vcc_lo, v3, v4
	v_cndmask_b32_e32 v1, v2, v1, vcc_lo
; %bb.270:
	s_or_b32 exec_lo, exec_lo, s1
	s_delay_alu instid0(VALU_DEP_1)
	v_mov_b32_e32 v2, v1
.LBB253_271:
	s_or_b32 exec_lo, exec_lo, s0
	s_delay_alu instid0(VALU_DEP_1) | instskip(SKIP_1) | instid1(VALU_DEP_1)
	v_and_b32_e32 v4, 0xffff, v2
	s_mov_b32 s0, exec_lo
	v_mov_b32_dpp v1, v4 row_ror:4 row_mask:0xf bank_mask:0xf
	s_delay_alu instid0(VALU_DEP_1) | instskip(NEXT) | instid1(VALU_DEP_1)
	v_lshlrev_b32_e32 v3, 16, v1
	v_cmpx_o_f32_e32 v3, v3
	s_cbranch_execz .LBB253_275
; %bb.272:
	v_lshlrev_b32_e32 v4, 16, v4
	s_mov_b32 s1, exec_lo
	s_delay_alu instid0(VALU_DEP_1)
	v_cmpx_o_f32_e32 v4, v4
; %bb.273:
	v_cmp_lt_f32_e32 vcc_lo, v3, v4
	v_cndmask_b32_e32 v2, v1, v2, vcc_lo
; %bb.274:
	s_or_b32 exec_lo, exec_lo, s1
	s_delay_alu instid0(VALU_DEP_1)
	v_mov_b32_e32 v1, v2
.LBB253_275:
	s_or_b32 exec_lo, exec_lo, s0
	s_delay_alu instid0(VALU_DEP_1) | instskip(SKIP_1) | instid1(VALU_DEP_1)
	v_and_b32_e32 v4, 0xffff, v1
	s_mov_b32 s0, exec_lo
	v_mov_b32_dpp v2, v4 row_ror:8 row_mask:0xf bank_mask:0xf
	s_delay_alu instid0(VALU_DEP_1) | instskip(NEXT) | instid1(VALU_DEP_1)
	v_lshlrev_b32_e32 v3, 16, v2
	v_cmpx_o_f32_e32 v3, v3
	s_cbranch_execz .LBB253_279
; %bb.276:
	v_lshlrev_b32_e32 v4, 16, v4
	s_mov_b32 s1, exec_lo
	s_delay_alu instid0(VALU_DEP_1)
	v_cmpx_o_f32_e32 v4, v4
; %bb.277:
	v_cmp_lt_f32_e32 vcc_lo, v3, v4
	v_cndmask_b32_e32 v1, v2, v1, vcc_lo
; %bb.278:
	s_or_b32 exec_lo, exec_lo, s1
	s_delay_alu instid0(VALU_DEP_1)
	v_mov_b32_e32 v2, v1
.LBB253_279:
	s_or_b32 exec_lo, exec_lo, s0
	s_delay_alu instid0(VALU_DEP_1) | instskip(SKIP_4) | instid1(VALU_DEP_1)
	v_and_b32_e32 v4, 0xffff, v2
	s_mov_b32 s0, exec_lo
	ds_swizzle_b32 v1, v4 offset:swizzle(BROADCAST,32,15)
	s_waitcnt lgkmcnt(0)
	v_lshlrev_b32_e32 v3, 16, v1
	v_cmpx_o_f32_e32 v3, v3
	s_cbranch_execz .LBB253_283
; %bb.280:
	v_lshlrev_b32_e32 v4, 16, v4
	s_mov_b32 s1, exec_lo
	s_delay_alu instid0(VALU_DEP_1)
	v_cmpx_o_f32_e32 v4, v4
; %bb.281:
	v_cmp_lt_f32_e32 vcc_lo, v3, v4
	v_cndmask_b32_e32 v2, v1, v2, vcc_lo
; %bb.282:
	s_or_b32 exec_lo, exec_lo, s1
	s_delay_alu instid0(VALU_DEP_1)
	v_mov_b32_e32 v1, v2
.LBB253_283:
	s_or_b32 exec_lo, exec_lo, s0
	s_delay_alu instid0(VALU_DEP_1) | instskip(SKIP_3) | instid1(VALU_DEP_1)
	v_dual_mov_b32 v2, 0 :: v_dual_and_b32 v1, 0xffff, v1
	s_mov_b32 s0, exec_lo
	ds_bpermute_b32 v2, v2, v1 offset:124
	v_mbcnt_lo_u32_b32 v1, -1, 0
	v_cmpx_eq_u32_e32 0, v1
	s_cbranch_execz .LBB253_285
; %bb.284:
	v_lshrrev_b32_e32 v3, 4, v0
	s_delay_alu instid0(VALU_DEP_1)
	v_and_b32_e32 v3, 14, v3
	s_waitcnt lgkmcnt(0)
	ds_store_b16 v3, v2
.LBB253_285:
	s_or_b32 exec_lo, exec_lo, s0
	s_delay_alu instid0(SALU_CYCLE_1)
	s_mov_b32 s0, exec_lo
	s_waitcnt lgkmcnt(0)
	s_barrier
	buffer_gl0_inv
	v_cmpx_gt_u32_e32 32, v0
	s_cbranch_execz .LBB253_299
; %bb.286:
	v_and_b32_e32 v3, 7, v1
	s_mov_b32 s1, exec_lo
	s_delay_alu instid0(VALU_DEP_1) | instskip(SKIP_3) | instid1(VALU_DEP_1)
	v_lshlrev_b32_e32 v2, 1, v3
	v_cmp_ne_u32_e32 vcc_lo, 7, v3
	ds_load_u16 v2, v2
	v_add_co_ci_u32_e32 v4, vcc_lo, 0, v1, vcc_lo
	v_lshlrev_b32_e32 v4, 2, v4
	s_waitcnt lgkmcnt(0)
	v_and_b32_e32 v5, 0xffff, v2
	ds_bpermute_b32 v4, v4, v5
	v_lshlrev_b32_e32 v5, 16, v2
	s_delay_alu instid0(VALU_DEP_1)
	v_cmpx_o_f32_e32 v5, v5
	s_cbranch_execz .LBB253_290
; %bb.287:
	s_waitcnt lgkmcnt(0)
	v_lshlrev_b32_e32 v6, 16, v4
	s_mov_b32 s2, exec_lo
	s_delay_alu instid0(VALU_DEP_1)
	v_cmpx_o_f32_e32 v6, v6
; %bb.288:
	v_cmp_lt_f32_e32 vcc_lo, v5, v6
	v_cndmask_b32_e32 v4, v2, v4, vcc_lo
; %bb.289:
	s_or_b32 exec_lo, exec_lo, s2
	s_delay_alu instid0(VALU_DEP_1)
	v_mov_b32_e32 v2, v4
.LBB253_290:
	s_or_b32 exec_lo, exec_lo, s1
	v_cmp_gt_u32_e32 vcc_lo, 6, v3
	s_delay_alu instid0(VALU_DEP_2) | instskip(SKIP_3) | instid1(VALU_DEP_1)
	v_and_b32_e32 v5, 0xffff, v2
	s_mov_b32 s1, exec_lo
	s_waitcnt lgkmcnt(0)
	v_cndmask_b32_e64 v4, 0, 1, vcc_lo
	v_lshlrev_b32_e32 v4, 1, v4
	s_delay_alu instid0(VALU_DEP_1) | instskip(SKIP_2) | instid1(VALU_DEP_1)
	v_add_lshl_u32 v4, v4, v1, 2
	ds_bpermute_b32 v4, v4, v5
	v_lshlrev_b32_e32 v5, 16, v2
	v_cmpx_o_f32_e32 v5, v5
	s_cbranch_execz .LBB253_294
; %bb.291:
	s_waitcnt lgkmcnt(0)
	v_lshlrev_b32_e32 v6, 16, v4
	s_mov_b32 s2, exec_lo
	s_delay_alu instid0(VALU_DEP_1)
	v_cmpx_o_f32_e32 v6, v6
; %bb.292:
	v_cmp_lt_f32_e32 vcc_lo, v5, v6
	v_cndmask_b32_e32 v4, v2, v4, vcc_lo
; %bb.293:
	s_or_b32 exec_lo, exec_lo, s2
	s_delay_alu instid0(VALU_DEP_1)
	v_mov_b32_e32 v2, v4
.LBB253_294:
	s_or_b32 exec_lo, exec_lo, s1
	v_cmp_gt_u32_e32 vcc_lo, 4, v3
	s_waitcnt lgkmcnt(0)
	s_delay_alu instid0(VALU_DEP_2) | instskip(SKIP_2) | instid1(VALU_DEP_1)
	v_and_b32_e32 v4, 0xffff, v2
	s_mov_b32 s1, exec_lo
	v_cndmask_b32_e64 v3, 0, 1, vcc_lo
	v_lshlrev_b32_e32 v3, 2, v3
	s_delay_alu instid0(VALU_DEP_1)
	v_add_lshl_u32 v1, v3, v1, 2
	v_lshlrev_b32_e32 v3, 16, v2
	ds_bpermute_b32 v1, v1, v4
	v_cmpx_o_f32_e32 v3, v3
	s_cbranch_execz .LBB253_298
; %bb.295:
	s_waitcnt lgkmcnt(0)
	v_lshlrev_b32_e32 v4, 16, v1
	s_mov_b32 s2, exec_lo
	s_delay_alu instid0(VALU_DEP_1)
	v_cmpx_o_f32_e32 v4, v4
; %bb.296:
	v_cmp_lt_f32_e32 vcc_lo, v3, v4
	v_cndmask_b32_e32 v1, v2, v1, vcc_lo
; %bb.297:
	s_or_b32 exec_lo, exec_lo, s2
	s_delay_alu instid0(VALU_DEP_1)
	v_mov_b32_e32 v2, v1
.LBB253_298:
	s_or_b32 exec_lo, exec_lo, s1
.LBB253_299:
	s_delay_alu instid0(SALU_CYCLE_1)
	s_or_b32 exec_lo, exec_lo, s0
	s_branch .LBB253_402
.LBB253_300:
	s_sub_i32 s1, s22, s26
	s_mov_b32 s2, exec_lo
                                        ; implicit-def: $vgpr5
	v_cmpx_gt_u32_e64 s1, v0
	s_cbranch_execz .LBB253_310
; %bb.301:
	s_waitcnt lgkmcnt(0)
	v_add_co_u32 v1, s0, s26, v0
	s_delay_alu instid0(VALU_DEP_1) | instskip(SKIP_1) | instid1(VALU_DEP_1)
	v_add_co_ci_u32_e64 v2, null, s27, 0, s0
	s_mov_b32 s3, exec_lo
	v_lshlrev_b64 v[3:4], 1, v[1:2]
	s_delay_alu instid0(VALU_DEP_1) | instskip(NEXT) | instid1(VALU_DEP_2)
	v_add_co_u32 v3, vcc_lo, s16, v3
	v_add_co_ci_u32_e32 v4, vcc_lo, s17, v4, vcc_lo
	v_add_co_u32 v1, vcc_lo, 0x100, v1
	v_add_co_ci_u32_e32 v2, vcc_lo, 0, v2, vcc_lo
	global_load_u16 v5, v[3:4], off
	v_cmpx_gt_i64_e64 s[22:23], v[1:2]
	s_cbranch_execz .LBB253_309
; %bb.302:
	v_add_co_u32 v3, vcc_lo, 0x200, v3
	v_add_co_ci_u32_e32 v4, vcc_lo, 0, v4, vcc_lo
	s_mov_b32 s4, 0
	s_set_inst_prefetch_distance 0x1
	s_branch .LBB253_305
	.p2align	6
.LBB253_303:                            ;   in Loop: Header=BB253_305 Depth=1
	s_or_b32 exec_lo, exec_lo, s5
	s_delay_alu instid0(VALU_DEP_1)
	v_mov_b32_e32 v5, v7
.LBB253_304:                            ;   in Loop: Header=BB253_305 Depth=1
	s_or_b32 exec_lo, exec_lo, s0
	v_add_co_u32 v1, vcc_lo, 0x100, v1
	v_add_co_ci_u32_e32 v2, vcc_lo, 0, v2, vcc_lo
	v_add_co_u32 v3, s0, 0x200, v3
	s_delay_alu instid0(VALU_DEP_1) | instskip(NEXT) | instid1(VALU_DEP_3)
	v_add_co_ci_u32_e64 v4, s0, 0, v4, s0
	v_cmp_le_i64_e32 vcc_lo, s[22:23], v[1:2]
	s_or_b32 s4, vcc_lo, s4
	s_delay_alu instid0(SALU_CYCLE_1)
	s_and_not1_b32 exec_lo, exec_lo, s4
	s_cbranch_execz .LBB253_308
.LBB253_305:                            ; =>This Inner Loop Header: Depth=1
	s_waitcnt vmcnt(0)
	v_lshlrev_b32_e32 v6, 16, v5
	s_mov_b32 s0, exec_lo
	s_delay_alu instid0(VALU_DEP_1)
	v_cmpx_o_f32_e32 v6, v6
	s_cbranch_execz .LBB253_304
; %bb.306:                              ;   in Loop: Header=BB253_305 Depth=1
	global_load_u16 v7, v[3:4], off
	s_mov_b32 s5, exec_lo
	s_waitcnt vmcnt(0)
	v_lshlrev_b32_e32 v8, 16, v7
	s_delay_alu instid0(VALU_DEP_1)
	v_cmpx_o_f32_e32 v8, v8
	s_cbranch_execz .LBB253_303
; %bb.307:                              ;   in Loop: Header=BB253_305 Depth=1
	v_cmp_lt_f32_e32 vcc_lo, v6, v8
	v_cndmask_b32_e32 v7, v5, v7, vcc_lo
	s_branch .LBB253_303
.LBB253_308:
	s_set_inst_prefetch_distance 0x2
	s_or_b32 exec_lo, exec_lo, s4
.LBB253_309:
	s_delay_alu instid0(SALU_CYCLE_1)
	s_or_b32 exec_lo, exec_lo, s3
.LBB253_310:
	s_delay_alu instid0(SALU_CYCLE_1)
	s_or_b32 exec_lo, exec_lo, s2
	v_lshrrev_b32_e32 v3, 5, v0
	s_waitcnt lgkmcnt(0)
	v_mbcnt_lo_u32_b32 v1, -1, 0
	s_waitcnt vmcnt(0)
	v_and_b32_e32 v4, 0xffff, v5
	s_cmpk_lt_u32 s1, 0x100
	s_mov_b32 s0, -1
	s_cbranch_scc0 .LBB253_364
; %bb.311:
	v_cmp_ne_u32_e32 vcc_lo, 31, v1
	v_mov_b32_e32 v7, v4
	v_add_co_ci_u32_e32 v2, vcc_lo, 0, v1, vcc_lo
	s_delay_alu instid0(VALU_DEP_1) | instskip(SKIP_2) | instid1(VALU_DEP_1)
	v_lshlrev_b32_e32 v2, 2, v2
	ds_bpermute_b32 v8, v2, v4
	v_and_b32_e32 v2, 0xe0, v0
	v_sub_nc_u32_e64 v6, s1, v2 clamp
	v_add_nc_u32_e32 v2, 1, v1
	s_delay_alu instid0(VALU_DEP_1)
	v_cmp_lt_u32_e32 vcc_lo, v2, v6
	v_mov_b32_e32 v2, v5
	s_and_saveexec_b32 s0, vcc_lo
	s_cbranch_execz .LBB253_317
; %bb.312:
	v_dual_mov_b32 v2, v5 :: v_dual_lshlrev_b32 v7, 16, v4
	s_mov_b32 s2, exec_lo
	s_delay_alu instid0(VALU_DEP_1)
	v_cmpx_o_f32_e32 v7, v7
	s_cbranch_execz .LBB253_316
; %bb.313:
	s_waitcnt lgkmcnt(0)
	v_lshlrev_b32_e32 v2, 16, v8
	s_mov_b32 s3, exec_lo
	s_delay_alu instid0(VALU_DEP_1)
	v_cmpx_o_f32_e32 v2, v2
; %bb.314:
	v_cmp_lt_f32_e32 vcc_lo, v7, v2
	v_cndmask_b32_e32 v8, v5, v8, vcc_lo
; %bb.315:
	s_or_b32 exec_lo, exec_lo, s3
	s_delay_alu instid0(VALU_DEP_1)
	v_mov_b32_e32 v2, v8
.LBB253_316:
	s_or_b32 exec_lo, exec_lo, s2
	s_delay_alu instid0(VALU_DEP_1)
	v_and_b32_e32 v7, 0xffff, v2
.LBB253_317:
	s_or_b32 exec_lo, exec_lo, s0
	v_cmp_gt_u32_e32 vcc_lo, 30, v1
	v_add_nc_u32_e32 v9, 2, v1
	s_mov_b32 s0, exec_lo
	s_waitcnt lgkmcnt(0)
	v_cndmask_b32_e64 v8, 0, 1, vcc_lo
	s_delay_alu instid0(VALU_DEP_1) | instskip(NEXT) | instid1(VALU_DEP_1)
	v_lshlrev_b32_e32 v8, 1, v8
	v_add_lshl_u32 v8, v8, v1, 2
	ds_bpermute_b32 v8, v8, v7
	v_cmpx_lt_u32_e64 v9, v6
	s_cbranch_execz .LBB253_323
; %bb.318:
	v_lshlrev_b32_e32 v7, 16, v7
	s_mov_b32 s2, exec_lo
	s_delay_alu instid0(VALU_DEP_1)
	v_cmpx_o_f32_e32 v7, v7
	s_cbranch_execz .LBB253_322
; %bb.319:
	s_waitcnt lgkmcnt(0)
	v_lshlrev_b32_e32 v9, 16, v8
	s_mov_b32 s3, exec_lo
	s_delay_alu instid0(VALU_DEP_1)
	v_cmpx_o_f32_e32 v9, v9
; %bb.320:
	v_cmp_lt_f32_e32 vcc_lo, v7, v9
	v_cndmask_b32_e32 v8, v2, v8, vcc_lo
; %bb.321:
	s_or_b32 exec_lo, exec_lo, s3
	s_delay_alu instid0(VALU_DEP_1)
	v_mov_b32_e32 v2, v8
.LBB253_322:
	s_or_b32 exec_lo, exec_lo, s2
	s_delay_alu instid0(VALU_DEP_1)
	v_and_b32_e32 v7, 0xffff, v2
.LBB253_323:
	s_or_b32 exec_lo, exec_lo, s0
	v_cmp_gt_u32_e32 vcc_lo, 28, v1
	v_add_nc_u32_e32 v9, 4, v1
	s_mov_b32 s0, exec_lo
	s_waitcnt lgkmcnt(0)
	v_cndmask_b32_e64 v8, 0, 1, vcc_lo
	s_delay_alu instid0(VALU_DEP_1) | instskip(NEXT) | instid1(VALU_DEP_1)
	v_lshlrev_b32_e32 v8, 2, v8
	v_add_lshl_u32 v8, v8, v1, 2
	ds_bpermute_b32 v8, v8, v7
	v_cmpx_lt_u32_e64 v9, v6
	s_cbranch_execz .LBB253_329
; %bb.324:
	v_lshlrev_b32_e32 v7, 16, v7
	s_mov_b32 s2, exec_lo
	s_delay_alu instid0(VALU_DEP_1)
	v_cmpx_o_f32_e32 v7, v7
	s_cbranch_execz .LBB253_328
; %bb.325:
	s_waitcnt lgkmcnt(0)
	v_lshlrev_b32_e32 v9, 16, v8
	s_mov_b32 s3, exec_lo
	s_delay_alu instid0(VALU_DEP_1)
	v_cmpx_o_f32_e32 v9, v9
; %bb.326:
	v_cmp_lt_f32_e32 vcc_lo, v7, v9
	v_cndmask_b32_e32 v8, v2, v8, vcc_lo
; %bb.327:
	s_or_b32 exec_lo, exec_lo, s3
	s_delay_alu instid0(VALU_DEP_1)
	v_mov_b32_e32 v2, v8
.LBB253_328:
	s_or_b32 exec_lo, exec_lo, s2
	s_delay_alu instid0(VALU_DEP_1)
	v_and_b32_e32 v7, 0xffff, v2
.LBB253_329:
	;; [unrolled: 36-line block ×3, first 2 shown]
	s_or_b32 exec_lo, exec_lo, s0
	v_cmp_gt_u32_e32 vcc_lo, 16, v1
	v_add_nc_u32_e32 v9, 16, v1
	s_mov_b32 s0, exec_lo
	s_waitcnt lgkmcnt(0)
	v_cndmask_b32_e64 v8, 0, 1, vcc_lo
	s_delay_alu instid0(VALU_DEP_1) | instskip(NEXT) | instid1(VALU_DEP_1)
	v_lshlrev_b32_e32 v8, 4, v8
	v_add_lshl_u32 v8, v8, v1, 2
	ds_bpermute_b32 v8, v8, v7
	v_cmpx_lt_u32_e64 v9, v6
	s_cbranch_execz .LBB253_341
; %bb.336:
	v_lshlrev_b32_e32 v6, 16, v7
	s_mov_b32 s2, exec_lo
	s_delay_alu instid0(VALU_DEP_1)
	v_cmpx_o_f32_e32 v6, v6
	s_cbranch_execz .LBB253_340
; %bb.337:
	s_waitcnt lgkmcnt(0)
	v_lshlrev_b32_e32 v7, 16, v8
	s_mov_b32 s3, exec_lo
	s_delay_alu instid0(VALU_DEP_1)
	v_cmpx_o_f32_e32 v7, v7
; %bb.338:
	v_cmp_lt_f32_e32 vcc_lo, v6, v7
	v_cndmask_b32_e32 v8, v2, v8, vcc_lo
; %bb.339:
	s_or_b32 exec_lo, exec_lo, s3
	s_delay_alu instid0(VALU_DEP_1)
	v_mov_b32_e32 v2, v8
.LBB253_340:
	s_or_b32 exec_lo, exec_lo, s2
.LBB253_341:
	s_delay_alu instid0(SALU_CYCLE_1) | instskip(NEXT) | instid1(SALU_CYCLE_1)
	s_or_b32 exec_lo, exec_lo, s0
	s_mov_b32 s0, exec_lo
	v_cmpx_eq_u32_e32 0, v1
	s_cbranch_execz .LBB253_343
; %bb.342:
	v_lshlrev_b32_e32 v6, 1, v3
	ds_store_b16 v6, v2
.LBB253_343:
	s_or_b32 exec_lo, exec_lo, s0
	s_delay_alu instid0(SALU_CYCLE_1)
	s_mov_b32 s0, exec_lo
	s_waitcnt lgkmcnt(0)
	s_barrier
	buffer_gl0_inv
	v_cmpx_gt_u32_e32 8, v0
	s_cbranch_execz .LBB253_363
; %bb.344:
	v_lshlrev_b32_e32 v2, 1, v1
	v_and_b32_e32 v6, 7, v1
	s_add_i32 s1, s1, 31
	s_mov_b32 s2, exec_lo
	s_lshr_b32 s1, s1, 5
	ds_load_u16 v2, v2
	v_cmp_ne_u32_e32 vcc_lo, 7, v6
	v_add_nc_u32_e32 v9, 1, v6
	v_add_co_ci_u32_e32 v8, vcc_lo, 0, v1, vcc_lo
	s_delay_alu instid0(VALU_DEP_1)
	v_lshlrev_b32_e32 v8, 2, v8
	s_waitcnt lgkmcnt(0)
	v_and_b32_e32 v7, 0xffff, v2
	ds_bpermute_b32 v8, v8, v7
	v_cmpx_gt_u32_e64 s1, v9
	s_cbranch_execz .LBB253_350
; %bb.345:
	v_lshlrev_b32_e32 v7, 16, v7
	s_mov_b32 s3, exec_lo
	s_delay_alu instid0(VALU_DEP_1)
	v_cmpx_o_f32_e32 v7, v7
	s_cbranch_execz .LBB253_349
; %bb.346:
	s_waitcnt lgkmcnt(0)
	v_lshlrev_b32_e32 v9, 16, v8
	s_mov_b32 s4, exec_lo
	s_delay_alu instid0(VALU_DEP_1)
	v_cmpx_o_f32_e32 v9, v9
; %bb.347:
	v_cmp_lt_f32_e32 vcc_lo, v7, v9
	v_cndmask_b32_e32 v8, v2, v8, vcc_lo
; %bb.348:
	s_or_b32 exec_lo, exec_lo, s4
	s_delay_alu instid0(VALU_DEP_1)
	v_mov_b32_e32 v2, v8
.LBB253_349:
	s_or_b32 exec_lo, exec_lo, s3
	s_delay_alu instid0(VALU_DEP_1)
	v_and_b32_e32 v7, 0xffff, v2
.LBB253_350:
	s_or_b32 exec_lo, exec_lo, s2
	v_cmp_gt_u32_e32 vcc_lo, 6, v6
	v_add_nc_u32_e32 v9, 2, v6
	s_mov_b32 s2, exec_lo
	s_waitcnt lgkmcnt(0)
	v_cndmask_b32_e64 v8, 0, 1, vcc_lo
	s_delay_alu instid0(VALU_DEP_1) | instskip(NEXT) | instid1(VALU_DEP_1)
	v_lshlrev_b32_e32 v8, 1, v8
	v_add_lshl_u32 v8, v8, v1, 2
	ds_bpermute_b32 v8, v8, v7
	v_cmpx_gt_u32_e64 s1, v9
	s_cbranch_execz .LBB253_356
; %bb.351:
	v_lshlrev_b32_e32 v7, 16, v7
	s_mov_b32 s3, exec_lo
	s_delay_alu instid0(VALU_DEP_1)
	v_cmpx_o_f32_e32 v7, v7
	s_cbranch_execz .LBB253_355
; %bb.352:
	s_waitcnt lgkmcnt(0)
	v_lshlrev_b32_e32 v9, 16, v8
	s_mov_b32 s4, exec_lo
	s_delay_alu instid0(VALU_DEP_1)
	v_cmpx_o_f32_e32 v9, v9
; %bb.353:
	v_cmp_lt_f32_e32 vcc_lo, v7, v9
	v_cndmask_b32_e32 v8, v2, v8, vcc_lo
; %bb.354:
	s_or_b32 exec_lo, exec_lo, s4
	s_delay_alu instid0(VALU_DEP_1)
	v_mov_b32_e32 v2, v8
.LBB253_355:
	s_or_b32 exec_lo, exec_lo, s3
	s_delay_alu instid0(VALU_DEP_1)
	v_and_b32_e32 v7, 0xffff, v2
.LBB253_356:
	s_or_b32 exec_lo, exec_lo, s2
	v_cmp_gt_u32_e32 vcc_lo, 4, v6
	v_add_nc_u32_e32 v6, 4, v6
	s_waitcnt lgkmcnt(0)
	v_cndmask_b32_e64 v8, 0, 1, vcc_lo
	s_delay_alu instid0(VALU_DEP_2) | instskip(NEXT) | instid1(VALU_DEP_2)
	v_cmp_gt_u32_e32 vcc_lo, s1, v6
	v_lshlrev_b32_e32 v8, 2, v8
	s_delay_alu instid0(VALU_DEP_1)
	v_add_lshl_u32 v8, v8, v1, 2
	ds_bpermute_b32 v8, v8, v7
	s_and_saveexec_b32 s1, vcc_lo
	s_cbranch_execz .LBB253_362
; %bb.357:
	v_lshlrev_b32_e32 v6, 16, v7
	s_mov_b32 s2, exec_lo
	s_delay_alu instid0(VALU_DEP_1)
	v_cmpx_o_f32_e32 v6, v6
	s_cbranch_execz .LBB253_361
; %bb.358:
	s_waitcnt lgkmcnt(0)
	v_lshlrev_b32_e32 v7, 16, v8
	s_mov_b32 s3, exec_lo
	s_delay_alu instid0(VALU_DEP_1)
	v_cmpx_o_f32_e32 v7, v7
; %bb.359:
	v_cmp_lt_f32_e32 vcc_lo, v6, v7
	v_cndmask_b32_e32 v8, v2, v8, vcc_lo
; %bb.360:
	s_or_b32 exec_lo, exec_lo, s3
	s_delay_alu instid0(VALU_DEP_1)
	v_mov_b32_e32 v2, v8
.LBB253_361:
	s_or_b32 exec_lo, exec_lo, s2
.LBB253_362:
	s_delay_alu instid0(SALU_CYCLE_1)
	s_or_b32 exec_lo, exec_lo, s1
.LBB253_363:
	s_delay_alu instid0(SALU_CYCLE_1)
	s_or_b32 exec_lo, exec_lo, s0
	s_branch .LBB253_402
.LBB253_364:
                                        ; implicit-def: $vgpr2
	s_and_b32 vcc_lo, exec_lo, s0
	s_cbranch_vccz .LBB253_402
; %bb.365:
	v_mov_b32_dpp v2, v4 quad_perm:[1,0,3,2] row_mask:0xf bank_mask:0xf
	s_mov_b32 s0, exec_lo
	s_delay_alu instid0(VALU_DEP_1) | instskip(NEXT) | instid1(VALU_DEP_1)
	v_lshlrev_b32_e32 v6, 16, v2
	v_cmpx_o_f32_e32 v6, v6
	s_cbranch_execz .LBB253_369
; %bb.366:
	v_lshlrev_b32_e32 v4, 16, v4
	s_mov_b32 s1, exec_lo
	s_delay_alu instid0(VALU_DEP_1)
	v_cmpx_o_f32_e32 v4, v4
; %bb.367:
	v_cmp_lt_f32_e32 vcc_lo, v6, v4
	v_cndmask_b32_e32 v5, v2, v5, vcc_lo
; %bb.368:
	s_or_b32 exec_lo, exec_lo, s1
	s_delay_alu instid0(VALU_DEP_1)
	v_mov_b32_e32 v2, v5
.LBB253_369:
	s_or_b32 exec_lo, exec_lo, s0
	s_delay_alu instid0(VALU_DEP_1) | instskip(SKIP_1) | instid1(VALU_DEP_1)
	v_and_b32_e32 v6, 0xffff, v2
	s_mov_b32 s0, exec_lo
	v_mov_b32_dpp v4, v6 quad_perm:[2,3,0,1] row_mask:0xf bank_mask:0xf
	s_delay_alu instid0(VALU_DEP_1) | instskip(NEXT) | instid1(VALU_DEP_1)
	v_lshlrev_b32_e32 v5, 16, v4
	v_cmpx_o_f32_e32 v5, v5
	s_cbranch_execz .LBB253_373
; %bb.370:
	v_lshlrev_b32_e32 v6, 16, v6
	s_mov_b32 s1, exec_lo
	s_delay_alu instid0(VALU_DEP_1)
	v_cmpx_o_f32_e32 v6, v6
; %bb.371:
	v_cmp_lt_f32_e32 vcc_lo, v5, v6
	v_cndmask_b32_e32 v2, v4, v2, vcc_lo
; %bb.372:
	s_or_b32 exec_lo, exec_lo, s1
	s_delay_alu instid0(VALU_DEP_1)
	v_mov_b32_e32 v4, v2
.LBB253_373:
	s_or_b32 exec_lo, exec_lo, s0
	s_delay_alu instid0(VALU_DEP_1) | instskip(SKIP_1) | instid1(VALU_DEP_1)
	v_and_b32_e32 v6, 0xffff, v4
	s_mov_b32 s0, exec_lo
	v_mov_b32_dpp v2, v6 row_ror:4 row_mask:0xf bank_mask:0xf
	s_delay_alu instid0(VALU_DEP_1) | instskip(NEXT) | instid1(VALU_DEP_1)
	v_lshlrev_b32_e32 v5, 16, v2
	v_cmpx_o_f32_e32 v5, v5
	s_cbranch_execz .LBB253_377
; %bb.374:
	v_lshlrev_b32_e32 v6, 16, v6
	s_mov_b32 s1, exec_lo
	s_delay_alu instid0(VALU_DEP_1)
	v_cmpx_o_f32_e32 v6, v6
; %bb.375:
	v_cmp_lt_f32_e32 vcc_lo, v5, v6
	v_cndmask_b32_e32 v4, v2, v4, vcc_lo
; %bb.376:
	s_or_b32 exec_lo, exec_lo, s1
	s_delay_alu instid0(VALU_DEP_1)
	v_mov_b32_e32 v2, v4
.LBB253_377:
	s_or_b32 exec_lo, exec_lo, s0
	s_delay_alu instid0(VALU_DEP_1) | instskip(SKIP_1) | instid1(VALU_DEP_1)
	v_and_b32_e32 v6, 0xffff, v2
	s_mov_b32 s0, exec_lo
	v_mov_b32_dpp v4, v6 row_ror:8 row_mask:0xf bank_mask:0xf
	s_delay_alu instid0(VALU_DEP_1) | instskip(NEXT) | instid1(VALU_DEP_1)
	v_lshlrev_b32_e32 v5, 16, v4
	v_cmpx_o_f32_e32 v5, v5
	s_cbranch_execz .LBB253_381
; %bb.378:
	v_lshlrev_b32_e32 v6, 16, v6
	s_mov_b32 s1, exec_lo
	s_delay_alu instid0(VALU_DEP_1)
	v_cmpx_o_f32_e32 v6, v6
; %bb.379:
	v_cmp_lt_f32_e32 vcc_lo, v5, v6
	v_cndmask_b32_e32 v2, v4, v2, vcc_lo
; %bb.380:
	s_or_b32 exec_lo, exec_lo, s1
	s_delay_alu instid0(VALU_DEP_1)
	v_mov_b32_e32 v4, v2
.LBB253_381:
	s_or_b32 exec_lo, exec_lo, s0
	s_delay_alu instid0(VALU_DEP_1) | instskip(SKIP_4) | instid1(VALU_DEP_1)
	v_and_b32_e32 v6, 0xffff, v4
	s_mov_b32 s0, exec_lo
	ds_swizzle_b32 v2, v6 offset:swizzle(BROADCAST,32,15)
	s_waitcnt lgkmcnt(0)
	v_lshlrev_b32_e32 v5, 16, v2
	v_cmpx_o_f32_e32 v5, v5
	s_cbranch_execz .LBB253_385
; %bb.382:
	v_lshlrev_b32_e32 v6, 16, v6
	s_mov_b32 s1, exec_lo
	s_delay_alu instid0(VALU_DEP_1)
	v_cmpx_o_f32_e32 v6, v6
; %bb.383:
	v_cmp_lt_f32_e32 vcc_lo, v5, v6
	v_cndmask_b32_e32 v4, v2, v4, vcc_lo
; %bb.384:
	s_or_b32 exec_lo, exec_lo, s1
	s_delay_alu instid0(VALU_DEP_1)
	v_mov_b32_e32 v2, v4
.LBB253_385:
	s_or_b32 exec_lo, exec_lo, s0
	s_delay_alu instid0(VALU_DEP_1)
	v_and_b32_e32 v2, 0xffff, v2
	v_mov_b32_e32 v4, 0
	s_mov_b32 s0, exec_lo
	ds_bpermute_b32 v2, v4, v2 offset:124
	v_cmpx_eq_u32_e32 0, v1
	s_cbranch_execz .LBB253_387
; %bb.386:
	v_lshlrev_b32_e32 v3, 1, v3
	s_waitcnt lgkmcnt(0)
	ds_store_b16 v3, v2
.LBB253_387:
	s_or_b32 exec_lo, exec_lo, s0
	s_delay_alu instid0(SALU_CYCLE_1)
	s_mov_b32 s0, exec_lo
	s_waitcnt lgkmcnt(0)
	s_barrier
	buffer_gl0_inv
	v_cmpx_gt_u32_e32 32, v0
	s_cbranch_execz .LBB253_401
; %bb.388:
	v_and_b32_e32 v3, 7, v1
	s_mov_b32 s1, exec_lo
	s_delay_alu instid0(VALU_DEP_1) | instskip(SKIP_3) | instid1(VALU_DEP_1)
	v_lshlrev_b32_e32 v2, 1, v3
	v_cmp_ne_u32_e32 vcc_lo, 7, v3
	ds_load_u16 v2, v2
	v_add_co_ci_u32_e32 v4, vcc_lo, 0, v1, vcc_lo
	v_lshlrev_b32_e32 v4, 2, v4
	s_waitcnt lgkmcnt(0)
	v_and_b32_e32 v5, 0xffff, v2
	ds_bpermute_b32 v4, v4, v5
	v_lshlrev_b32_e32 v5, 16, v2
	s_delay_alu instid0(VALU_DEP_1)
	v_cmpx_o_f32_e32 v5, v5
	s_cbranch_execz .LBB253_392
; %bb.389:
	s_waitcnt lgkmcnt(0)
	v_lshlrev_b32_e32 v6, 16, v4
	s_mov_b32 s2, exec_lo
	s_delay_alu instid0(VALU_DEP_1)
	v_cmpx_o_f32_e32 v6, v6
; %bb.390:
	v_cmp_lt_f32_e32 vcc_lo, v5, v6
	v_cndmask_b32_e32 v4, v2, v4, vcc_lo
; %bb.391:
	s_or_b32 exec_lo, exec_lo, s2
	s_delay_alu instid0(VALU_DEP_1)
	v_mov_b32_e32 v2, v4
.LBB253_392:
	s_or_b32 exec_lo, exec_lo, s1
	v_cmp_gt_u32_e32 vcc_lo, 6, v3
	s_delay_alu instid0(VALU_DEP_2) | instskip(SKIP_3) | instid1(VALU_DEP_1)
	v_and_b32_e32 v5, 0xffff, v2
	s_mov_b32 s1, exec_lo
	s_waitcnt lgkmcnt(0)
	v_cndmask_b32_e64 v4, 0, 1, vcc_lo
	v_lshlrev_b32_e32 v4, 1, v4
	s_delay_alu instid0(VALU_DEP_1) | instskip(SKIP_2) | instid1(VALU_DEP_1)
	v_add_lshl_u32 v4, v4, v1, 2
	ds_bpermute_b32 v4, v4, v5
	v_lshlrev_b32_e32 v5, 16, v2
	v_cmpx_o_f32_e32 v5, v5
	s_cbranch_execz .LBB253_396
; %bb.393:
	s_waitcnt lgkmcnt(0)
	v_lshlrev_b32_e32 v6, 16, v4
	s_mov_b32 s2, exec_lo
	s_delay_alu instid0(VALU_DEP_1)
	v_cmpx_o_f32_e32 v6, v6
; %bb.394:
	v_cmp_lt_f32_e32 vcc_lo, v5, v6
	v_cndmask_b32_e32 v4, v2, v4, vcc_lo
; %bb.395:
	s_or_b32 exec_lo, exec_lo, s2
	s_delay_alu instid0(VALU_DEP_1)
	v_mov_b32_e32 v2, v4
.LBB253_396:
	s_or_b32 exec_lo, exec_lo, s1
	v_cmp_gt_u32_e32 vcc_lo, 4, v3
	s_waitcnt lgkmcnt(0)
	s_delay_alu instid0(VALU_DEP_2) | instskip(SKIP_2) | instid1(VALU_DEP_1)
	v_and_b32_e32 v4, 0xffff, v2
	s_mov_b32 s1, exec_lo
	v_cndmask_b32_e64 v3, 0, 1, vcc_lo
	v_lshlrev_b32_e32 v3, 2, v3
	s_delay_alu instid0(VALU_DEP_1)
	v_add_lshl_u32 v1, v3, v1, 2
	v_lshlrev_b32_e32 v3, 16, v2
	ds_bpermute_b32 v1, v1, v4
	v_cmpx_o_f32_e32 v3, v3
	s_cbranch_execz .LBB253_400
; %bb.397:
	s_waitcnt lgkmcnt(0)
	v_lshlrev_b32_e32 v4, 16, v1
	s_mov_b32 s2, exec_lo
	s_delay_alu instid0(VALU_DEP_1)
	v_cmpx_o_f32_e32 v4, v4
; %bb.398:
	v_cmp_lt_f32_e32 vcc_lo, v3, v4
	v_cndmask_b32_e32 v1, v2, v1, vcc_lo
; %bb.399:
	s_or_b32 exec_lo, exec_lo, s2
	s_delay_alu instid0(VALU_DEP_1)
	v_mov_b32_e32 v2, v1
.LBB253_400:
	s_or_b32 exec_lo, exec_lo, s1
.LBB253_401:
	s_delay_alu instid0(SALU_CYCLE_1)
	s_or_b32 exec_lo, exec_lo, s0
.LBB253_402:
	s_delay_alu instid0(SALU_CYCLE_1)
	s_mov_b32 s0, exec_lo
                                        ; implicit-def: $vgpr1
	v_cmpx_eq_u32_e32 0, v0
	s_cbranch_execz .LBB253_408
; %bb.403:
	s_lshl_b32 s1, s15, 16
	s_waitcnt lgkmcnt(0)
	v_mov_b32_e32 v1, s15
	v_cmp_u_f32_e64 s2, s1, s1
	s_delay_alu instid0(VALU_DEP_1)
	s_and_b32 vcc_lo, exec_lo, s2
	s_cbranch_vccnz .LBB253_407
; %bb.404:
	v_lshlrev_b32_e32 v0, 16, v2
	s_mov_b32 s2, exec_lo
	s_delay_alu instid0(VALU_DEP_1)
	v_cmpx_o_f32_e32 v0, v0
; %bb.405:
	v_cmp_lt_f32_e32 vcc_lo, s1, v0
	v_cndmask_b32_e32 v2, s15, v2, vcc_lo
; %bb.406:
	s_or_b32 exec_lo, exec_lo, s2
	s_delay_alu instid0(VALU_DEP_1)
	v_mov_b32_e32 v1, v2
.LBB253_407:
	s_or_b32 s30, s30, exec_lo
.LBB253_408:
	s_or_b32 exec_lo, exec_lo, s0
	s_and_saveexec_b32 s0, s30
	s_cbranch_execz .LBB253_410
.LBB253_409:
	s_lshl_b64 s[0:1], s[20:21], 1
	v_mov_b32_e32 v0, 0
	s_add_u32 s2, s18, s0
	s_addc_u32 s3, s19, s1
	s_lshl_b64 s[0:1], s[24:25], 1
	s_delay_alu instid0(SALU_CYCLE_1)
	s_add_u32 s0, s2, s0
	s_addc_u32 s1, s3, s1
	s_waitcnt lgkmcnt(0)
	global_store_b16 v0, v1, s[0:1]
.LBB253_410:
	s_nop 0
	s_sendmsg sendmsg(MSG_DEALLOC_VGPRS)
	s_endpgm
	.section	.rodata,"a",@progbits
	.p2align	6, 0x0
	.amdhsa_kernel _ZN7rocprim17ROCPRIM_400000_NS6detail17trampoline_kernelINS0_14default_configENS1_32segmented_reduce_config_selectorIN3c108BFloat16EEEZNS1_21segmented_reduce_implIS3_PKS6_PS6_PKlS6_N6hipcub16HIPCUB_304000_NS6detail27convert_result_type_wrapperISA_SB_N2at6native12_GLOBAL__N_19CustomMaxEEEEE10hipError_tPvRmT0_T1_jT2_SS_T4_T3_P12ihipStream_tbEUlT_E_NS1_11comp_targetILNS1_3genE9ELNS1_11target_archE1100ELNS1_3gpuE3ELNS1_3repE0EEENS1_30default_config_static_selectorELNS0_4arch9wavefront6targetE0EEEvSR_
		.amdhsa_group_segment_fixed_size 16
		.amdhsa_private_segment_fixed_size 0
		.amdhsa_kernarg_size 48
		.amdhsa_user_sgpr_count 15
		.amdhsa_user_sgpr_dispatch_ptr 0
		.amdhsa_user_sgpr_queue_ptr 0
		.amdhsa_user_sgpr_kernarg_segment_ptr 1
		.amdhsa_user_sgpr_dispatch_id 0
		.amdhsa_user_sgpr_private_segment_size 0
		.amdhsa_wavefront_size32 1
		.amdhsa_uses_dynamic_stack 0
		.amdhsa_enable_private_segment 0
		.amdhsa_system_sgpr_workgroup_id_x 1
		.amdhsa_system_sgpr_workgroup_id_y 0
		.amdhsa_system_sgpr_workgroup_id_z 0
		.amdhsa_system_sgpr_workgroup_info 0
		.amdhsa_system_vgpr_workitem_id 0
		.amdhsa_next_free_vgpr 24
		.amdhsa_next_free_sgpr 34
		.amdhsa_reserve_vcc 1
		.amdhsa_float_round_mode_32 0
		.amdhsa_float_round_mode_16_64 0
		.amdhsa_float_denorm_mode_32 3
		.amdhsa_float_denorm_mode_16_64 3
		.amdhsa_dx10_clamp 1
		.amdhsa_ieee_mode 1
		.amdhsa_fp16_overflow 0
		.amdhsa_workgroup_processor_mode 1
		.amdhsa_memory_ordered 1
		.amdhsa_forward_progress 0
		.amdhsa_shared_vgpr_count 0
		.amdhsa_exception_fp_ieee_invalid_op 0
		.amdhsa_exception_fp_denorm_src 0
		.amdhsa_exception_fp_ieee_div_zero 0
		.amdhsa_exception_fp_ieee_overflow 0
		.amdhsa_exception_fp_ieee_underflow 0
		.amdhsa_exception_fp_ieee_inexact 0
		.amdhsa_exception_int_div_zero 0
	.end_amdhsa_kernel
	.section	.text._ZN7rocprim17ROCPRIM_400000_NS6detail17trampoline_kernelINS0_14default_configENS1_32segmented_reduce_config_selectorIN3c108BFloat16EEEZNS1_21segmented_reduce_implIS3_PKS6_PS6_PKlS6_N6hipcub16HIPCUB_304000_NS6detail27convert_result_type_wrapperISA_SB_N2at6native12_GLOBAL__N_19CustomMaxEEEEE10hipError_tPvRmT0_T1_jT2_SS_T4_T3_P12ihipStream_tbEUlT_E_NS1_11comp_targetILNS1_3genE9ELNS1_11target_archE1100ELNS1_3gpuE3ELNS1_3repE0EEENS1_30default_config_static_selectorELNS0_4arch9wavefront6targetE0EEEvSR_,"axG",@progbits,_ZN7rocprim17ROCPRIM_400000_NS6detail17trampoline_kernelINS0_14default_configENS1_32segmented_reduce_config_selectorIN3c108BFloat16EEEZNS1_21segmented_reduce_implIS3_PKS6_PS6_PKlS6_N6hipcub16HIPCUB_304000_NS6detail27convert_result_type_wrapperISA_SB_N2at6native12_GLOBAL__N_19CustomMaxEEEEE10hipError_tPvRmT0_T1_jT2_SS_T4_T3_P12ihipStream_tbEUlT_E_NS1_11comp_targetILNS1_3genE9ELNS1_11target_archE1100ELNS1_3gpuE3ELNS1_3repE0EEENS1_30default_config_static_selectorELNS0_4arch9wavefront6targetE0EEEvSR_,comdat
.Lfunc_end253:
	.size	_ZN7rocprim17ROCPRIM_400000_NS6detail17trampoline_kernelINS0_14default_configENS1_32segmented_reduce_config_selectorIN3c108BFloat16EEEZNS1_21segmented_reduce_implIS3_PKS6_PS6_PKlS6_N6hipcub16HIPCUB_304000_NS6detail27convert_result_type_wrapperISA_SB_N2at6native12_GLOBAL__N_19CustomMaxEEEEE10hipError_tPvRmT0_T1_jT2_SS_T4_T3_P12ihipStream_tbEUlT_E_NS1_11comp_targetILNS1_3genE9ELNS1_11target_archE1100ELNS1_3gpuE3ELNS1_3repE0EEENS1_30default_config_static_selectorELNS0_4arch9wavefront6targetE0EEEvSR_, .Lfunc_end253-_ZN7rocprim17ROCPRIM_400000_NS6detail17trampoline_kernelINS0_14default_configENS1_32segmented_reduce_config_selectorIN3c108BFloat16EEEZNS1_21segmented_reduce_implIS3_PKS6_PS6_PKlS6_N6hipcub16HIPCUB_304000_NS6detail27convert_result_type_wrapperISA_SB_N2at6native12_GLOBAL__N_19CustomMaxEEEEE10hipError_tPvRmT0_T1_jT2_SS_T4_T3_P12ihipStream_tbEUlT_E_NS1_11comp_targetILNS1_3genE9ELNS1_11target_archE1100ELNS1_3gpuE3ELNS1_3repE0EEENS1_30default_config_static_selectorELNS0_4arch9wavefront6targetE0EEEvSR_
                                        ; -- End function
	.section	.AMDGPU.csdata,"",@progbits
; Kernel info:
; codeLenInByte = 8784
; NumSgprs: 36
; NumVgprs: 24
; ScratchSize: 0
; MemoryBound: 0
; FloatMode: 240
; IeeeMode: 1
; LDSByteSize: 16 bytes/workgroup (compile time only)
; SGPRBlocks: 4
; VGPRBlocks: 2
; NumSGPRsForWavesPerEU: 36
; NumVGPRsForWavesPerEU: 24
; Occupancy: 16
; WaveLimiterHint : 1
; COMPUTE_PGM_RSRC2:SCRATCH_EN: 0
; COMPUTE_PGM_RSRC2:USER_SGPR: 15
; COMPUTE_PGM_RSRC2:TRAP_HANDLER: 0
; COMPUTE_PGM_RSRC2:TGID_X_EN: 1
; COMPUTE_PGM_RSRC2:TGID_Y_EN: 0
; COMPUTE_PGM_RSRC2:TGID_Z_EN: 0
; COMPUTE_PGM_RSRC2:TIDIG_COMP_CNT: 0
	.section	.text._ZN7rocprim17ROCPRIM_400000_NS6detail17trampoline_kernelINS0_14default_configENS1_32segmented_reduce_config_selectorIN3c108BFloat16EEEZNS1_21segmented_reduce_implIS3_PKS6_PS6_PKlS6_N6hipcub16HIPCUB_304000_NS6detail27convert_result_type_wrapperISA_SB_N2at6native12_GLOBAL__N_19CustomMaxEEEEE10hipError_tPvRmT0_T1_jT2_SS_T4_T3_P12ihipStream_tbEUlT_E_NS1_11comp_targetILNS1_3genE8ELNS1_11target_archE1030ELNS1_3gpuE2ELNS1_3repE0EEENS1_30default_config_static_selectorELNS0_4arch9wavefront6targetE0EEEvSR_,"axG",@progbits,_ZN7rocprim17ROCPRIM_400000_NS6detail17trampoline_kernelINS0_14default_configENS1_32segmented_reduce_config_selectorIN3c108BFloat16EEEZNS1_21segmented_reduce_implIS3_PKS6_PS6_PKlS6_N6hipcub16HIPCUB_304000_NS6detail27convert_result_type_wrapperISA_SB_N2at6native12_GLOBAL__N_19CustomMaxEEEEE10hipError_tPvRmT0_T1_jT2_SS_T4_T3_P12ihipStream_tbEUlT_E_NS1_11comp_targetILNS1_3genE8ELNS1_11target_archE1030ELNS1_3gpuE2ELNS1_3repE0EEENS1_30default_config_static_selectorELNS0_4arch9wavefront6targetE0EEEvSR_,comdat
	.globl	_ZN7rocprim17ROCPRIM_400000_NS6detail17trampoline_kernelINS0_14default_configENS1_32segmented_reduce_config_selectorIN3c108BFloat16EEEZNS1_21segmented_reduce_implIS3_PKS6_PS6_PKlS6_N6hipcub16HIPCUB_304000_NS6detail27convert_result_type_wrapperISA_SB_N2at6native12_GLOBAL__N_19CustomMaxEEEEE10hipError_tPvRmT0_T1_jT2_SS_T4_T3_P12ihipStream_tbEUlT_E_NS1_11comp_targetILNS1_3genE8ELNS1_11target_archE1030ELNS1_3gpuE2ELNS1_3repE0EEENS1_30default_config_static_selectorELNS0_4arch9wavefront6targetE0EEEvSR_ ; -- Begin function _ZN7rocprim17ROCPRIM_400000_NS6detail17trampoline_kernelINS0_14default_configENS1_32segmented_reduce_config_selectorIN3c108BFloat16EEEZNS1_21segmented_reduce_implIS3_PKS6_PS6_PKlS6_N6hipcub16HIPCUB_304000_NS6detail27convert_result_type_wrapperISA_SB_N2at6native12_GLOBAL__N_19CustomMaxEEEEE10hipError_tPvRmT0_T1_jT2_SS_T4_T3_P12ihipStream_tbEUlT_E_NS1_11comp_targetILNS1_3genE8ELNS1_11target_archE1030ELNS1_3gpuE2ELNS1_3repE0EEENS1_30default_config_static_selectorELNS0_4arch9wavefront6targetE0EEEvSR_
	.p2align	8
	.type	_ZN7rocprim17ROCPRIM_400000_NS6detail17trampoline_kernelINS0_14default_configENS1_32segmented_reduce_config_selectorIN3c108BFloat16EEEZNS1_21segmented_reduce_implIS3_PKS6_PS6_PKlS6_N6hipcub16HIPCUB_304000_NS6detail27convert_result_type_wrapperISA_SB_N2at6native12_GLOBAL__N_19CustomMaxEEEEE10hipError_tPvRmT0_T1_jT2_SS_T4_T3_P12ihipStream_tbEUlT_E_NS1_11comp_targetILNS1_3genE8ELNS1_11target_archE1030ELNS1_3gpuE2ELNS1_3repE0EEENS1_30default_config_static_selectorELNS0_4arch9wavefront6targetE0EEEvSR_,@function
_ZN7rocprim17ROCPRIM_400000_NS6detail17trampoline_kernelINS0_14default_configENS1_32segmented_reduce_config_selectorIN3c108BFloat16EEEZNS1_21segmented_reduce_implIS3_PKS6_PS6_PKlS6_N6hipcub16HIPCUB_304000_NS6detail27convert_result_type_wrapperISA_SB_N2at6native12_GLOBAL__N_19CustomMaxEEEEE10hipError_tPvRmT0_T1_jT2_SS_T4_T3_P12ihipStream_tbEUlT_E_NS1_11comp_targetILNS1_3genE8ELNS1_11target_archE1030ELNS1_3gpuE2ELNS1_3repE0EEENS1_30default_config_static_selectorELNS0_4arch9wavefront6targetE0EEEvSR_: ; @_ZN7rocprim17ROCPRIM_400000_NS6detail17trampoline_kernelINS0_14default_configENS1_32segmented_reduce_config_selectorIN3c108BFloat16EEEZNS1_21segmented_reduce_implIS3_PKS6_PS6_PKlS6_N6hipcub16HIPCUB_304000_NS6detail27convert_result_type_wrapperISA_SB_N2at6native12_GLOBAL__N_19CustomMaxEEEEE10hipError_tPvRmT0_T1_jT2_SS_T4_T3_P12ihipStream_tbEUlT_E_NS1_11comp_targetILNS1_3genE8ELNS1_11target_archE1030ELNS1_3gpuE2ELNS1_3repE0EEENS1_30default_config_static_selectorELNS0_4arch9wavefront6targetE0EEEvSR_
; %bb.0:
	.section	.rodata,"a",@progbits
	.p2align	6, 0x0
	.amdhsa_kernel _ZN7rocprim17ROCPRIM_400000_NS6detail17trampoline_kernelINS0_14default_configENS1_32segmented_reduce_config_selectorIN3c108BFloat16EEEZNS1_21segmented_reduce_implIS3_PKS6_PS6_PKlS6_N6hipcub16HIPCUB_304000_NS6detail27convert_result_type_wrapperISA_SB_N2at6native12_GLOBAL__N_19CustomMaxEEEEE10hipError_tPvRmT0_T1_jT2_SS_T4_T3_P12ihipStream_tbEUlT_E_NS1_11comp_targetILNS1_3genE8ELNS1_11target_archE1030ELNS1_3gpuE2ELNS1_3repE0EEENS1_30default_config_static_selectorELNS0_4arch9wavefront6targetE0EEEvSR_
		.amdhsa_group_segment_fixed_size 0
		.amdhsa_private_segment_fixed_size 0
		.amdhsa_kernarg_size 48
		.amdhsa_user_sgpr_count 15
		.amdhsa_user_sgpr_dispatch_ptr 0
		.amdhsa_user_sgpr_queue_ptr 0
		.amdhsa_user_sgpr_kernarg_segment_ptr 1
		.amdhsa_user_sgpr_dispatch_id 0
		.amdhsa_user_sgpr_private_segment_size 0
		.amdhsa_wavefront_size32 1
		.amdhsa_uses_dynamic_stack 0
		.amdhsa_enable_private_segment 0
		.amdhsa_system_sgpr_workgroup_id_x 1
		.amdhsa_system_sgpr_workgroup_id_y 0
		.amdhsa_system_sgpr_workgroup_id_z 0
		.amdhsa_system_sgpr_workgroup_info 0
		.amdhsa_system_vgpr_workitem_id 0
		.amdhsa_next_free_vgpr 1
		.amdhsa_next_free_sgpr 1
		.amdhsa_reserve_vcc 0
		.amdhsa_float_round_mode_32 0
		.amdhsa_float_round_mode_16_64 0
		.amdhsa_float_denorm_mode_32 3
		.amdhsa_float_denorm_mode_16_64 3
		.amdhsa_dx10_clamp 1
		.amdhsa_ieee_mode 1
		.amdhsa_fp16_overflow 0
		.amdhsa_workgroup_processor_mode 1
		.amdhsa_memory_ordered 1
		.amdhsa_forward_progress 0
		.amdhsa_shared_vgpr_count 0
		.amdhsa_exception_fp_ieee_invalid_op 0
		.amdhsa_exception_fp_denorm_src 0
		.amdhsa_exception_fp_ieee_div_zero 0
		.amdhsa_exception_fp_ieee_overflow 0
		.amdhsa_exception_fp_ieee_underflow 0
		.amdhsa_exception_fp_ieee_inexact 0
		.amdhsa_exception_int_div_zero 0
	.end_amdhsa_kernel
	.section	.text._ZN7rocprim17ROCPRIM_400000_NS6detail17trampoline_kernelINS0_14default_configENS1_32segmented_reduce_config_selectorIN3c108BFloat16EEEZNS1_21segmented_reduce_implIS3_PKS6_PS6_PKlS6_N6hipcub16HIPCUB_304000_NS6detail27convert_result_type_wrapperISA_SB_N2at6native12_GLOBAL__N_19CustomMaxEEEEE10hipError_tPvRmT0_T1_jT2_SS_T4_T3_P12ihipStream_tbEUlT_E_NS1_11comp_targetILNS1_3genE8ELNS1_11target_archE1030ELNS1_3gpuE2ELNS1_3repE0EEENS1_30default_config_static_selectorELNS0_4arch9wavefront6targetE0EEEvSR_,"axG",@progbits,_ZN7rocprim17ROCPRIM_400000_NS6detail17trampoline_kernelINS0_14default_configENS1_32segmented_reduce_config_selectorIN3c108BFloat16EEEZNS1_21segmented_reduce_implIS3_PKS6_PS6_PKlS6_N6hipcub16HIPCUB_304000_NS6detail27convert_result_type_wrapperISA_SB_N2at6native12_GLOBAL__N_19CustomMaxEEEEE10hipError_tPvRmT0_T1_jT2_SS_T4_T3_P12ihipStream_tbEUlT_E_NS1_11comp_targetILNS1_3genE8ELNS1_11target_archE1030ELNS1_3gpuE2ELNS1_3repE0EEENS1_30default_config_static_selectorELNS0_4arch9wavefront6targetE0EEEvSR_,comdat
.Lfunc_end254:
	.size	_ZN7rocprim17ROCPRIM_400000_NS6detail17trampoline_kernelINS0_14default_configENS1_32segmented_reduce_config_selectorIN3c108BFloat16EEEZNS1_21segmented_reduce_implIS3_PKS6_PS6_PKlS6_N6hipcub16HIPCUB_304000_NS6detail27convert_result_type_wrapperISA_SB_N2at6native12_GLOBAL__N_19CustomMaxEEEEE10hipError_tPvRmT0_T1_jT2_SS_T4_T3_P12ihipStream_tbEUlT_E_NS1_11comp_targetILNS1_3genE8ELNS1_11target_archE1030ELNS1_3gpuE2ELNS1_3repE0EEENS1_30default_config_static_selectorELNS0_4arch9wavefront6targetE0EEEvSR_, .Lfunc_end254-_ZN7rocprim17ROCPRIM_400000_NS6detail17trampoline_kernelINS0_14default_configENS1_32segmented_reduce_config_selectorIN3c108BFloat16EEEZNS1_21segmented_reduce_implIS3_PKS6_PS6_PKlS6_N6hipcub16HIPCUB_304000_NS6detail27convert_result_type_wrapperISA_SB_N2at6native12_GLOBAL__N_19CustomMaxEEEEE10hipError_tPvRmT0_T1_jT2_SS_T4_T3_P12ihipStream_tbEUlT_E_NS1_11comp_targetILNS1_3genE8ELNS1_11target_archE1030ELNS1_3gpuE2ELNS1_3repE0EEENS1_30default_config_static_selectorELNS0_4arch9wavefront6targetE0EEEvSR_
                                        ; -- End function
	.section	.AMDGPU.csdata,"",@progbits
; Kernel info:
; codeLenInByte = 0
; NumSgprs: 0
; NumVgprs: 0
; ScratchSize: 0
; MemoryBound: 0
; FloatMode: 240
; IeeeMode: 1
; LDSByteSize: 0 bytes/workgroup (compile time only)
; SGPRBlocks: 0
; VGPRBlocks: 0
; NumSGPRsForWavesPerEU: 1
; NumVGPRsForWavesPerEU: 1
; Occupancy: 16
; WaveLimiterHint : 0
; COMPUTE_PGM_RSRC2:SCRATCH_EN: 0
; COMPUTE_PGM_RSRC2:USER_SGPR: 15
; COMPUTE_PGM_RSRC2:TRAP_HANDLER: 0
; COMPUTE_PGM_RSRC2:TGID_X_EN: 1
; COMPUTE_PGM_RSRC2:TGID_Y_EN: 0
; COMPUTE_PGM_RSRC2:TGID_Z_EN: 0
; COMPUTE_PGM_RSRC2:TIDIG_COMP_CNT: 0
	.section	.text._ZN7rocprim17ROCPRIM_400000_NS6detail17trampoline_kernelINS0_14default_configENS1_32segmented_reduce_config_selectorIN3c108BFloat16EEEZNS1_21segmented_reduce_implIS3_PKS6_PS6_PKlS6_N6hipcub16HIPCUB_304000_NS6detail27convert_result_type_wrapperISA_SB_N2at6native12_GLOBAL__N_19CustomSumEEEEE10hipError_tPvRmT0_T1_jT2_SS_T4_T3_P12ihipStream_tbEUlT_E_NS1_11comp_targetILNS1_3genE0ELNS1_11target_archE4294967295ELNS1_3gpuE0ELNS1_3repE0EEENS1_30default_config_static_selectorELNS0_4arch9wavefront6targetE0EEEvSR_,"axG",@progbits,_ZN7rocprim17ROCPRIM_400000_NS6detail17trampoline_kernelINS0_14default_configENS1_32segmented_reduce_config_selectorIN3c108BFloat16EEEZNS1_21segmented_reduce_implIS3_PKS6_PS6_PKlS6_N6hipcub16HIPCUB_304000_NS6detail27convert_result_type_wrapperISA_SB_N2at6native12_GLOBAL__N_19CustomSumEEEEE10hipError_tPvRmT0_T1_jT2_SS_T4_T3_P12ihipStream_tbEUlT_E_NS1_11comp_targetILNS1_3genE0ELNS1_11target_archE4294967295ELNS1_3gpuE0ELNS1_3repE0EEENS1_30default_config_static_selectorELNS0_4arch9wavefront6targetE0EEEvSR_,comdat
	.globl	_ZN7rocprim17ROCPRIM_400000_NS6detail17trampoline_kernelINS0_14default_configENS1_32segmented_reduce_config_selectorIN3c108BFloat16EEEZNS1_21segmented_reduce_implIS3_PKS6_PS6_PKlS6_N6hipcub16HIPCUB_304000_NS6detail27convert_result_type_wrapperISA_SB_N2at6native12_GLOBAL__N_19CustomSumEEEEE10hipError_tPvRmT0_T1_jT2_SS_T4_T3_P12ihipStream_tbEUlT_E_NS1_11comp_targetILNS1_3genE0ELNS1_11target_archE4294967295ELNS1_3gpuE0ELNS1_3repE0EEENS1_30default_config_static_selectorELNS0_4arch9wavefront6targetE0EEEvSR_ ; -- Begin function _ZN7rocprim17ROCPRIM_400000_NS6detail17trampoline_kernelINS0_14default_configENS1_32segmented_reduce_config_selectorIN3c108BFloat16EEEZNS1_21segmented_reduce_implIS3_PKS6_PS6_PKlS6_N6hipcub16HIPCUB_304000_NS6detail27convert_result_type_wrapperISA_SB_N2at6native12_GLOBAL__N_19CustomSumEEEEE10hipError_tPvRmT0_T1_jT2_SS_T4_T3_P12ihipStream_tbEUlT_E_NS1_11comp_targetILNS1_3genE0ELNS1_11target_archE4294967295ELNS1_3gpuE0ELNS1_3repE0EEENS1_30default_config_static_selectorELNS0_4arch9wavefront6targetE0EEEvSR_
	.p2align	8
	.type	_ZN7rocprim17ROCPRIM_400000_NS6detail17trampoline_kernelINS0_14default_configENS1_32segmented_reduce_config_selectorIN3c108BFloat16EEEZNS1_21segmented_reduce_implIS3_PKS6_PS6_PKlS6_N6hipcub16HIPCUB_304000_NS6detail27convert_result_type_wrapperISA_SB_N2at6native12_GLOBAL__N_19CustomSumEEEEE10hipError_tPvRmT0_T1_jT2_SS_T4_T3_P12ihipStream_tbEUlT_E_NS1_11comp_targetILNS1_3genE0ELNS1_11target_archE4294967295ELNS1_3gpuE0ELNS1_3repE0EEENS1_30default_config_static_selectorELNS0_4arch9wavefront6targetE0EEEvSR_,@function
_ZN7rocprim17ROCPRIM_400000_NS6detail17trampoline_kernelINS0_14default_configENS1_32segmented_reduce_config_selectorIN3c108BFloat16EEEZNS1_21segmented_reduce_implIS3_PKS6_PS6_PKlS6_N6hipcub16HIPCUB_304000_NS6detail27convert_result_type_wrapperISA_SB_N2at6native12_GLOBAL__N_19CustomSumEEEEE10hipError_tPvRmT0_T1_jT2_SS_T4_T3_P12ihipStream_tbEUlT_E_NS1_11comp_targetILNS1_3genE0ELNS1_11target_archE4294967295ELNS1_3gpuE0ELNS1_3repE0EEENS1_30default_config_static_selectorELNS0_4arch9wavefront6targetE0EEEvSR_: ; @_ZN7rocprim17ROCPRIM_400000_NS6detail17trampoline_kernelINS0_14default_configENS1_32segmented_reduce_config_selectorIN3c108BFloat16EEEZNS1_21segmented_reduce_implIS3_PKS6_PS6_PKlS6_N6hipcub16HIPCUB_304000_NS6detail27convert_result_type_wrapperISA_SB_N2at6native12_GLOBAL__N_19CustomSumEEEEE10hipError_tPvRmT0_T1_jT2_SS_T4_T3_P12ihipStream_tbEUlT_E_NS1_11comp_targetILNS1_3genE0ELNS1_11target_archE4294967295ELNS1_3gpuE0ELNS1_3repE0EEENS1_30default_config_static_selectorELNS0_4arch9wavefront6targetE0EEEvSR_
; %bb.0:
	.section	.rodata,"a",@progbits
	.p2align	6, 0x0
	.amdhsa_kernel _ZN7rocprim17ROCPRIM_400000_NS6detail17trampoline_kernelINS0_14default_configENS1_32segmented_reduce_config_selectorIN3c108BFloat16EEEZNS1_21segmented_reduce_implIS3_PKS6_PS6_PKlS6_N6hipcub16HIPCUB_304000_NS6detail27convert_result_type_wrapperISA_SB_N2at6native12_GLOBAL__N_19CustomSumEEEEE10hipError_tPvRmT0_T1_jT2_SS_T4_T3_P12ihipStream_tbEUlT_E_NS1_11comp_targetILNS1_3genE0ELNS1_11target_archE4294967295ELNS1_3gpuE0ELNS1_3repE0EEENS1_30default_config_static_selectorELNS0_4arch9wavefront6targetE0EEEvSR_
		.amdhsa_group_segment_fixed_size 0
		.amdhsa_private_segment_fixed_size 0
		.amdhsa_kernarg_size 48
		.amdhsa_user_sgpr_count 15
		.amdhsa_user_sgpr_dispatch_ptr 0
		.amdhsa_user_sgpr_queue_ptr 0
		.amdhsa_user_sgpr_kernarg_segment_ptr 1
		.amdhsa_user_sgpr_dispatch_id 0
		.amdhsa_user_sgpr_private_segment_size 0
		.amdhsa_wavefront_size32 1
		.amdhsa_uses_dynamic_stack 0
		.amdhsa_enable_private_segment 0
		.amdhsa_system_sgpr_workgroup_id_x 1
		.amdhsa_system_sgpr_workgroup_id_y 0
		.amdhsa_system_sgpr_workgroup_id_z 0
		.amdhsa_system_sgpr_workgroup_info 0
		.amdhsa_system_vgpr_workitem_id 0
		.amdhsa_next_free_vgpr 1
		.amdhsa_next_free_sgpr 1
		.amdhsa_reserve_vcc 0
		.amdhsa_float_round_mode_32 0
		.amdhsa_float_round_mode_16_64 0
		.amdhsa_float_denorm_mode_32 3
		.amdhsa_float_denorm_mode_16_64 3
		.amdhsa_dx10_clamp 1
		.amdhsa_ieee_mode 1
		.amdhsa_fp16_overflow 0
		.amdhsa_workgroup_processor_mode 1
		.amdhsa_memory_ordered 1
		.amdhsa_forward_progress 0
		.amdhsa_shared_vgpr_count 0
		.amdhsa_exception_fp_ieee_invalid_op 0
		.amdhsa_exception_fp_denorm_src 0
		.amdhsa_exception_fp_ieee_div_zero 0
		.amdhsa_exception_fp_ieee_overflow 0
		.amdhsa_exception_fp_ieee_underflow 0
		.amdhsa_exception_fp_ieee_inexact 0
		.amdhsa_exception_int_div_zero 0
	.end_amdhsa_kernel
	.section	.text._ZN7rocprim17ROCPRIM_400000_NS6detail17trampoline_kernelINS0_14default_configENS1_32segmented_reduce_config_selectorIN3c108BFloat16EEEZNS1_21segmented_reduce_implIS3_PKS6_PS6_PKlS6_N6hipcub16HIPCUB_304000_NS6detail27convert_result_type_wrapperISA_SB_N2at6native12_GLOBAL__N_19CustomSumEEEEE10hipError_tPvRmT0_T1_jT2_SS_T4_T3_P12ihipStream_tbEUlT_E_NS1_11comp_targetILNS1_3genE0ELNS1_11target_archE4294967295ELNS1_3gpuE0ELNS1_3repE0EEENS1_30default_config_static_selectorELNS0_4arch9wavefront6targetE0EEEvSR_,"axG",@progbits,_ZN7rocprim17ROCPRIM_400000_NS6detail17trampoline_kernelINS0_14default_configENS1_32segmented_reduce_config_selectorIN3c108BFloat16EEEZNS1_21segmented_reduce_implIS3_PKS6_PS6_PKlS6_N6hipcub16HIPCUB_304000_NS6detail27convert_result_type_wrapperISA_SB_N2at6native12_GLOBAL__N_19CustomSumEEEEE10hipError_tPvRmT0_T1_jT2_SS_T4_T3_P12ihipStream_tbEUlT_E_NS1_11comp_targetILNS1_3genE0ELNS1_11target_archE4294967295ELNS1_3gpuE0ELNS1_3repE0EEENS1_30default_config_static_selectorELNS0_4arch9wavefront6targetE0EEEvSR_,comdat
.Lfunc_end255:
	.size	_ZN7rocprim17ROCPRIM_400000_NS6detail17trampoline_kernelINS0_14default_configENS1_32segmented_reduce_config_selectorIN3c108BFloat16EEEZNS1_21segmented_reduce_implIS3_PKS6_PS6_PKlS6_N6hipcub16HIPCUB_304000_NS6detail27convert_result_type_wrapperISA_SB_N2at6native12_GLOBAL__N_19CustomSumEEEEE10hipError_tPvRmT0_T1_jT2_SS_T4_T3_P12ihipStream_tbEUlT_E_NS1_11comp_targetILNS1_3genE0ELNS1_11target_archE4294967295ELNS1_3gpuE0ELNS1_3repE0EEENS1_30default_config_static_selectorELNS0_4arch9wavefront6targetE0EEEvSR_, .Lfunc_end255-_ZN7rocprim17ROCPRIM_400000_NS6detail17trampoline_kernelINS0_14default_configENS1_32segmented_reduce_config_selectorIN3c108BFloat16EEEZNS1_21segmented_reduce_implIS3_PKS6_PS6_PKlS6_N6hipcub16HIPCUB_304000_NS6detail27convert_result_type_wrapperISA_SB_N2at6native12_GLOBAL__N_19CustomSumEEEEE10hipError_tPvRmT0_T1_jT2_SS_T4_T3_P12ihipStream_tbEUlT_E_NS1_11comp_targetILNS1_3genE0ELNS1_11target_archE4294967295ELNS1_3gpuE0ELNS1_3repE0EEENS1_30default_config_static_selectorELNS0_4arch9wavefront6targetE0EEEvSR_
                                        ; -- End function
	.section	.AMDGPU.csdata,"",@progbits
; Kernel info:
; codeLenInByte = 0
; NumSgprs: 0
; NumVgprs: 0
; ScratchSize: 0
; MemoryBound: 0
; FloatMode: 240
; IeeeMode: 1
; LDSByteSize: 0 bytes/workgroup (compile time only)
; SGPRBlocks: 0
; VGPRBlocks: 0
; NumSGPRsForWavesPerEU: 1
; NumVGPRsForWavesPerEU: 1
; Occupancy: 16
; WaveLimiterHint : 0
; COMPUTE_PGM_RSRC2:SCRATCH_EN: 0
; COMPUTE_PGM_RSRC2:USER_SGPR: 15
; COMPUTE_PGM_RSRC2:TRAP_HANDLER: 0
; COMPUTE_PGM_RSRC2:TGID_X_EN: 1
; COMPUTE_PGM_RSRC2:TGID_Y_EN: 0
; COMPUTE_PGM_RSRC2:TGID_Z_EN: 0
; COMPUTE_PGM_RSRC2:TIDIG_COMP_CNT: 0
	.section	.text._ZN7rocprim17ROCPRIM_400000_NS6detail17trampoline_kernelINS0_14default_configENS1_32segmented_reduce_config_selectorIN3c108BFloat16EEEZNS1_21segmented_reduce_implIS3_PKS6_PS6_PKlS6_N6hipcub16HIPCUB_304000_NS6detail27convert_result_type_wrapperISA_SB_N2at6native12_GLOBAL__N_19CustomSumEEEEE10hipError_tPvRmT0_T1_jT2_SS_T4_T3_P12ihipStream_tbEUlT_E_NS1_11comp_targetILNS1_3genE5ELNS1_11target_archE942ELNS1_3gpuE9ELNS1_3repE0EEENS1_30default_config_static_selectorELNS0_4arch9wavefront6targetE0EEEvSR_,"axG",@progbits,_ZN7rocprim17ROCPRIM_400000_NS6detail17trampoline_kernelINS0_14default_configENS1_32segmented_reduce_config_selectorIN3c108BFloat16EEEZNS1_21segmented_reduce_implIS3_PKS6_PS6_PKlS6_N6hipcub16HIPCUB_304000_NS6detail27convert_result_type_wrapperISA_SB_N2at6native12_GLOBAL__N_19CustomSumEEEEE10hipError_tPvRmT0_T1_jT2_SS_T4_T3_P12ihipStream_tbEUlT_E_NS1_11comp_targetILNS1_3genE5ELNS1_11target_archE942ELNS1_3gpuE9ELNS1_3repE0EEENS1_30default_config_static_selectorELNS0_4arch9wavefront6targetE0EEEvSR_,comdat
	.globl	_ZN7rocprim17ROCPRIM_400000_NS6detail17trampoline_kernelINS0_14default_configENS1_32segmented_reduce_config_selectorIN3c108BFloat16EEEZNS1_21segmented_reduce_implIS3_PKS6_PS6_PKlS6_N6hipcub16HIPCUB_304000_NS6detail27convert_result_type_wrapperISA_SB_N2at6native12_GLOBAL__N_19CustomSumEEEEE10hipError_tPvRmT0_T1_jT2_SS_T4_T3_P12ihipStream_tbEUlT_E_NS1_11comp_targetILNS1_3genE5ELNS1_11target_archE942ELNS1_3gpuE9ELNS1_3repE0EEENS1_30default_config_static_selectorELNS0_4arch9wavefront6targetE0EEEvSR_ ; -- Begin function _ZN7rocprim17ROCPRIM_400000_NS6detail17trampoline_kernelINS0_14default_configENS1_32segmented_reduce_config_selectorIN3c108BFloat16EEEZNS1_21segmented_reduce_implIS3_PKS6_PS6_PKlS6_N6hipcub16HIPCUB_304000_NS6detail27convert_result_type_wrapperISA_SB_N2at6native12_GLOBAL__N_19CustomSumEEEEE10hipError_tPvRmT0_T1_jT2_SS_T4_T3_P12ihipStream_tbEUlT_E_NS1_11comp_targetILNS1_3genE5ELNS1_11target_archE942ELNS1_3gpuE9ELNS1_3repE0EEENS1_30default_config_static_selectorELNS0_4arch9wavefront6targetE0EEEvSR_
	.p2align	8
	.type	_ZN7rocprim17ROCPRIM_400000_NS6detail17trampoline_kernelINS0_14default_configENS1_32segmented_reduce_config_selectorIN3c108BFloat16EEEZNS1_21segmented_reduce_implIS3_PKS6_PS6_PKlS6_N6hipcub16HIPCUB_304000_NS6detail27convert_result_type_wrapperISA_SB_N2at6native12_GLOBAL__N_19CustomSumEEEEE10hipError_tPvRmT0_T1_jT2_SS_T4_T3_P12ihipStream_tbEUlT_E_NS1_11comp_targetILNS1_3genE5ELNS1_11target_archE942ELNS1_3gpuE9ELNS1_3repE0EEENS1_30default_config_static_selectorELNS0_4arch9wavefront6targetE0EEEvSR_,@function
_ZN7rocprim17ROCPRIM_400000_NS6detail17trampoline_kernelINS0_14default_configENS1_32segmented_reduce_config_selectorIN3c108BFloat16EEEZNS1_21segmented_reduce_implIS3_PKS6_PS6_PKlS6_N6hipcub16HIPCUB_304000_NS6detail27convert_result_type_wrapperISA_SB_N2at6native12_GLOBAL__N_19CustomSumEEEEE10hipError_tPvRmT0_T1_jT2_SS_T4_T3_P12ihipStream_tbEUlT_E_NS1_11comp_targetILNS1_3genE5ELNS1_11target_archE942ELNS1_3gpuE9ELNS1_3repE0EEENS1_30default_config_static_selectorELNS0_4arch9wavefront6targetE0EEEvSR_: ; @_ZN7rocprim17ROCPRIM_400000_NS6detail17trampoline_kernelINS0_14default_configENS1_32segmented_reduce_config_selectorIN3c108BFloat16EEEZNS1_21segmented_reduce_implIS3_PKS6_PS6_PKlS6_N6hipcub16HIPCUB_304000_NS6detail27convert_result_type_wrapperISA_SB_N2at6native12_GLOBAL__N_19CustomSumEEEEE10hipError_tPvRmT0_T1_jT2_SS_T4_T3_P12ihipStream_tbEUlT_E_NS1_11comp_targetILNS1_3genE5ELNS1_11target_archE942ELNS1_3gpuE9ELNS1_3repE0EEENS1_30default_config_static_selectorELNS0_4arch9wavefront6targetE0EEEvSR_
; %bb.0:
	.section	.rodata,"a",@progbits
	.p2align	6, 0x0
	.amdhsa_kernel _ZN7rocprim17ROCPRIM_400000_NS6detail17trampoline_kernelINS0_14default_configENS1_32segmented_reduce_config_selectorIN3c108BFloat16EEEZNS1_21segmented_reduce_implIS3_PKS6_PS6_PKlS6_N6hipcub16HIPCUB_304000_NS6detail27convert_result_type_wrapperISA_SB_N2at6native12_GLOBAL__N_19CustomSumEEEEE10hipError_tPvRmT0_T1_jT2_SS_T4_T3_P12ihipStream_tbEUlT_E_NS1_11comp_targetILNS1_3genE5ELNS1_11target_archE942ELNS1_3gpuE9ELNS1_3repE0EEENS1_30default_config_static_selectorELNS0_4arch9wavefront6targetE0EEEvSR_
		.amdhsa_group_segment_fixed_size 0
		.amdhsa_private_segment_fixed_size 0
		.amdhsa_kernarg_size 48
		.amdhsa_user_sgpr_count 15
		.amdhsa_user_sgpr_dispatch_ptr 0
		.amdhsa_user_sgpr_queue_ptr 0
		.amdhsa_user_sgpr_kernarg_segment_ptr 1
		.amdhsa_user_sgpr_dispatch_id 0
		.amdhsa_user_sgpr_private_segment_size 0
		.amdhsa_wavefront_size32 1
		.amdhsa_uses_dynamic_stack 0
		.amdhsa_enable_private_segment 0
		.amdhsa_system_sgpr_workgroup_id_x 1
		.amdhsa_system_sgpr_workgroup_id_y 0
		.amdhsa_system_sgpr_workgroup_id_z 0
		.amdhsa_system_sgpr_workgroup_info 0
		.amdhsa_system_vgpr_workitem_id 0
		.amdhsa_next_free_vgpr 1
		.amdhsa_next_free_sgpr 1
		.amdhsa_reserve_vcc 0
		.amdhsa_float_round_mode_32 0
		.amdhsa_float_round_mode_16_64 0
		.amdhsa_float_denorm_mode_32 3
		.amdhsa_float_denorm_mode_16_64 3
		.amdhsa_dx10_clamp 1
		.amdhsa_ieee_mode 1
		.amdhsa_fp16_overflow 0
		.amdhsa_workgroup_processor_mode 1
		.amdhsa_memory_ordered 1
		.amdhsa_forward_progress 0
		.amdhsa_shared_vgpr_count 0
		.amdhsa_exception_fp_ieee_invalid_op 0
		.amdhsa_exception_fp_denorm_src 0
		.amdhsa_exception_fp_ieee_div_zero 0
		.amdhsa_exception_fp_ieee_overflow 0
		.amdhsa_exception_fp_ieee_underflow 0
		.amdhsa_exception_fp_ieee_inexact 0
		.amdhsa_exception_int_div_zero 0
	.end_amdhsa_kernel
	.section	.text._ZN7rocprim17ROCPRIM_400000_NS6detail17trampoline_kernelINS0_14default_configENS1_32segmented_reduce_config_selectorIN3c108BFloat16EEEZNS1_21segmented_reduce_implIS3_PKS6_PS6_PKlS6_N6hipcub16HIPCUB_304000_NS6detail27convert_result_type_wrapperISA_SB_N2at6native12_GLOBAL__N_19CustomSumEEEEE10hipError_tPvRmT0_T1_jT2_SS_T4_T3_P12ihipStream_tbEUlT_E_NS1_11comp_targetILNS1_3genE5ELNS1_11target_archE942ELNS1_3gpuE9ELNS1_3repE0EEENS1_30default_config_static_selectorELNS0_4arch9wavefront6targetE0EEEvSR_,"axG",@progbits,_ZN7rocprim17ROCPRIM_400000_NS6detail17trampoline_kernelINS0_14default_configENS1_32segmented_reduce_config_selectorIN3c108BFloat16EEEZNS1_21segmented_reduce_implIS3_PKS6_PS6_PKlS6_N6hipcub16HIPCUB_304000_NS6detail27convert_result_type_wrapperISA_SB_N2at6native12_GLOBAL__N_19CustomSumEEEEE10hipError_tPvRmT0_T1_jT2_SS_T4_T3_P12ihipStream_tbEUlT_E_NS1_11comp_targetILNS1_3genE5ELNS1_11target_archE942ELNS1_3gpuE9ELNS1_3repE0EEENS1_30default_config_static_selectorELNS0_4arch9wavefront6targetE0EEEvSR_,comdat
.Lfunc_end256:
	.size	_ZN7rocprim17ROCPRIM_400000_NS6detail17trampoline_kernelINS0_14default_configENS1_32segmented_reduce_config_selectorIN3c108BFloat16EEEZNS1_21segmented_reduce_implIS3_PKS6_PS6_PKlS6_N6hipcub16HIPCUB_304000_NS6detail27convert_result_type_wrapperISA_SB_N2at6native12_GLOBAL__N_19CustomSumEEEEE10hipError_tPvRmT0_T1_jT2_SS_T4_T3_P12ihipStream_tbEUlT_E_NS1_11comp_targetILNS1_3genE5ELNS1_11target_archE942ELNS1_3gpuE9ELNS1_3repE0EEENS1_30default_config_static_selectorELNS0_4arch9wavefront6targetE0EEEvSR_, .Lfunc_end256-_ZN7rocprim17ROCPRIM_400000_NS6detail17trampoline_kernelINS0_14default_configENS1_32segmented_reduce_config_selectorIN3c108BFloat16EEEZNS1_21segmented_reduce_implIS3_PKS6_PS6_PKlS6_N6hipcub16HIPCUB_304000_NS6detail27convert_result_type_wrapperISA_SB_N2at6native12_GLOBAL__N_19CustomSumEEEEE10hipError_tPvRmT0_T1_jT2_SS_T4_T3_P12ihipStream_tbEUlT_E_NS1_11comp_targetILNS1_3genE5ELNS1_11target_archE942ELNS1_3gpuE9ELNS1_3repE0EEENS1_30default_config_static_selectorELNS0_4arch9wavefront6targetE0EEEvSR_
                                        ; -- End function
	.section	.AMDGPU.csdata,"",@progbits
; Kernel info:
; codeLenInByte = 0
; NumSgprs: 0
; NumVgprs: 0
; ScratchSize: 0
; MemoryBound: 0
; FloatMode: 240
; IeeeMode: 1
; LDSByteSize: 0 bytes/workgroup (compile time only)
; SGPRBlocks: 0
; VGPRBlocks: 0
; NumSGPRsForWavesPerEU: 1
; NumVGPRsForWavesPerEU: 1
; Occupancy: 16
; WaveLimiterHint : 0
; COMPUTE_PGM_RSRC2:SCRATCH_EN: 0
; COMPUTE_PGM_RSRC2:USER_SGPR: 15
; COMPUTE_PGM_RSRC2:TRAP_HANDLER: 0
; COMPUTE_PGM_RSRC2:TGID_X_EN: 1
; COMPUTE_PGM_RSRC2:TGID_Y_EN: 0
; COMPUTE_PGM_RSRC2:TGID_Z_EN: 0
; COMPUTE_PGM_RSRC2:TIDIG_COMP_CNT: 0
	.section	.text._ZN7rocprim17ROCPRIM_400000_NS6detail17trampoline_kernelINS0_14default_configENS1_32segmented_reduce_config_selectorIN3c108BFloat16EEEZNS1_21segmented_reduce_implIS3_PKS6_PS6_PKlS6_N6hipcub16HIPCUB_304000_NS6detail27convert_result_type_wrapperISA_SB_N2at6native12_GLOBAL__N_19CustomSumEEEEE10hipError_tPvRmT0_T1_jT2_SS_T4_T3_P12ihipStream_tbEUlT_E_NS1_11comp_targetILNS1_3genE10ELNS1_11target_archE1201ELNS1_3gpuE5ELNS1_3repE0EEENS1_30default_config_static_selectorELNS0_4arch9wavefront6targetE0EEEvSR_,"axG",@progbits,_ZN7rocprim17ROCPRIM_400000_NS6detail17trampoline_kernelINS0_14default_configENS1_32segmented_reduce_config_selectorIN3c108BFloat16EEEZNS1_21segmented_reduce_implIS3_PKS6_PS6_PKlS6_N6hipcub16HIPCUB_304000_NS6detail27convert_result_type_wrapperISA_SB_N2at6native12_GLOBAL__N_19CustomSumEEEEE10hipError_tPvRmT0_T1_jT2_SS_T4_T3_P12ihipStream_tbEUlT_E_NS1_11comp_targetILNS1_3genE10ELNS1_11target_archE1201ELNS1_3gpuE5ELNS1_3repE0EEENS1_30default_config_static_selectorELNS0_4arch9wavefront6targetE0EEEvSR_,comdat
	.globl	_ZN7rocprim17ROCPRIM_400000_NS6detail17trampoline_kernelINS0_14default_configENS1_32segmented_reduce_config_selectorIN3c108BFloat16EEEZNS1_21segmented_reduce_implIS3_PKS6_PS6_PKlS6_N6hipcub16HIPCUB_304000_NS6detail27convert_result_type_wrapperISA_SB_N2at6native12_GLOBAL__N_19CustomSumEEEEE10hipError_tPvRmT0_T1_jT2_SS_T4_T3_P12ihipStream_tbEUlT_E_NS1_11comp_targetILNS1_3genE10ELNS1_11target_archE1201ELNS1_3gpuE5ELNS1_3repE0EEENS1_30default_config_static_selectorELNS0_4arch9wavefront6targetE0EEEvSR_ ; -- Begin function _ZN7rocprim17ROCPRIM_400000_NS6detail17trampoline_kernelINS0_14default_configENS1_32segmented_reduce_config_selectorIN3c108BFloat16EEEZNS1_21segmented_reduce_implIS3_PKS6_PS6_PKlS6_N6hipcub16HIPCUB_304000_NS6detail27convert_result_type_wrapperISA_SB_N2at6native12_GLOBAL__N_19CustomSumEEEEE10hipError_tPvRmT0_T1_jT2_SS_T4_T3_P12ihipStream_tbEUlT_E_NS1_11comp_targetILNS1_3genE10ELNS1_11target_archE1201ELNS1_3gpuE5ELNS1_3repE0EEENS1_30default_config_static_selectorELNS0_4arch9wavefront6targetE0EEEvSR_
	.p2align	8
	.type	_ZN7rocprim17ROCPRIM_400000_NS6detail17trampoline_kernelINS0_14default_configENS1_32segmented_reduce_config_selectorIN3c108BFloat16EEEZNS1_21segmented_reduce_implIS3_PKS6_PS6_PKlS6_N6hipcub16HIPCUB_304000_NS6detail27convert_result_type_wrapperISA_SB_N2at6native12_GLOBAL__N_19CustomSumEEEEE10hipError_tPvRmT0_T1_jT2_SS_T4_T3_P12ihipStream_tbEUlT_E_NS1_11comp_targetILNS1_3genE10ELNS1_11target_archE1201ELNS1_3gpuE5ELNS1_3repE0EEENS1_30default_config_static_selectorELNS0_4arch9wavefront6targetE0EEEvSR_,@function
_ZN7rocprim17ROCPRIM_400000_NS6detail17trampoline_kernelINS0_14default_configENS1_32segmented_reduce_config_selectorIN3c108BFloat16EEEZNS1_21segmented_reduce_implIS3_PKS6_PS6_PKlS6_N6hipcub16HIPCUB_304000_NS6detail27convert_result_type_wrapperISA_SB_N2at6native12_GLOBAL__N_19CustomSumEEEEE10hipError_tPvRmT0_T1_jT2_SS_T4_T3_P12ihipStream_tbEUlT_E_NS1_11comp_targetILNS1_3genE10ELNS1_11target_archE1201ELNS1_3gpuE5ELNS1_3repE0EEENS1_30default_config_static_selectorELNS0_4arch9wavefront6targetE0EEEvSR_: ; @_ZN7rocprim17ROCPRIM_400000_NS6detail17trampoline_kernelINS0_14default_configENS1_32segmented_reduce_config_selectorIN3c108BFloat16EEEZNS1_21segmented_reduce_implIS3_PKS6_PS6_PKlS6_N6hipcub16HIPCUB_304000_NS6detail27convert_result_type_wrapperISA_SB_N2at6native12_GLOBAL__N_19CustomSumEEEEE10hipError_tPvRmT0_T1_jT2_SS_T4_T3_P12ihipStream_tbEUlT_E_NS1_11comp_targetILNS1_3genE10ELNS1_11target_archE1201ELNS1_3gpuE5ELNS1_3repE0EEENS1_30default_config_static_selectorELNS0_4arch9wavefront6targetE0EEEvSR_
; %bb.0:
	.section	.rodata,"a",@progbits
	.p2align	6, 0x0
	.amdhsa_kernel _ZN7rocprim17ROCPRIM_400000_NS6detail17trampoline_kernelINS0_14default_configENS1_32segmented_reduce_config_selectorIN3c108BFloat16EEEZNS1_21segmented_reduce_implIS3_PKS6_PS6_PKlS6_N6hipcub16HIPCUB_304000_NS6detail27convert_result_type_wrapperISA_SB_N2at6native12_GLOBAL__N_19CustomSumEEEEE10hipError_tPvRmT0_T1_jT2_SS_T4_T3_P12ihipStream_tbEUlT_E_NS1_11comp_targetILNS1_3genE10ELNS1_11target_archE1201ELNS1_3gpuE5ELNS1_3repE0EEENS1_30default_config_static_selectorELNS0_4arch9wavefront6targetE0EEEvSR_
		.amdhsa_group_segment_fixed_size 0
		.amdhsa_private_segment_fixed_size 0
		.amdhsa_kernarg_size 48
		.amdhsa_user_sgpr_count 15
		.amdhsa_user_sgpr_dispatch_ptr 0
		.amdhsa_user_sgpr_queue_ptr 0
		.amdhsa_user_sgpr_kernarg_segment_ptr 1
		.amdhsa_user_sgpr_dispatch_id 0
		.amdhsa_user_sgpr_private_segment_size 0
		.amdhsa_wavefront_size32 1
		.amdhsa_uses_dynamic_stack 0
		.amdhsa_enable_private_segment 0
		.amdhsa_system_sgpr_workgroup_id_x 1
		.amdhsa_system_sgpr_workgroup_id_y 0
		.amdhsa_system_sgpr_workgroup_id_z 0
		.amdhsa_system_sgpr_workgroup_info 0
		.amdhsa_system_vgpr_workitem_id 0
		.amdhsa_next_free_vgpr 1
		.amdhsa_next_free_sgpr 1
		.amdhsa_reserve_vcc 0
		.amdhsa_float_round_mode_32 0
		.amdhsa_float_round_mode_16_64 0
		.amdhsa_float_denorm_mode_32 3
		.amdhsa_float_denorm_mode_16_64 3
		.amdhsa_dx10_clamp 1
		.amdhsa_ieee_mode 1
		.amdhsa_fp16_overflow 0
		.amdhsa_workgroup_processor_mode 1
		.amdhsa_memory_ordered 1
		.amdhsa_forward_progress 0
		.amdhsa_shared_vgpr_count 0
		.amdhsa_exception_fp_ieee_invalid_op 0
		.amdhsa_exception_fp_denorm_src 0
		.amdhsa_exception_fp_ieee_div_zero 0
		.amdhsa_exception_fp_ieee_overflow 0
		.amdhsa_exception_fp_ieee_underflow 0
		.amdhsa_exception_fp_ieee_inexact 0
		.amdhsa_exception_int_div_zero 0
	.end_amdhsa_kernel
	.section	.text._ZN7rocprim17ROCPRIM_400000_NS6detail17trampoline_kernelINS0_14default_configENS1_32segmented_reduce_config_selectorIN3c108BFloat16EEEZNS1_21segmented_reduce_implIS3_PKS6_PS6_PKlS6_N6hipcub16HIPCUB_304000_NS6detail27convert_result_type_wrapperISA_SB_N2at6native12_GLOBAL__N_19CustomSumEEEEE10hipError_tPvRmT0_T1_jT2_SS_T4_T3_P12ihipStream_tbEUlT_E_NS1_11comp_targetILNS1_3genE10ELNS1_11target_archE1201ELNS1_3gpuE5ELNS1_3repE0EEENS1_30default_config_static_selectorELNS0_4arch9wavefront6targetE0EEEvSR_,"axG",@progbits,_ZN7rocprim17ROCPRIM_400000_NS6detail17trampoline_kernelINS0_14default_configENS1_32segmented_reduce_config_selectorIN3c108BFloat16EEEZNS1_21segmented_reduce_implIS3_PKS6_PS6_PKlS6_N6hipcub16HIPCUB_304000_NS6detail27convert_result_type_wrapperISA_SB_N2at6native12_GLOBAL__N_19CustomSumEEEEE10hipError_tPvRmT0_T1_jT2_SS_T4_T3_P12ihipStream_tbEUlT_E_NS1_11comp_targetILNS1_3genE10ELNS1_11target_archE1201ELNS1_3gpuE5ELNS1_3repE0EEENS1_30default_config_static_selectorELNS0_4arch9wavefront6targetE0EEEvSR_,comdat
.Lfunc_end257:
	.size	_ZN7rocprim17ROCPRIM_400000_NS6detail17trampoline_kernelINS0_14default_configENS1_32segmented_reduce_config_selectorIN3c108BFloat16EEEZNS1_21segmented_reduce_implIS3_PKS6_PS6_PKlS6_N6hipcub16HIPCUB_304000_NS6detail27convert_result_type_wrapperISA_SB_N2at6native12_GLOBAL__N_19CustomSumEEEEE10hipError_tPvRmT0_T1_jT2_SS_T4_T3_P12ihipStream_tbEUlT_E_NS1_11comp_targetILNS1_3genE10ELNS1_11target_archE1201ELNS1_3gpuE5ELNS1_3repE0EEENS1_30default_config_static_selectorELNS0_4arch9wavefront6targetE0EEEvSR_, .Lfunc_end257-_ZN7rocprim17ROCPRIM_400000_NS6detail17trampoline_kernelINS0_14default_configENS1_32segmented_reduce_config_selectorIN3c108BFloat16EEEZNS1_21segmented_reduce_implIS3_PKS6_PS6_PKlS6_N6hipcub16HIPCUB_304000_NS6detail27convert_result_type_wrapperISA_SB_N2at6native12_GLOBAL__N_19CustomSumEEEEE10hipError_tPvRmT0_T1_jT2_SS_T4_T3_P12ihipStream_tbEUlT_E_NS1_11comp_targetILNS1_3genE10ELNS1_11target_archE1201ELNS1_3gpuE5ELNS1_3repE0EEENS1_30default_config_static_selectorELNS0_4arch9wavefront6targetE0EEEvSR_
                                        ; -- End function
	.section	.AMDGPU.csdata,"",@progbits
; Kernel info:
; codeLenInByte = 0
; NumSgprs: 0
; NumVgprs: 0
; ScratchSize: 0
; MemoryBound: 0
; FloatMode: 240
; IeeeMode: 1
; LDSByteSize: 0 bytes/workgroup (compile time only)
; SGPRBlocks: 0
; VGPRBlocks: 0
; NumSGPRsForWavesPerEU: 1
; NumVGPRsForWavesPerEU: 1
; Occupancy: 16
; WaveLimiterHint : 0
; COMPUTE_PGM_RSRC2:SCRATCH_EN: 0
; COMPUTE_PGM_RSRC2:USER_SGPR: 15
; COMPUTE_PGM_RSRC2:TRAP_HANDLER: 0
; COMPUTE_PGM_RSRC2:TGID_X_EN: 1
; COMPUTE_PGM_RSRC2:TGID_Y_EN: 0
; COMPUTE_PGM_RSRC2:TGID_Z_EN: 0
; COMPUTE_PGM_RSRC2:TIDIG_COMP_CNT: 0
	.section	.text._ZN7rocprim17ROCPRIM_400000_NS6detail17trampoline_kernelINS0_14default_configENS1_32segmented_reduce_config_selectorIN3c108BFloat16EEEZNS1_21segmented_reduce_implIS3_PKS6_PS6_PKlS6_N6hipcub16HIPCUB_304000_NS6detail27convert_result_type_wrapperISA_SB_N2at6native12_GLOBAL__N_19CustomSumEEEEE10hipError_tPvRmT0_T1_jT2_SS_T4_T3_P12ihipStream_tbEUlT_E_NS1_11comp_targetILNS1_3genE4ELNS1_11target_archE910ELNS1_3gpuE8ELNS1_3repE0EEENS1_30default_config_static_selectorELNS0_4arch9wavefront6targetE0EEEvSR_,"axG",@progbits,_ZN7rocprim17ROCPRIM_400000_NS6detail17trampoline_kernelINS0_14default_configENS1_32segmented_reduce_config_selectorIN3c108BFloat16EEEZNS1_21segmented_reduce_implIS3_PKS6_PS6_PKlS6_N6hipcub16HIPCUB_304000_NS6detail27convert_result_type_wrapperISA_SB_N2at6native12_GLOBAL__N_19CustomSumEEEEE10hipError_tPvRmT0_T1_jT2_SS_T4_T3_P12ihipStream_tbEUlT_E_NS1_11comp_targetILNS1_3genE4ELNS1_11target_archE910ELNS1_3gpuE8ELNS1_3repE0EEENS1_30default_config_static_selectorELNS0_4arch9wavefront6targetE0EEEvSR_,comdat
	.globl	_ZN7rocprim17ROCPRIM_400000_NS6detail17trampoline_kernelINS0_14default_configENS1_32segmented_reduce_config_selectorIN3c108BFloat16EEEZNS1_21segmented_reduce_implIS3_PKS6_PS6_PKlS6_N6hipcub16HIPCUB_304000_NS6detail27convert_result_type_wrapperISA_SB_N2at6native12_GLOBAL__N_19CustomSumEEEEE10hipError_tPvRmT0_T1_jT2_SS_T4_T3_P12ihipStream_tbEUlT_E_NS1_11comp_targetILNS1_3genE4ELNS1_11target_archE910ELNS1_3gpuE8ELNS1_3repE0EEENS1_30default_config_static_selectorELNS0_4arch9wavefront6targetE0EEEvSR_ ; -- Begin function _ZN7rocprim17ROCPRIM_400000_NS6detail17trampoline_kernelINS0_14default_configENS1_32segmented_reduce_config_selectorIN3c108BFloat16EEEZNS1_21segmented_reduce_implIS3_PKS6_PS6_PKlS6_N6hipcub16HIPCUB_304000_NS6detail27convert_result_type_wrapperISA_SB_N2at6native12_GLOBAL__N_19CustomSumEEEEE10hipError_tPvRmT0_T1_jT2_SS_T4_T3_P12ihipStream_tbEUlT_E_NS1_11comp_targetILNS1_3genE4ELNS1_11target_archE910ELNS1_3gpuE8ELNS1_3repE0EEENS1_30default_config_static_selectorELNS0_4arch9wavefront6targetE0EEEvSR_
	.p2align	8
	.type	_ZN7rocprim17ROCPRIM_400000_NS6detail17trampoline_kernelINS0_14default_configENS1_32segmented_reduce_config_selectorIN3c108BFloat16EEEZNS1_21segmented_reduce_implIS3_PKS6_PS6_PKlS6_N6hipcub16HIPCUB_304000_NS6detail27convert_result_type_wrapperISA_SB_N2at6native12_GLOBAL__N_19CustomSumEEEEE10hipError_tPvRmT0_T1_jT2_SS_T4_T3_P12ihipStream_tbEUlT_E_NS1_11comp_targetILNS1_3genE4ELNS1_11target_archE910ELNS1_3gpuE8ELNS1_3repE0EEENS1_30default_config_static_selectorELNS0_4arch9wavefront6targetE0EEEvSR_,@function
_ZN7rocprim17ROCPRIM_400000_NS6detail17trampoline_kernelINS0_14default_configENS1_32segmented_reduce_config_selectorIN3c108BFloat16EEEZNS1_21segmented_reduce_implIS3_PKS6_PS6_PKlS6_N6hipcub16HIPCUB_304000_NS6detail27convert_result_type_wrapperISA_SB_N2at6native12_GLOBAL__N_19CustomSumEEEEE10hipError_tPvRmT0_T1_jT2_SS_T4_T3_P12ihipStream_tbEUlT_E_NS1_11comp_targetILNS1_3genE4ELNS1_11target_archE910ELNS1_3gpuE8ELNS1_3repE0EEENS1_30default_config_static_selectorELNS0_4arch9wavefront6targetE0EEEvSR_: ; @_ZN7rocprim17ROCPRIM_400000_NS6detail17trampoline_kernelINS0_14default_configENS1_32segmented_reduce_config_selectorIN3c108BFloat16EEEZNS1_21segmented_reduce_implIS3_PKS6_PS6_PKlS6_N6hipcub16HIPCUB_304000_NS6detail27convert_result_type_wrapperISA_SB_N2at6native12_GLOBAL__N_19CustomSumEEEEE10hipError_tPvRmT0_T1_jT2_SS_T4_T3_P12ihipStream_tbEUlT_E_NS1_11comp_targetILNS1_3genE4ELNS1_11target_archE910ELNS1_3gpuE8ELNS1_3repE0EEENS1_30default_config_static_selectorELNS0_4arch9wavefront6targetE0EEEvSR_
; %bb.0:
	.section	.rodata,"a",@progbits
	.p2align	6, 0x0
	.amdhsa_kernel _ZN7rocprim17ROCPRIM_400000_NS6detail17trampoline_kernelINS0_14default_configENS1_32segmented_reduce_config_selectorIN3c108BFloat16EEEZNS1_21segmented_reduce_implIS3_PKS6_PS6_PKlS6_N6hipcub16HIPCUB_304000_NS6detail27convert_result_type_wrapperISA_SB_N2at6native12_GLOBAL__N_19CustomSumEEEEE10hipError_tPvRmT0_T1_jT2_SS_T4_T3_P12ihipStream_tbEUlT_E_NS1_11comp_targetILNS1_3genE4ELNS1_11target_archE910ELNS1_3gpuE8ELNS1_3repE0EEENS1_30default_config_static_selectorELNS0_4arch9wavefront6targetE0EEEvSR_
		.amdhsa_group_segment_fixed_size 0
		.amdhsa_private_segment_fixed_size 0
		.amdhsa_kernarg_size 48
		.amdhsa_user_sgpr_count 15
		.amdhsa_user_sgpr_dispatch_ptr 0
		.amdhsa_user_sgpr_queue_ptr 0
		.amdhsa_user_sgpr_kernarg_segment_ptr 1
		.amdhsa_user_sgpr_dispatch_id 0
		.amdhsa_user_sgpr_private_segment_size 0
		.amdhsa_wavefront_size32 1
		.amdhsa_uses_dynamic_stack 0
		.amdhsa_enable_private_segment 0
		.amdhsa_system_sgpr_workgroup_id_x 1
		.amdhsa_system_sgpr_workgroup_id_y 0
		.amdhsa_system_sgpr_workgroup_id_z 0
		.amdhsa_system_sgpr_workgroup_info 0
		.amdhsa_system_vgpr_workitem_id 0
		.amdhsa_next_free_vgpr 1
		.amdhsa_next_free_sgpr 1
		.amdhsa_reserve_vcc 0
		.amdhsa_float_round_mode_32 0
		.amdhsa_float_round_mode_16_64 0
		.amdhsa_float_denorm_mode_32 3
		.amdhsa_float_denorm_mode_16_64 3
		.amdhsa_dx10_clamp 1
		.amdhsa_ieee_mode 1
		.amdhsa_fp16_overflow 0
		.amdhsa_workgroup_processor_mode 1
		.amdhsa_memory_ordered 1
		.amdhsa_forward_progress 0
		.amdhsa_shared_vgpr_count 0
		.amdhsa_exception_fp_ieee_invalid_op 0
		.amdhsa_exception_fp_denorm_src 0
		.amdhsa_exception_fp_ieee_div_zero 0
		.amdhsa_exception_fp_ieee_overflow 0
		.amdhsa_exception_fp_ieee_underflow 0
		.amdhsa_exception_fp_ieee_inexact 0
		.amdhsa_exception_int_div_zero 0
	.end_amdhsa_kernel
	.section	.text._ZN7rocprim17ROCPRIM_400000_NS6detail17trampoline_kernelINS0_14default_configENS1_32segmented_reduce_config_selectorIN3c108BFloat16EEEZNS1_21segmented_reduce_implIS3_PKS6_PS6_PKlS6_N6hipcub16HIPCUB_304000_NS6detail27convert_result_type_wrapperISA_SB_N2at6native12_GLOBAL__N_19CustomSumEEEEE10hipError_tPvRmT0_T1_jT2_SS_T4_T3_P12ihipStream_tbEUlT_E_NS1_11comp_targetILNS1_3genE4ELNS1_11target_archE910ELNS1_3gpuE8ELNS1_3repE0EEENS1_30default_config_static_selectorELNS0_4arch9wavefront6targetE0EEEvSR_,"axG",@progbits,_ZN7rocprim17ROCPRIM_400000_NS6detail17trampoline_kernelINS0_14default_configENS1_32segmented_reduce_config_selectorIN3c108BFloat16EEEZNS1_21segmented_reduce_implIS3_PKS6_PS6_PKlS6_N6hipcub16HIPCUB_304000_NS6detail27convert_result_type_wrapperISA_SB_N2at6native12_GLOBAL__N_19CustomSumEEEEE10hipError_tPvRmT0_T1_jT2_SS_T4_T3_P12ihipStream_tbEUlT_E_NS1_11comp_targetILNS1_3genE4ELNS1_11target_archE910ELNS1_3gpuE8ELNS1_3repE0EEENS1_30default_config_static_selectorELNS0_4arch9wavefront6targetE0EEEvSR_,comdat
.Lfunc_end258:
	.size	_ZN7rocprim17ROCPRIM_400000_NS6detail17trampoline_kernelINS0_14default_configENS1_32segmented_reduce_config_selectorIN3c108BFloat16EEEZNS1_21segmented_reduce_implIS3_PKS6_PS6_PKlS6_N6hipcub16HIPCUB_304000_NS6detail27convert_result_type_wrapperISA_SB_N2at6native12_GLOBAL__N_19CustomSumEEEEE10hipError_tPvRmT0_T1_jT2_SS_T4_T3_P12ihipStream_tbEUlT_E_NS1_11comp_targetILNS1_3genE4ELNS1_11target_archE910ELNS1_3gpuE8ELNS1_3repE0EEENS1_30default_config_static_selectorELNS0_4arch9wavefront6targetE0EEEvSR_, .Lfunc_end258-_ZN7rocprim17ROCPRIM_400000_NS6detail17trampoline_kernelINS0_14default_configENS1_32segmented_reduce_config_selectorIN3c108BFloat16EEEZNS1_21segmented_reduce_implIS3_PKS6_PS6_PKlS6_N6hipcub16HIPCUB_304000_NS6detail27convert_result_type_wrapperISA_SB_N2at6native12_GLOBAL__N_19CustomSumEEEEE10hipError_tPvRmT0_T1_jT2_SS_T4_T3_P12ihipStream_tbEUlT_E_NS1_11comp_targetILNS1_3genE4ELNS1_11target_archE910ELNS1_3gpuE8ELNS1_3repE0EEENS1_30default_config_static_selectorELNS0_4arch9wavefront6targetE0EEEvSR_
                                        ; -- End function
	.section	.AMDGPU.csdata,"",@progbits
; Kernel info:
; codeLenInByte = 0
; NumSgprs: 0
; NumVgprs: 0
; ScratchSize: 0
; MemoryBound: 0
; FloatMode: 240
; IeeeMode: 1
; LDSByteSize: 0 bytes/workgroup (compile time only)
; SGPRBlocks: 0
; VGPRBlocks: 0
; NumSGPRsForWavesPerEU: 1
; NumVGPRsForWavesPerEU: 1
; Occupancy: 16
; WaveLimiterHint : 0
; COMPUTE_PGM_RSRC2:SCRATCH_EN: 0
; COMPUTE_PGM_RSRC2:USER_SGPR: 15
; COMPUTE_PGM_RSRC2:TRAP_HANDLER: 0
; COMPUTE_PGM_RSRC2:TGID_X_EN: 1
; COMPUTE_PGM_RSRC2:TGID_Y_EN: 0
; COMPUTE_PGM_RSRC2:TGID_Z_EN: 0
; COMPUTE_PGM_RSRC2:TIDIG_COMP_CNT: 0
	.section	.text._ZN7rocprim17ROCPRIM_400000_NS6detail17trampoline_kernelINS0_14default_configENS1_32segmented_reduce_config_selectorIN3c108BFloat16EEEZNS1_21segmented_reduce_implIS3_PKS6_PS6_PKlS6_N6hipcub16HIPCUB_304000_NS6detail27convert_result_type_wrapperISA_SB_N2at6native12_GLOBAL__N_19CustomSumEEEEE10hipError_tPvRmT0_T1_jT2_SS_T4_T3_P12ihipStream_tbEUlT_E_NS1_11comp_targetILNS1_3genE3ELNS1_11target_archE908ELNS1_3gpuE7ELNS1_3repE0EEENS1_30default_config_static_selectorELNS0_4arch9wavefront6targetE0EEEvSR_,"axG",@progbits,_ZN7rocprim17ROCPRIM_400000_NS6detail17trampoline_kernelINS0_14default_configENS1_32segmented_reduce_config_selectorIN3c108BFloat16EEEZNS1_21segmented_reduce_implIS3_PKS6_PS6_PKlS6_N6hipcub16HIPCUB_304000_NS6detail27convert_result_type_wrapperISA_SB_N2at6native12_GLOBAL__N_19CustomSumEEEEE10hipError_tPvRmT0_T1_jT2_SS_T4_T3_P12ihipStream_tbEUlT_E_NS1_11comp_targetILNS1_3genE3ELNS1_11target_archE908ELNS1_3gpuE7ELNS1_3repE0EEENS1_30default_config_static_selectorELNS0_4arch9wavefront6targetE0EEEvSR_,comdat
	.globl	_ZN7rocprim17ROCPRIM_400000_NS6detail17trampoline_kernelINS0_14default_configENS1_32segmented_reduce_config_selectorIN3c108BFloat16EEEZNS1_21segmented_reduce_implIS3_PKS6_PS6_PKlS6_N6hipcub16HIPCUB_304000_NS6detail27convert_result_type_wrapperISA_SB_N2at6native12_GLOBAL__N_19CustomSumEEEEE10hipError_tPvRmT0_T1_jT2_SS_T4_T3_P12ihipStream_tbEUlT_E_NS1_11comp_targetILNS1_3genE3ELNS1_11target_archE908ELNS1_3gpuE7ELNS1_3repE0EEENS1_30default_config_static_selectorELNS0_4arch9wavefront6targetE0EEEvSR_ ; -- Begin function _ZN7rocprim17ROCPRIM_400000_NS6detail17trampoline_kernelINS0_14default_configENS1_32segmented_reduce_config_selectorIN3c108BFloat16EEEZNS1_21segmented_reduce_implIS3_PKS6_PS6_PKlS6_N6hipcub16HIPCUB_304000_NS6detail27convert_result_type_wrapperISA_SB_N2at6native12_GLOBAL__N_19CustomSumEEEEE10hipError_tPvRmT0_T1_jT2_SS_T4_T3_P12ihipStream_tbEUlT_E_NS1_11comp_targetILNS1_3genE3ELNS1_11target_archE908ELNS1_3gpuE7ELNS1_3repE0EEENS1_30default_config_static_selectorELNS0_4arch9wavefront6targetE0EEEvSR_
	.p2align	8
	.type	_ZN7rocprim17ROCPRIM_400000_NS6detail17trampoline_kernelINS0_14default_configENS1_32segmented_reduce_config_selectorIN3c108BFloat16EEEZNS1_21segmented_reduce_implIS3_PKS6_PS6_PKlS6_N6hipcub16HIPCUB_304000_NS6detail27convert_result_type_wrapperISA_SB_N2at6native12_GLOBAL__N_19CustomSumEEEEE10hipError_tPvRmT0_T1_jT2_SS_T4_T3_P12ihipStream_tbEUlT_E_NS1_11comp_targetILNS1_3genE3ELNS1_11target_archE908ELNS1_3gpuE7ELNS1_3repE0EEENS1_30default_config_static_selectorELNS0_4arch9wavefront6targetE0EEEvSR_,@function
_ZN7rocprim17ROCPRIM_400000_NS6detail17trampoline_kernelINS0_14default_configENS1_32segmented_reduce_config_selectorIN3c108BFloat16EEEZNS1_21segmented_reduce_implIS3_PKS6_PS6_PKlS6_N6hipcub16HIPCUB_304000_NS6detail27convert_result_type_wrapperISA_SB_N2at6native12_GLOBAL__N_19CustomSumEEEEE10hipError_tPvRmT0_T1_jT2_SS_T4_T3_P12ihipStream_tbEUlT_E_NS1_11comp_targetILNS1_3genE3ELNS1_11target_archE908ELNS1_3gpuE7ELNS1_3repE0EEENS1_30default_config_static_selectorELNS0_4arch9wavefront6targetE0EEEvSR_: ; @_ZN7rocprim17ROCPRIM_400000_NS6detail17trampoline_kernelINS0_14default_configENS1_32segmented_reduce_config_selectorIN3c108BFloat16EEEZNS1_21segmented_reduce_implIS3_PKS6_PS6_PKlS6_N6hipcub16HIPCUB_304000_NS6detail27convert_result_type_wrapperISA_SB_N2at6native12_GLOBAL__N_19CustomSumEEEEE10hipError_tPvRmT0_T1_jT2_SS_T4_T3_P12ihipStream_tbEUlT_E_NS1_11comp_targetILNS1_3genE3ELNS1_11target_archE908ELNS1_3gpuE7ELNS1_3repE0EEENS1_30default_config_static_selectorELNS0_4arch9wavefront6targetE0EEEvSR_
; %bb.0:
	.section	.rodata,"a",@progbits
	.p2align	6, 0x0
	.amdhsa_kernel _ZN7rocprim17ROCPRIM_400000_NS6detail17trampoline_kernelINS0_14default_configENS1_32segmented_reduce_config_selectorIN3c108BFloat16EEEZNS1_21segmented_reduce_implIS3_PKS6_PS6_PKlS6_N6hipcub16HIPCUB_304000_NS6detail27convert_result_type_wrapperISA_SB_N2at6native12_GLOBAL__N_19CustomSumEEEEE10hipError_tPvRmT0_T1_jT2_SS_T4_T3_P12ihipStream_tbEUlT_E_NS1_11comp_targetILNS1_3genE3ELNS1_11target_archE908ELNS1_3gpuE7ELNS1_3repE0EEENS1_30default_config_static_selectorELNS0_4arch9wavefront6targetE0EEEvSR_
		.amdhsa_group_segment_fixed_size 0
		.amdhsa_private_segment_fixed_size 0
		.amdhsa_kernarg_size 48
		.amdhsa_user_sgpr_count 15
		.amdhsa_user_sgpr_dispatch_ptr 0
		.amdhsa_user_sgpr_queue_ptr 0
		.amdhsa_user_sgpr_kernarg_segment_ptr 1
		.amdhsa_user_sgpr_dispatch_id 0
		.amdhsa_user_sgpr_private_segment_size 0
		.amdhsa_wavefront_size32 1
		.amdhsa_uses_dynamic_stack 0
		.amdhsa_enable_private_segment 0
		.amdhsa_system_sgpr_workgroup_id_x 1
		.amdhsa_system_sgpr_workgroup_id_y 0
		.amdhsa_system_sgpr_workgroup_id_z 0
		.amdhsa_system_sgpr_workgroup_info 0
		.amdhsa_system_vgpr_workitem_id 0
		.amdhsa_next_free_vgpr 1
		.amdhsa_next_free_sgpr 1
		.amdhsa_reserve_vcc 0
		.amdhsa_float_round_mode_32 0
		.amdhsa_float_round_mode_16_64 0
		.amdhsa_float_denorm_mode_32 3
		.amdhsa_float_denorm_mode_16_64 3
		.amdhsa_dx10_clamp 1
		.amdhsa_ieee_mode 1
		.amdhsa_fp16_overflow 0
		.amdhsa_workgroup_processor_mode 1
		.amdhsa_memory_ordered 1
		.amdhsa_forward_progress 0
		.amdhsa_shared_vgpr_count 0
		.amdhsa_exception_fp_ieee_invalid_op 0
		.amdhsa_exception_fp_denorm_src 0
		.amdhsa_exception_fp_ieee_div_zero 0
		.amdhsa_exception_fp_ieee_overflow 0
		.amdhsa_exception_fp_ieee_underflow 0
		.amdhsa_exception_fp_ieee_inexact 0
		.amdhsa_exception_int_div_zero 0
	.end_amdhsa_kernel
	.section	.text._ZN7rocprim17ROCPRIM_400000_NS6detail17trampoline_kernelINS0_14default_configENS1_32segmented_reduce_config_selectorIN3c108BFloat16EEEZNS1_21segmented_reduce_implIS3_PKS6_PS6_PKlS6_N6hipcub16HIPCUB_304000_NS6detail27convert_result_type_wrapperISA_SB_N2at6native12_GLOBAL__N_19CustomSumEEEEE10hipError_tPvRmT0_T1_jT2_SS_T4_T3_P12ihipStream_tbEUlT_E_NS1_11comp_targetILNS1_3genE3ELNS1_11target_archE908ELNS1_3gpuE7ELNS1_3repE0EEENS1_30default_config_static_selectorELNS0_4arch9wavefront6targetE0EEEvSR_,"axG",@progbits,_ZN7rocprim17ROCPRIM_400000_NS6detail17trampoline_kernelINS0_14default_configENS1_32segmented_reduce_config_selectorIN3c108BFloat16EEEZNS1_21segmented_reduce_implIS3_PKS6_PS6_PKlS6_N6hipcub16HIPCUB_304000_NS6detail27convert_result_type_wrapperISA_SB_N2at6native12_GLOBAL__N_19CustomSumEEEEE10hipError_tPvRmT0_T1_jT2_SS_T4_T3_P12ihipStream_tbEUlT_E_NS1_11comp_targetILNS1_3genE3ELNS1_11target_archE908ELNS1_3gpuE7ELNS1_3repE0EEENS1_30default_config_static_selectorELNS0_4arch9wavefront6targetE0EEEvSR_,comdat
.Lfunc_end259:
	.size	_ZN7rocprim17ROCPRIM_400000_NS6detail17trampoline_kernelINS0_14default_configENS1_32segmented_reduce_config_selectorIN3c108BFloat16EEEZNS1_21segmented_reduce_implIS3_PKS6_PS6_PKlS6_N6hipcub16HIPCUB_304000_NS6detail27convert_result_type_wrapperISA_SB_N2at6native12_GLOBAL__N_19CustomSumEEEEE10hipError_tPvRmT0_T1_jT2_SS_T4_T3_P12ihipStream_tbEUlT_E_NS1_11comp_targetILNS1_3genE3ELNS1_11target_archE908ELNS1_3gpuE7ELNS1_3repE0EEENS1_30default_config_static_selectorELNS0_4arch9wavefront6targetE0EEEvSR_, .Lfunc_end259-_ZN7rocprim17ROCPRIM_400000_NS6detail17trampoline_kernelINS0_14default_configENS1_32segmented_reduce_config_selectorIN3c108BFloat16EEEZNS1_21segmented_reduce_implIS3_PKS6_PS6_PKlS6_N6hipcub16HIPCUB_304000_NS6detail27convert_result_type_wrapperISA_SB_N2at6native12_GLOBAL__N_19CustomSumEEEEE10hipError_tPvRmT0_T1_jT2_SS_T4_T3_P12ihipStream_tbEUlT_E_NS1_11comp_targetILNS1_3genE3ELNS1_11target_archE908ELNS1_3gpuE7ELNS1_3repE0EEENS1_30default_config_static_selectorELNS0_4arch9wavefront6targetE0EEEvSR_
                                        ; -- End function
	.section	.AMDGPU.csdata,"",@progbits
; Kernel info:
; codeLenInByte = 0
; NumSgprs: 0
; NumVgprs: 0
; ScratchSize: 0
; MemoryBound: 0
; FloatMode: 240
; IeeeMode: 1
; LDSByteSize: 0 bytes/workgroup (compile time only)
; SGPRBlocks: 0
; VGPRBlocks: 0
; NumSGPRsForWavesPerEU: 1
; NumVGPRsForWavesPerEU: 1
; Occupancy: 16
; WaveLimiterHint : 0
; COMPUTE_PGM_RSRC2:SCRATCH_EN: 0
; COMPUTE_PGM_RSRC2:USER_SGPR: 15
; COMPUTE_PGM_RSRC2:TRAP_HANDLER: 0
; COMPUTE_PGM_RSRC2:TGID_X_EN: 1
; COMPUTE_PGM_RSRC2:TGID_Y_EN: 0
; COMPUTE_PGM_RSRC2:TGID_Z_EN: 0
; COMPUTE_PGM_RSRC2:TIDIG_COMP_CNT: 0
	.section	.text._ZN7rocprim17ROCPRIM_400000_NS6detail17trampoline_kernelINS0_14default_configENS1_32segmented_reduce_config_selectorIN3c108BFloat16EEEZNS1_21segmented_reduce_implIS3_PKS6_PS6_PKlS6_N6hipcub16HIPCUB_304000_NS6detail27convert_result_type_wrapperISA_SB_N2at6native12_GLOBAL__N_19CustomSumEEEEE10hipError_tPvRmT0_T1_jT2_SS_T4_T3_P12ihipStream_tbEUlT_E_NS1_11comp_targetILNS1_3genE2ELNS1_11target_archE906ELNS1_3gpuE6ELNS1_3repE0EEENS1_30default_config_static_selectorELNS0_4arch9wavefront6targetE0EEEvSR_,"axG",@progbits,_ZN7rocprim17ROCPRIM_400000_NS6detail17trampoline_kernelINS0_14default_configENS1_32segmented_reduce_config_selectorIN3c108BFloat16EEEZNS1_21segmented_reduce_implIS3_PKS6_PS6_PKlS6_N6hipcub16HIPCUB_304000_NS6detail27convert_result_type_wrapperISA_SB_N2at6native12_GLOBAL__N_19CustomSumEEEEE10hipError_tPvRmT0_T1_jT2_SS_T4_T3_P12ihipStream_tbEUlT_E_NS1_11comp_targetILNS1_3genE2ELNS1_11target_archE906ELNS1_3gpuE6ELNS1_3repE0EEENS1_30default_config_static_selectorELNS0_4arch9wavefront6targetE0EEEvSR_,comdat
	.globl	_ZN7rocprim17ROCPRIM_400000_NS6detail17trampoline_kernelINS0_14default_configENS1_32segmented_reduce_config_selectorIN3c108BFloat16EEEZNS1_21segmented_reduce_implIS3_PKS6_PS6_PKlS6_N6hipcub16HIPCUB_304000_NS6detail27convert_result_type_wrapperISA_SB_N2at6native12_GLOBAL__N_19CustomSumEEEEE10hipError_tPvRmT0_T1_jT2_SS_T4_T3_P12ihipStream_tbEUlT_E_NS1_11comp_targetILNS1_3genE2ELNS1_11target_archE906ELNS1_3gpuE6ELNS1_3repE0EEENS1_30default_config_static_selectorELNS0_4arch9wavefront6targetE0EEEvSR_ ; -- Begin function _ZN7rocprim17ROCPRIM_400000_NS6detail17trampoline_kernelINS0_14default_configENS1_32segmented_reduce_config_selectorIN3c108BFloat16EEEZNS1_21segmented_reduce_implIS3_PKS6_PS6_PKlS6_N6hipcub16HIPCUB_304000_NS6detail27convert_result_type_wrapperISA_SB_N2at6native12_GLOBAL__N_19CustomSumEEEEE10hipError_tPvRmT0_T1_jT2_SS_T4_T3_P12ihipStream_tbEUlT_E_NS1_11comp_targetILNS1_3genE2ELNS1_11target_archE906ELNS1_3gpuE6ELNS1_3repE0EEENS1_30default_config_static_selectorELNS0_4arch9wavefront6targetE0EEEvSR_
	.p2align	8
	.type	_ZN7rocprim17ROCPRIM_400000_NS6detail17trampoline_kernelINS0_14default_configENS1_32segmented_reduce_config_selectorIN3c108BFloat16EEEZNS1_21segmented_reduce_implIS3_PKS6_PS6_PKlS6_N6hipcub16HIPCUB_304000_NS6detail27convert_result_type_wrapperISA_SB_N2at6native12_GLOBAL__N_19CustomSumEEEEE10hipError_tPvRmT0_T1_jT2_SS_T4_T3_P12ihipStream_tbEUlT_E_NS1_11comp_targetILNS1_3genE2ELNS1_11target_archE906ELNS1_3gpuE6ELNS1_3repE0EEENS1_30default_config_static_selectorELNS0_4arch9wavefront6targetE0EEEvSR_,@function
_ZN7rocprim17ROCPRIM_400000_NS6detail17trampoline_kernelINS0_14default_configENS1_32segmented_reduce_config_selectorIN3c108BFloat16EEEZNS1_21segmented_reduce_implIS3_PKS6_PS6_PKlS6_N6hipcub16HIPCUB_304000_NS6detail27convert_result_type_wrapperISA_SB_N2at6native12_GLOBAL__N_19CustomSumEEEEE10hipError_tPvRmT0_T1_jT2_SS_T4_T3_P12ihipStream_tbEUlT_E_NS1_11comp_targetILNS1_3genE2ELNS1_11target_archE906ELNS1_3gpuE6ELNS1_3repE0EEENS1_30default_config_static_selectorELNS0_4arch9wavefront6targetE0EEEvSR_: ; @_ZN7rocprim17ROCPRIM_400000_NS6detail17trampoline_kernelINS0_14default_configENS1_32segmented_reduce_config_selectorIN3c108BFloat16EEEZNS1_21segmented_reduce_implIS3_PKS6_PS6_PKlS6_N6hipcub16HIPCUB_304000_NS6detail27convert_result_type_wrapperISA_SB_N2at6native12_GLOBAL__N_19CustomSumEEEEE10hipError_tPvRmT0_T1_jT2_SS_T4_T3_P12ihipStream_tbEUlT_E_NS1_11comp_targetILNS1_3genE2ELNS1_11target_archE906ELNS1_3gpuE6ELNS1_3repE0EEENS1_30default_config_static_selectorELNS0_4arch9wavefront6targetE0EEEvSR_
; %bb.0:
	.section	.rodata,"a",@progbits
	.p2align	6, 0x0
	.amdhsa_kernel _ZN7rocprim17ROCPRIM_400000_NS6detail17trampoline_kernelINS0_14default_configENS1_32segmented_reduce_config_selectorIN3c108BFloat16EEEZNS1_21segmented_reduce_implIS3_PKS6_PS6_PKlS6_N6hipcub16HIPCUB_304000_NS6detail27convert_result_type_wrapperISA_SB_N2at6native12_GLOBAL__N_19CustomSumEEEEE10hipError_tPvRmT0_T1_jT2_SS_T4_T3_P12ihipStream_tbEUlT_E_NS1_11comp_targetILNS1_3genE2ELNS1_11target_archE906ELNS1_3gpuE6ELNS1_3repE0EEENS1_30default_config_static_selectorELNS0_4arch9wavefront6targetE0EEEvSR_
		.amdhsa_group_segment_fixed_size 0
		.amdhsa_private_segment_fixed_size 0
		.amdhsa_kernarg_size 48
		.amdhsa_user_sgpr_count 15
		.amdhsa_user_sgpr_dispatch_ptr 0
		.amdhsa_user_sgpr_queue_ptr 0
		.amdhsa_user_sgpr_kernarg_segment_ptr 1
		.amdhsa_user_sgpr_dispatch_id 0
		.amdhsa_user_sgpr_private_segment_size 0
		.amdhsa_wavefront_size32 1
		.amdhsa_uses_dynamic_stack 0
		.amdhsa_enable_private_segment 0
		.amdhsa_system_sgpr_workgroup_id_x 1
		.amdhsa_system_sgpr_workgroup_id_y 0
		.amdhsa_system_sgpr_workgroup_id_z 0
		.amdhsa_system_sgpr_workgroup_info 0
		.amdhsa_system_vgpr_workitem_id 0
		.amdhsa_next_free_vgpr 1
		.amdhsa_next_free_sgpr 1
		.amdhsa_reserve_vcc 0
		.amdhsa_float_round_mode_32 0
		.amdhsa_float_round_mode_16_64 0
		.amdhsa_float_denorm_mode_32 3
		.amdhsa_float_denorm_mode_16_64 3
		.amdhsa_dx10_clamp 1
		.amdhsa_ieee_mode 1
		.amdhsa_fp16_overflow 0
		.amdhsa_workgroup_processor_mode 1
		.amdhsa_memory_ordered 1
		.amdhsa_forward_progress 0
		.amdhsa_shared_vgpr_count 0
		.amdhsa_exception_fp_ieee_invalid_op 0
		.amdhsa_exception_fp_denorm_src 0
		.amdhsa_exception_fp_ieee_div_zero 0
		.amdhsa_exception_fp_ieee_overflow 0
		.amdhsa_exception_fp_ieee_underflow 0
		.amdhsa_exception_fp_ieee_inexact 0
		.amdhsa_exception_int_div_zero 0
	.end_amdhsa_kernel
	.section	.text._ZN7rocprim17ROCPRIM_400000_NS6detail17trampoline_kernelINS0_14default_configENS1_32segmented_reduce_config_selectorIN3c108BFloat16EEEZNS1_21segmented_reduce_implIS3_PKS6_PS6_PKlS6_N6hipcub16HIPCUB_304000_NS6detail27convert_result_type_wrapperISA_SB_N2at6native12_GLOBAL__N_19CustomSumEEEEE10hipError_tPvRmT0_T1_jT2_SS_T4_T3_P12ihipStream_tbEUlT_E_NS1_11comp_targetILNS1_3genE2ELNS1_11target_archE906ELNS1_3gpuE6ELNS1_3repE0EEENS1_30default_config_static_selectorELNS0_4arch9wavefront6targetE0EEEvSR_,"axG",@progbits,_ZN7rocprim17ROCPRIM_400000_NS6detail17trampoline_kernelINS0_14default_configENS1_32segmented_reduce_config_selectorIN3c108BFloat16EEEZNS1_21segmented_reduce_implIS3_PKS6_PS6_PKlS6_N6hipcub16HIPCUB_304000_NS6detail27convert_result_type_wrapperISA_SB_N2at6native12_GLOBAL__N_19CustomSumEEEEE10hipError_tPvRmT0_T1_jT2_SS_T4_T3_P12ihipStream_tbEUlT_E_NS1_11comp_targetILNS1_3genE2ELNS1_11target_archE906ELNS1_3gpuE6ELNS1_3repE0EEENS1_30default_config_static_selectorELNS0_4arch9wavefront6targetE0EEEvSR_,comdat
.Lfunc_end260:
	.size	_ZN7rocprim17ROCPRIM_400000_NS6detail17trampoline_kernelINS0_14default_configENS1_32segmented_reduce_config_selectorIN3c108BFloat16EEEZNS1_21segmented_reduce_implIS3_PKS6_PS6_PKlS6_N6hipcub16HIPCUB_304000_NS6detail27convert_result_type_wrapperISA_SB_N2at6native12_GLOBAL__N_19CustomSumEEEEE10hipError_tPvRmT0_T1_jT2_SS_T4_T3_P12ihipStream_tbEUlT_E_NS1_11comp_targetILNS1_3genE2ELNS1_11target_archE906ELNS1_3gpuE6ELNS1_3repE0EEENS1_30default_config_static_selectorELNS0_4arch9wavefront6targetE0EEEvSR_, .Lfunc_end260-_ZN7rocprim17ROCPRIM_400000_NS6detail17trampoline_kernelINS0_14default_configENS1_32segmented_reduce_config_selectorIN3c108BFloat16EEEZNS1_21segmented_reduce_implIS3_PKS6_PS6_PKlS6_N6hipcub16HIPCUB_304000_NS6detail27convert_result_type_wrapperISA_SB_N2at6native12_GLOBAL__N_19CustomSumEEEEE10hipError_tPvRmT0_T1_jT2_SS_T4_T3_P12ihipStream_tbEUlT_E_NS1_11comp_targetILNS1_3genE2ELNS1_11target_archE906ELNS1_3gpuE6ELNS1_3repE0EEENS1_30default_config_static_selectorELNS0_4arch9wavefront6targetE0EEEvSR_
                                        ; -- End function
	.section	.AMDGPU.csdata,"",@progbits
; Kernel info:
; codeLenInByte = 0
; NumSgprs: 0
; NumVgprs: 0
; ScratchSize: 0
; MemoryBound: 0
; FloatMode: 240
; IeeeMode: 1
; LDSByteSize: 0 bytes/workgroup (compile time only)
; SGPRBlocks: 0
; VGPRBlocks: 0
; NumSGPRsForWavesPerEU: 1
; NumVGPRsForWavesPerEU: 1
; Occupancy: 16
; WaveLimiterHint : 0
; COMPUTE_PGM_RSRC2:SCRATCH_EN: 0
; COMPUTE_PGM_RSRC2:USER_SGPR: 15
; COMPUTE_PGM_RSRC2:TRAP_HANDLER: 0
; COMPUTE_PGM_RSRC2:TGID_X_EN: 1
; COMPUTE_PGM_RSRC2:TGID_Y_EN: 0
; COMPUTE_PGM_RSRC2:TGID_Z_EN: 0
; COMPUTE_PGM_RSRC2:TIDIG_COMP_CNT: 0
	.section	.text._ZN7rocprim17ROCPRIM_400000_NS6detail17trampoline_kernelINS0_14default_configENS1_32segmented_reduce_config_selectorIN3c108BFloat16EEEZNS1_21segmented_reduce_implIS3_PKS6_PS6_PKlS6_N6hipcub16HIPCUB_304000_NS6detail27convert_result_type_wrapperISA_SB_N2at6native12_GLOBAL__N_19CustomSumEEEEE10hipError_tPvRmT0_T1_jT2_SS_T4_T3_P12ihipStream_tbEUlT_E_NS1_11comp_targetILNS1_3genE9ELNS1_11target_archE1100ELNS1_3gpuE3ELNS1_3repE0EEENS1_30default_config_static_selectorELNS0_4arch9wavefront6targetE0EEEvSR_,"axG",@progbits,_ZN7rocprim17ROCPRIM_400000_NS6detail17trampoline_kernelINS0_14default_configENS1_32segmented_reduce_config_selectorIN3c108BFloat16EEEZNS1_21segmented_reduce_implIS3_PKS6_PS6_PKlS6_N6hipcub16HIPCUB_304000_NS6detail27convert_result_type_wrapperISA_SB_N2at6native12_GLOBAL__N_19CustomSumEEEEE10hipError_tPvRmT0_T1_jT2_SS_T4_T3_P12ihipStream_tbEUlT_E_NS1_11comp_targetILNS1_3genE9ELNS1_11target_archE1100ELNS1_3gpuE3ELNS1_3repE0EEENS1_30default_config_static_selectorELNS0_4arch9wavefront6targetE0EEEvSR_,comdat
	.globl	_ZN7rocprim17ROCPRIM_400000_NS6detail17trampoline_kernelINS0_14default_configENS1_32segmented_reduce_config_selectorIN3c108BFloat16EEEZNS1_21segmented_reduce_implIS3_PKS6_PS6_PKlS6_N6hipcub16HIPCUB_304000_NS6detail27convert_result_type_wrapperISA_SB_N2at6native12_GLOBAL__N_19CustomSumEEEEE10hipError_tPvRmT0_T1_jT2_SS_T4_T3_P12ihipStream_tbEUlT_E_NS1_11comp_targetILNS1_3genE9ELNS1_11target_archE1100ELNS1_3gpuE3ELNS1_3repE0EEENS1_30default_config_static_selectorELNS0_4arch9wavefront6targetE0EEEvSR_ ; -- Begin function _ZN7rocprim17ROCPRIM_400000_NS6detail17trampoline_kernelINS0_14default_configENS1_32segmented_reduce_config_selectorIN3c108BFloat16EEEZNS1_21segmented_reduce_implIS3_PKS6_PS6_PKlS6_N6hipcub16HIPCUB_304000_NS6detail27convert_result_type_wrapperISA_SB_N2at6native12_GLOBAL__N_19CustomSumEEEEE10hipError_tPvRmT0_T1_jT2_SS_T4_T3_P12ihipStream_tbEUlT_E_NS1_11comp_targetILNS1_3genE9ELNS1_11target_archE1100ELNS1_3gpuE3ELNS1_3repE0EEENS1_30default_config_static_selectorELNS0_4arch9wavefront6targetE0EEEvSR_
	.p2align	8
	.type	_ZN7rocprim17ROCPRIM_400000_NS6detail17trampoline_kernelINS0_14default_configENS1_32segmented_reduce_config_selectorIN3c108BFloat16EEEZNS1_21segmented_reduce_implIS3_PKS6_PS6_PKlS6_N6hipcub16HIPCUB_304000_NS6detail27convert_result_type_wrapperISA_SB_N2at6native12_GLOBAL__N_19CustomSumEEEEE10hipError_tPvRmT0_T1_jT2_SS_T4_T3_P12ihipStream_tbEUlT_E_NS1_11comp_targetILNS1_3genE9ELNS1_11target_archE1100ELNS1_3gpuE3ELNS1_3repE0EEENS1_30default_config_static_selectorELNS0_4arch9wavefront6targetE0EEEvSR_,@function
_ZN7rocprim17ROCPRIM_400000_NS6detail17trampoline_kernelINS0_14default_configENS1_32segmented_reduce_config_selectorIN3c108BFloat16EEEZNS1_21segmented_reduce_implIS3_PKS6_PS6_PKlS6_N6hipcub16HIPCUB_304000_NS6detail27convert_result_type_wrapperISA_SB_N2at6native12_GLOBAL__N_19CustomSumEEEEE10hipError_tPvRmT0_T1_jT2_SS_T4_T3_P12ihipStream_tbEUlT_E_NS1_11comp_targetILNS1_3genE9ELNS1_11target_archE1100ELNS1_3gpuE3ELNS1_3repE0EEENS1_30default_config_static_selectorELNS0_4arch9wavefront6targetE0EEEvSR_: ; @_ZN7rocprim17ROCPRIM_400000_NS6detail17trampoline_kernelINS0_14default_configENS1_32segmented_reduce_config_selectorIN3c108BFloat16EEEZNS1_21segmented_reduce_implIS3_PKS6_PS6_PKlS6_N6hipcub16HIPCUB_304000_NS6detail27convert_result_type_wrapperISA_SB_N2at6native12_GLOBAL__N_19CustomSumEEEEE10hipError_tPvRmT0_T1_jT2_SS_T4_T3_P12ihipStream_tbEUlT_E_NS1_11comp_targetILNS1_3genE9ELNS1_11target_archE1100ELNS1_3gpuE3ELNS1_3repE0EEENS1_30default_config_static_selectorELNS0_4arch9wavefront6targetE0EEEvSR_
; %bb.0:
	s_clause 0x2
	s_load_b256 s[16:23], s[0:1], 0x0
	s_load_b32 s4, s[0:1], 0x28
	s_load_b64 s[0:1], s[0:1], 0x20
	s_mov_b32 s24, s15
	s_mov_b32 s25, 0
	s_waitcnt lgkmcnt(0)
	s_lshl_b64 s[2:3], s[20:21], 3
	s_lshr_b32 s15, s4, 16
	s_add_u32 s4, s22, s2
	s_addc_u32 s5, s23, s3
	s_add_u32 s6, s0, s2
	s_addc_u32 s7, s1, s3
	s_lshl_b64 s[0:1], s[24:25], 3
	s_delay_alu instid0(SALU_CYCLE_1)
	s_add_u32 s2, s4, s0
	s_addc_u32 s3, s5, s1
	s_add_u32 s0, s6, s0
	s_addc_u32 s1, s7, s1
	s_load_b64 s[26:27], s[2:3], 0x0
	s_load_b64 s[22:23], s[0:1], 0x0
	s_waitcnt lgkmcnt(0)
	v_cmp_gt_i64_e64 s0, s[22:23], s[26:27]
	s_delay_alu instid0(VALU_DEP_1)
	s_and_b32 vcc_lo, exec_lo, s0
	v_cmp_eq_u32_e64 s0, 0, v0
	s_cbranch_vccnz .LBB261_3
; %bb.1:
	s_delay_alu instid0(VALU_DEP_1)
	s_and_b32 s30, s0, exec_lo
	s_cbranch_execz .LBB261_4
; %bb.2:
	v_mov_b32_e32 v1, s15
	s_and_saveexec_b32 s0, s30
	s_cbranch_execnz .LBB261_115
	s_branch .LBB261_116
.LBB261_3:
	s_mov_b32 s30, s25
.LBB261_4:
	s_add_u32 s2, s26, 0x1000
	s_addc_u32 s3, s27, 0
	s_delay_alu instid0(SALU_CYCLE_1) | instskip(NEXT) | instid1(VALU_DEP_1)
	v_cmp_le_i64_e64 s0, s[2:3], s[22:23]
	s_and_b32 vcc_lo, exec_lo, s0
	s_cbranch_vccz .LBB261_61
; %bb.5:
	s_lshl_b64 s[0:1], s[26:27], 1
	v_lshlrev_b32_e32 v19, 1, v0
	s_add_u32 s4, s16, s0
	s_addc_u32 s5, s17, s1
	s_clause 0x7
	global_load_u16 v17, v19, s[4:5] offset:512
	global_load_u16 v18, v19, s[4:5]
	global_load_u16 v16, v19, s[4:5] offset:1024
	global_load_u16 v15, v19, s[4:5] offset:1536
	;; [unrolled: 1-line block ×6, first 2 shown]
	v_add_co_u32 v1, s4, s4, v19
	s_delay_alu instid0(VALU_DEP_1) | instskip(SKIP_1) | instid1(VALU_DEP_2)
	v_add_co_ci_u32_e64 v2, null, s5, 0, s4
	s_add_u32 s4, s26, 0x2000
	v_add_co_u32 v1, vcc_lo, 0x1000, v1
	s_delay_alu instid0(VALU_DEP_2)
	v_add_co_ci_u32_e32 v2, vcc_lo, 0, v2, vcc_lo
	s_addc_u32 s5, s27, 0
	s_clause 0x6
	global_load_u16 v10, v[1:2], off
	global_load_u16 v9, v[1:2], off offset:512
	global_load_u16 v8, v[1:2], off offset:1024
	;; [unrolled: 1-line block ×6, first 2 shown]
	v_cmp_ge_i64_e64 s4, s[4:5], s[22:23]
	s_waitcnt vmcnt(14)
	v_lshlrev_b32_e32 v4, 16, v17
	s_waitcnt vmcnt(13)
	v_lshlrev_b32_e32 v20, 16, v18
	;; [unrolled: 2-line block ×3, first 2 shown]
	s_delay_alu instid0(VALU_DEP_2) | instskip(NEXT) | instid1(VALU_DEP_1)
	v_add_f32_e32 v4, v20, v4
	v_bfe_u32 v20, v4, 16, 1
	v_cmp_o_f32_e32 vcc_lo, v4, v4
	s_delay_alu instid0(VALU_DEP_2) | instskip(SKIP_2) | instid1(VALU_DEP_1)
	v_add3_u32 v20, v4, v20, 0x7fff
	global_load_u16 v4, v[1:2], off offset:3584
	v_and_b32_e32 v20, 0xffff0000, v20
	v_cndmask_b32_e32 v20, 0x7fc00000, v20, vcc_lo
	s_waitcnt vmcnt(12)
	s_delay_alu instid0(VALU_DEP_1) | instskip(NEXT) | instid1(VALU_DEP_1)
	v_dual_add_f32 v1, v20, v21 :: v_dual_lshlrev_b32 v20, 16, v15
	v_bfe_u32 v2, v1, 16, 1
	s_delay_alu instid0(VALU_DEP_1) | instskip(NEXT) | instid1(VALU_DEP_1)
	v_add3_u32 v2, v1, v2, 0x7fff
	v_and_b32_e32 v2, 0xffff0000, v2
	v_cmp_o_f32_e32 vcc_lo, v1, v1
	s_delay_alu instid0(VALU_DEP_2) | instskip(SKIP_1) | instid1(VALU_DEP_1)
	v_cndmask_b32_e32 v1, 0x7fc00000, v2, vcc_lo
	s_waitcnt vmcnt(11)
	v_dual_add_f32 v1, v1, v20 :: v_dual_lshlrev_b32 v20, 16, v14
	s_delay_alu instid0(VALU_DEP_1) | instskip(NEXT) | instid1(VALU_DEP_1)
	v_bfe_u32 v2, v1, 16, 1
	v_add3_u32 v2, v1, v2, 0x7fff
	s_delay_alu instid0(VALU_DEP_1) | instskip(SKIP_1) | instid1(VALU_DEP_2)
	v_and_b32_e32 v2, 0xffff0000, v2
	v_cmp_o_f32_e32 vcc_lo, v1, v1
	v_cndmask_b32_e32 v1, 0x7fc00000, v2, vcc_lo
	s_waitcnt vmcnt(10)
	s_delay_alu instid0(VALU_DEP_1) | instskip(NEXT) | instid1(VALU_DEP_1)
	v_dual_add_f32 v1, v1, v20 :: v_dual_lshlrev_b32 v20, 16, v13
	v_bfe_u32 v2, v1, 16, 1
	s_delay_alu instid0(VALU_DEP_1) | instskip(NEXT) | instid1(VALU_DEP_1)
	v_add3_u32 v2, v1, v2, 0x7fff
	v_and_b32_e32 v2, 0xffff0000, v2
	v_cmp_o_f32_e32 vcc_lo, v1, v1
	s_delay_alu instid0(VALU_DEP_2) | instskip(NEXT) | instid1(VALU_DEP_1)
	v_cndmask_b32_e32 v1, 0x7fc00000, v2, vcc_lo
	v_add_f32_e32 v1, v1, v20
	s_waitcnt vmcnt(9)
	v_lshlrev_b32_e32 v20, 16, v12
	s_delay_alu instid0(VALU_DEP_2) | instskip(NEXT) | instid1(VALU_DEP_1)
	v_bfe_u32 v2, v1, 16, 1
	v_add3_u32 v2, v1, v2, 0x7fff
	s_delay_alu instid0(VALU_DEP_1) | instskip(SKIP_1) | instid1(VALU_DEP_2)
	v_and_b32_e32 v2, 0xffff0000, v2
	v_cmp_o_f32_e32 vcc_lo, v1, v1
	v_cndmask_b32_e32 v1, 0x7fc00000, v2, vcc_lo
	s_waitcnt vmcnt(8)
	s_delay_alu instid0(VALU_DEP_1) | instskip(NEXT) | instid1(VALU_DEP_1)
	v_dual_add_f32 v1, v1, v20 :: v_dual_lshlrev_b32 v20, 16, v11
	v_bfe_u32 v2, v1, 16, 1
	s_delay_alu instid0(VALU_DEP_1) | instskip(NEXT) | instid1(VALU_DEP_1)
	v_add3_u32 v2, v1, v2, 0x7fff
	v_and_b32_e32 v2, 0xffff0000, v2
	v_cmp_o_f32_e32 vcc_lo, v1, v1
	s_delay_alu instid0(VALU_DEP_2) | instskip(SKIP_1) | instid1(VALU_DEP_1)
	v_cndmask_b32_e32 v1, 0x7fc00000, v2, vcc_lo
	s_waitcnt vmcnt(7)
	v_dual_add_f32 v1, v1, v20 :: v_dual_lshlrev_b32 v20, 16, v10
	s_delay_alu instid0(VALU_DEP_1) | instskip(NEXT) | instid1(VALU_DEP_1)
	v_bfe_u32 v2, v1, 16, 1
	v_add3_u32 v2, v1, v2, 0x7fff
	s_delay_alu instid0(VALU_DEP_1) | instskip(SKIP_1) | instid1(VALU_DEP_2)
	v_and_b32_e32 v2, 0xffff0000, v2
	v_cmp_o_f32_e32 vcc_lo, v1, v1
	v_cndmask_b32_e32 v1, 0x7fc00000, v2, vcc_lo
	s_delay_alu instid0(VALU_DEP_1) | instskip(NEXT) | instid1(VALU_DEP_1)
	v_add_f32_e32 v1, v1, v20
	v_bfe_u32 v2, v1, 16, 1
	s_delay_alu instid0(VALU_DEP_1) | instskip(NEXT) | instid1(VALU_DEP_1)
	v_add3_u32 v2, v1, v2, 0x7fff
	v_and_b32_e32 v2, 0xffff0000, v2
	v_cmp_o_f32_e32 vcc_lo, v1, v1
	s_waitcnt vmcnt(6)
	s_delay_alu instid0(VALU_DEP_2) | instskip(NEXT) | instid1(VALU_DEP_1)
	v_dual_cndmask_b32 v1, 0x7fc00000, v2 :: v_dual_lshlrev_b32 v20, 16, v9
	v_add_f32_e32 v1, v1, v20
	s_delay_alu instid0(VALU_DEP_1) | instskip(NEXT) | instid1(VALU_DEP_1)
	v_bfe_u32 v2, v1, 16, 1
	v_add3_u32 v2, v1, v2, 0x7fff
	s_delay_alu instid0(VALU_DEP_1) | instskip(SKIP_2) | instid1(VALU_DEP_2)
	v_and_b32_e32 v2, 0xffff0000, v2
	v_cmp_o_f32_e32 vcc_lo, v1, v1
	s_waitcnt vmcnt(5)
	v_dual_cndmask_b32 v1, 0x7fc00000, v2 :: v_dual_lshlrev_b32 v20, 16, v8
	s_delay_alu instid0(VALU_DEP_1) | instskip(NEXT) | instid1(VALU_DEP_1)
	v_add_f32_e32 v1, v1, v20
	v_bfe_u32 v2, v1, 16, 1
	s_delay_alu instid0(VALU_DEP_1) | instskip(NEXT) | instid1(VALU_DEP_1)
	v_add3_u32 v2, v1, v2, 0x7fff
	v_and_b32_e32 v2, 0xffff0000, v2
	v_cmp_o_f32_e32 vcc_lo, v1, v1
	s_waitcnt vmcnt(4)
	s_delay_alu instid0(VALU_DEP_2) | instskip(SKIP_1) | instid1(VALU_DEP_1)
	v_dual_cndmask_b32 v1, 0x7fc00000, v2 :: v_dual_lshlrev_b32 v20, 16, v7
	s_waitcnt vmcnt(3)
	v_dual_add_f32 v1, v1, v20 :: v_dual_lshlrev_b32 v20, 16, v6
	s_delay_alu instid0(VALU_DEP_1) | instskip(NEXT) | instid1(VALU_DEP_1)
	v_bfe_u32 v2, v1, 16, 1
	v_add3_u32 v2, v1, v2, 0x7fff
	s_delay_alu instid0(VALU_DEP_1) | instskip(SKIP_1) | instid1(VALU_DEP_2)
	v_and_b32_e32 v2, 0xffff0000, v2
	v_cmp_o_f32_e32 vcc_lo, v1, v1
	v_cndmask_b32_e32 v1, 0x7fc00000, v2, vcc_lo
	s_waitcnt vmcnt(2)
	s_delay_alu instid0(VALU_DEP_1) | instskip(NEXT) | instid1(VALU_DEP_1)
	v_dual_add_f32 v1, v1, v20 :: v_dual_lshlrev_b32 v20, 16, v5
	v_bfe_u32 v2, v1, 16, 1
	s_delay_alu instid0(VALU_DEP_1) | instskip(NEXT) | instid1(VALU_DEP_1)
	v_add3_u32 v2, v1, v2, 0x7fff
	v_and_b32_e32 v2, 0xffff0000, v2
	v_cmp_o_f32_e32 vcc_lo, v1, v1
	s_delay_alu instid0(VALU_DEP_2) | instskip(SKIP_1) | instid1(VALU_DEP_1)
	v_cndmask_b32_e32 v1, 0x7fc00000, v2, vcc_lo
	s_waitcnt vmcnt(1)
	v_dual_add_f32 v1, v1, v20 :: v_dual_lshlrev_b32 v20, 16, v3
	s_delay_alu instid0(VALU_DEP_1) | instskip(NEXT) | instid1(VALU_DEP_1)
	v_bfe_u32 v2, v1, 16, 1
	v_add3_u32 v2, v1, v2, 0x7fff
	s_delay_alu instid0(VALU_DEP_1) | instskip(SKIP_1) | instid1(VALU_DEP_2)
	v_and_b32_e32 v2, 0xffff0000, v2
	v_cmp_o_f32_e32 vcc_lo, v1, v1
	v_cndmask_b32_e32 v1, 0x7fc00000, v2, vcc_lo
	s_delay_alu instid0(VALU_DEP_1) | instskip(SKIP_2) | instid1(VALU_DEP_2)
	v_add_f32_e32 v1, v1, v20
	s_waitcnt vmcnt(0)
	v_lshlrev_b32_e32 v20, 16, v4
	v_bfe_u32 v2, v1, 16, 1
	s_delay_alu instid0(VALU_DEP_1) | instskip(NEXT) | instid1(VALU_DEP_1)
	v_add3_u32 v2, v1, v2, 0x7fff
	v_and_b32_e32 v2, 0xffff0000, v2
	v_cmp_o_f32_e32 vcc_lo, v1, v1
	s_delay_alu instid0(VALU_DEP_2) | instskip(NEXT) | instid1(VALU_DEP_1)
	v_cndmask_b32_e32 v1, 0x7fc00000, v2, vcc_lo
	v_add_f32_e32 v1, v1, v20
	s_delay_alu instid0(VALU_DEP_1) | instskip(SKIP_1) | instid1(VALU_DEP_2)
	v_bfe_u32 v2, v1, 16, 1
	v_cmp_o_f32_e32 vcc_lo, v1, v1
	v_add3_u32 v2, v1, v2, 0x7fff
	s_delay_alu instid0(VALU_DEP_1) | instskip(NEXT) | instid1(VALU_DEP_1)
	v_lshrrev_b32_e32 v2, 16, v2
	v_cndmask_b32_e32 v20, 0x7fc0, v2, vcc_lo
	s_and_b32 vcc_lo, exec_lo, s4
	s_cbranch_vccnz .LBB261_8
; %bb.6:
	s_add_u32 s0, s16, s0
	s_addc_u32 s1, s17, s1
	v_add_co_u32 v1, s0, s0, v19
	s_delay_alu instid0(VALU_DEP_1) | instskip(NEXT) | instid1(VALU_DEP_2)
	v_add_co_ci_u32_e64 v2, null, s1, 0, s0
	v_add_co_u32 v1, vcc_lo, 0x2000, v1
	s_delay_alu instid0(VALU_DEP_2)
	v_add_co_ci_u32_e32 v2, vcc_lo, 0, v2, vcc_lo
.LBB261_7:                              ; =>This Inner Loop Header: Depth=1
	s_clause 0x7
	global_load_u16 v18, v[1:2], off
	global_load_u16 v17, v[1:2], off offset:512
	global_load_u16 v16, v[1:2], off offset:1024
	;; [unrolled: 1-line block ×7, first 2 shown]
	v_add_co_u32 v21, vcc_lo, 0x1000, v1
	v_add_co_ci_u32_e32 v22, vcc_lo, 0, v2, vcc_lo
	s_mov_b64 s[0:1], s[2:3]
	s_clause 0x5
	global_load_u16 v10, v[21:22], off
	global_load_u16 v9, v[21:22], off offset:512
	global_load_u16 v8, v[21:22], off offset:1024
	;; [unrolled: 1-line block ×5, first 2 shown]
	s_add_u32 s2, s0, 0x1000
	s_addc_u32 s3, s1, 0
	s_add_u32 s0, s0, 0x2000
	s_addc_u32 s1, s1, 0
	s_delay_alu instid0(SALU_CYCLE_1)
	v_cmp_lt_i64_e64 s0, s[0:1], s[22:23]
	s_waitcnt vmcnt(13)
	v_lshlrev_b32_e32 v4, 16, v18
	s_waitcnt vmcnt(11)
	v_lshlrev_b32_e32 v23, 16, v16
	v_lshlrev_b32_e32 v3, 16, v20
	s_delay_alu instid0(VALU_DEP_1) | instskip(NEXT) | instid1(VALU_DEP_1)
	v_dual_add_f32 v3, v3, v4 :: v_dual_lshlrev_b32 v20, 16, v17
	v_bfe_u32 v4, v3, 16, 1
	v_cmp_o_f32_e32 vcc_lo, v3, v3
	s_delay_alu instid0(VALU_DEP_2) | instskip(SKIP_2) | instid1(VALU_DEP_1)
	v_add3_u32 v4, v3, v4, 0x7fff
	global_load_u16 v3, v[21:22], off offset:3072
	v_and_b32_e32 v4, 0xffff0000, v4
	v_cndmask_b32_e32 v4, 0x7fc00000, v4, vcc_lo
	s_delay_alu instid0(VALU_DEP_1) | instskip(NEXT) | instid1(VALU_DEP_1)
	v_add_f32_e32 v4, v4, v20
	v_bfe_u32 v20, v4, 16, 1
	v_cmp_o_f32_e32 vcc_lo, v4, v4
	s_delay_alu instid0(VALU_DEP_2) | instskip(SKIP_4) | instid1(VALU_DEP_1)
	v_add3_u32 v20, v4, v20, 0x7fff
	global_load_u16 v4, v[21:22], off offset:3584
	s_waitcnt vmcnt(12)
	v_lshlrev_b32_e32 v22, 16, v15
	v_and_b32_e32 v20, 0xffff0000, v20
	v_cndmask_b32_e32 v20, 0x7fc00000, v20, vcc_lo
	s_delay_alu instid0(VALU_DEP_1) | instskip(NEXT) | instid1(VALU_DEP_1)
	v_add_f32_e32 v20, v20, v23
	v_bfe_u32 v21, v20, 16, 1
	v_cmp_o_f32_e32 vcc_lo, v20, v20
	s_delay_alu instid0(VALU_DEP_2) | instskip(NEXT) | instid1(VALU_DEP_1)
	v_add3_u32 v21, v20, v21, 0x7fff
	v_and_b32_e32 v21, 0xffff0000, v21
	s_delay_alu instid0(VALU_DEP_1) | instskip(NEXT) | instid1(VALU_DEP_1)
	v_cndmask_b32_e32 v20, 0x7fc00000, v21, vcc_lo
	v_add_f32_e32 v20, v20, v22
	s_waitcnt vmcnt(11)
	v_lshlrev_b32_e32 v22, 16, v14
	s_delay_alu instid0(VALU_DEP_2) | instskip(NEXT) | instid1(VALU_DEP_1)
	v_bfe_u32 v21, v20, 16, 1
	v_add3_u32 v21, v20, v21, 0x7fff
	s_delay_alu instid0(VALU_DEP_1) | instskip(SKIP_1) | instid1(VALU_DEP_2)
	v_and_b32_e32 v21, 0xffff0000, v21
	v_cmp_o_f32_e32 vcc_lo, v20, v20
	v_cndmask_b32_e32 v20, 0x7fc00000, v21, vcc_lo
	s_delay_alu instid0(VALU_DEP_1) | instskip(SKIP_2) | instid1(VALU_DEP_2)
	v_add_f32_e32 v20, v20, v22
	s_waitcnt vmcnt(10)
	v_lshlrev_b32_e32 v22, 16, v13
	v_bfe_u32 v21, v20, 16, 1
	s_delay_alu instid0(VALU_DEP_1) | instskip(NEXT) | instid1(VALU_DEP_1)
	v_add3_u32 v21, v20, v21, 0x7fff
	v_and_b32_e32 v21, 0xffff0000, v21
	v_cmp_o_f32_e32 vcc_lo, v20, v20
	s_delay_alu instid0(VALU_DEP_2) | instskip(NEXT) | instid1(VALU_DEP_1)
	v_cndmask_b32_e32 v20, 0x7fc00000, v21, vcc_lo
	v_add_f32_e32 v20, v20, v22
	s_waitcnt vmcnt(9)
	v_lshlrev_b32_e32 v22, 16, v12
	s_delay_alu instid0(VALU_DEP_2) | instskip(NEXT) | instid1(VALU_DEP_1)
	v_bfe_u32 v21, v20, 16, 1
	v_add3_u32 v21, v20, v21, 0x7fff
	s_delay_alu instid0(VALU_DEP_1) | instskip(SKIP_1) | instid1(VALU_DEP_2)
	v_and_b32_e32 v21, 0xffff0000, v21
	v_cmp_o_f32_e32 vcc_lo, v20, v20
	v_cndmask_b32_e32 v20, 0x7fc00000, v21, vcc_lo
	s_delay_alu instid0(VALU_DEP_1) | instskip(SKIP_2) | instid1(VALU_DEP_2)
	v_add_f32_e32 v20, v20, v22
	s_waitcnt vmcnt(8)
	v_lshlrev_b32_e32 v22, 16, v11
	v_bfe_u32 v21, v20, 16, 1
	s_delay_alu instid0(VALU_DEP_1) | instskip(NEXT) | instid1(VALU_DEP_1)
	v_add3_u32 v21, v20, v21, 0x7fff
	v_and_b32_e32 v21, 0xffff0000, v21
	v_cmp_o_f32_e32 vcc_lo, v20, v20
	s_delay_alu instid0(VALU_DEP_2) | instskip(NEXT) | instid1(VALU_DEP_1)
	;; [unrolled: 21-line block ×5, first 2 shown]
	v_cndmask_b32_e32 v20, 0x7fc00000, v21, vcc_lo
	v_add_f32_e32 v20, v20, v22
	s_waitcnt vmcnt(1)
	v_lshlrev_b32_e32 v22, 16, v3
	s_delay_alu instid0(VALU_DEP_2) | instskip(NEXT) | instid1(VALU_DEP_1)
	v_bfe_u32 v21, v20, 16, 1
	v_add3_u32 v21, v20, v21, 0x7fff
	s_delay_alu instid0(VALU_DEP_1) | instskip(SKIP_1) | instid1(VALU_DEP_2)
	v_and_b32_e32 v21, 0xffff0000, v21
	v_cmp_o_f32_e32 vcc_lo, v20, v20
	v_cndmask_b32_e32 v20, 0x7fc00000, v21, vcc_lo
	s_delay_alu instid0(VALU_DEP_1) | instskip(SKIP_2) | instid1(VALU_DEP_2)
	v_add_f32_e32 v20, v20, v22
	s_waitcnt vmcnt(0)
	v_lshlrev_b32_e32 v22, 16, v4
	v_bfe_u32 v21, v20, 16, 1
	s_delay_alu instid0(VALU_DEP_1) | instskip(NEXT) | instid1(VALU_DEP_1)
	v_add3_u32 v21, v20, v21, 0x7fff
	v_and_b32_e32 v21, 0xffff0000, v21
	v_cmp_o_f32_e32 vcc_lo, v20, v20
	s_delay_alu instid0(VALU_DEP_2) | instskip(SKIP_2) | instid1(VALU_DEP_3)
	v_cndmask_b32_e32 v20, 0x7fc00000, v21, vcc_lo
	v_add_co_u32 v1, vcc_lo, 0x2000, v1
	v_add_co_ci_u32_e32 v2, vcc_lo, 0, v2, vcc_lo
	v_add_f32_e32 v20, v20, v22
	s_and_b32 vcc_lo, exec_lo, s0
	s_delay_alu instid0(VALU_DEP_1) | instskip(SKIP_1) | instid1(VALU_DEP_2)
	v_bfe_u32 v21, v20, 16, 1
	v_cmp_o_f32_e64 s0, v20, v20
	v_add3_u32 v21, v20, v21, 0x7fff
	s_delay_alu instid0(VALU_DEP_1) | instskip(NEXT) | instid1(VALU_DEP_1)
	v_lshrrev_b32_e32 v21, 16, v21
	v_cndmask_b32_e64 v20, 0x7fc0, v21, s0
	s_cbranch_vccnz .LBB261_7
.LBB261_8:
	s_sub_i32 s31, s22, s2
	s_lshl_b64 s[0:1], s[2:3], 1
	v_cmp_gt_u32_e64 s14, s31, v0
	s_add_u32 s28, s16, s0
	s_addc_u32 s29, s17, s1
	s_delay_alu instid0(VALU_DEP_1)
	s_and_saveexec_b32 s0, s14
	s_cbranch_execz .LBB261_10
; %bb.9:
	global_load_u16 v18, v19, s[28:29]
.LBB261_10:
	s_or_b32 exec_lo, exec_lo, s0
	v_or_b32_e32 v1, 0x100, v0
	s_delay_alu instid0(VALU_DEP_1) | instskip(NEXT) | instid1(VALU_DEP_1)
	v_cmp_gt_u32_e64 s13, s31, v1
	s_and_saveexec_b32 s0, s13
	s_cbranch_execz .LBB261_12
; %bb.11:
	global_load_u16 v17, v19, s[28:29] offset:512
.LBB261_12:
	s_or_b32 exec_lo, exec_lo, s0
	v_or_b32_e32 v1, 0x200, v0
	s_delay_alu instid0(VALU_DEP_1) | instskip(NEXT) | instid1(VALU_DEP_1)
	v_cmp_gt_u32_e64 s12, s31, v1
	s_and_saveexec_b32 s0, s12
	s_cbranch_execz .LBB261_14
; %bb.13:
	global_load_u16 v16, v19, s[28:29] offset:1024
.LBB261_14:
	;; [unrolled: 9-line block ×7, first 2 shown]
	s_or_b32 exec_lo, exec_lo, s0
	v_or_b32_e32 v1, 0x800, v0
	s_delay_alu instid0(VALU_DEP_1) | instskip(NEXT) | instid1(VALU_DEP_1)
	v_cmp_gt_u32_e64 s6, s31, v1
	s_and_saveexec_b32 s0, s6
	s_cbranch_execz .LBB261_26
; %bb.25:
	v_lshlrev_b32_e32 v1, 1, v1
	global_load_u16 v10, v1, s[28:29]
.LBB261_26:
	s_or_b32 exec_lo, exec_lo, s0
	v_or_b32_e32 v1, 0x900, v0
	s_delay_alu instid0(VALU_DEP_1) | instskip(NEXT) | instid1(VALU_DEP_1)
	v_cmp_gt_u32_e64 s5, s31, v1
	s_and_saveexec_b32 s0, s5
	s_cbranch_execz .LBB261_28
; %bb.27:
	v_lshlrev_b32_e32 v1, 1, v1
	global_load_u16 v9, v1, s[28:29]
.LBB261_28:
	;; [unrolled: 10-line block ×7, first 2 shown]
	s_or_b32 exec_lo, exec_lo, s33
	v_or_b32_e32 v1, 0xf00, v0
	s_delay_alu instid0(VALU_DEP_1)
	v_cmp_gt_u32_e32 vcc_lo, s31, v1
	s_and_saveexec_b32 s31, vcc_lo
	s_cbranch_execnz .LBB261_90
; %bb.39:
	s_or_b32 exec_lo, exec_lo, s31
	s_and_saveexec_b32 s28, s14
	s_cbranch_execnz .LBB261_91
.LBB261_40:
	s_or_b32 exec_lo, exec_lo, s28
	s_and_saveexec_b32 s14, s13
	s_cbranch_execnz .LBB261_92
.LBB261_41:
	s_or_b32 exec_lo, exec_lo, s14
	s_and_saveexec_b32 s13, s12
	s_cbranch_execnz .LBB261_93
.LBB261_42:
	s_or_b32 exec_lo, exec_lo, s13
	s_and_saveexec_b32 s12, s11
	s_cbranch_execnz .LBB261_94
.LBB261_43:
	s_or_b32 exec_lo, exec_lo, s12
	s_and_saveexec_b32 s11, s10
	s_cbranch_execnz .LBB261_95
.LBB261_44:
	s_or_b32 exec_lo, exec_lo, s11
	s_and_saveexec_b32 s10, s9
	s_cbranch_execnz .LBB261_96
.LBB261_45:
	s_or_b32 exec_lo, exec_lo, s10
	s_and_saveexec_b32 s9, s8
	s_cbranch_execnz .LBB261_97
.LBB261_46:
	s_or_b32 exec_lo, exec_lo, s9
	s_and_saveexec_b32 s8, s7
	s_cbranch_execnz .LBB261_98
.LBB261_47:
	s_or_b32 exec_lo, exec_lo, s8
	s_and_saveexec_b32 s7, s6
	s_cbranch_execnz .LBB261_99
.LBB261_48:
	s_or_b32 exec_lo, exec_lo, s7
	s_and_saveexec_b32 s6, s5
	s_cbranch_execnz .LBB261_100
.LBB261_49:
	s_or_b32 exec_lo, exec_lo, s6
	s_and_saveexec_b32 s5, s4
	s_cbranch_execnz .LBB261_101
.LBB261_50:
	s_or_b32 exec_lo, exec_lo, s5
	s_and_saveexec_b32 s4, s3
	s_cbranch_execnz .LBB261_102
.LBB261_51:
	s_or_b32 exec_lo, exec_lo, s4
	s_and_saveexec_b32 s3, s2
	s_cbranch_execnz .LBB261_103
.LBB261_52:
	s_or_b32 exec_lo, exec_lo, s3
	s_and_saveexec_b32 s2, s1
	s_cbranch_execnz .LBB261_104
.LBB261_53:
	s_or_b32 exec_lo, exec_lo, s2
	s_and_saveexec_b32 s1, s0
	s_cbranch_execnz .LBB261_105
.LBB261_54:
	s_or_b32 exec_lo, exec_lo, s1
	s_and_saveexec_b32 s0, vcc_lo
	s_cbranch_execz .LBB261_56
.LBB261_55:
	v_lshlrev_b32_e32 v1, 16, v20
	s_waitcnt vmcnt(0)
	v_lshlrev_b32_e32 v2, 16, v4
	s_delay_alu instid0(VALU_DEP_1) | instskip(NEXT) | instid1(VALU_DEP_1)
	v_add_f32_e32 v1, v2, v1
	v_bfe_u32 v2, v1, 16, 1
	v_cmp_o_f32_e32 vcc_lo, v1, v1
	s_delay_alu instid0(VALU_DEP_2) | instskip(NEXT) | instid1(VALU_DEP_1)
	v_add3_u32 v2, v1, v2, 0x7fff
	v_lshrrev_b32_e32 v2, 16, v2
	s_delay_alu instid0(VALU_DEP_1)
	v_cndmask_b32_e32 v20, 0x7fc0, v2, vcc_lo
.LBB261_56:
	s_or_b32 exec_lo, exec_lo, s0
	s_delay_alu instid0(VALU_DEP_1) | instskip(SKIP_2) | instid1(VALU_DEP_2)
	v_and_b32_e32 v1, 0xffff, v20
	v_lshlrev_b32_e32 v2, 16, v20
	s_mov_b32 s0, exec_lo
	v_mov_b32_dpp v1, v1 quad_perm:[1,0,3,2] row_mask:0xf bank_mask:0xf
	s_delay_alu instid0(VALU_DEP_1) | instskip(NEXT) | instid1(VALU_DEP_1)
	v_lshlrev_b32_e32 v1, 16, v1
	v_add_f32_e32 v1, v2, v1
	s_delay_alu instid0(VALU_DEP_1) | instskip(SKIP_1) | instid1(VALU_DEP_2)
	v_bfe_u32 v2, v1, 16, 1
	v_cmp_o_f32_e32 vcc_lo, v1, v1
	v_add3_u32 v2, v1, v2, 0x7fff
	s_delay_alu instid0(VALU_DEP_1) | instskip(NEXT) | instid1(VALU_DEP_1)
	v_lshrrev_b32_e32 v2, 16, v2
	v_cndmask_b32_e32 v1, 0x7fc0, v2, vcc_lo
	s_delay_alu instid0(VALU_DEP_1) | instskip(SKIP_1) | instid1(VALU_DEP_2)
	v_mov_b32_dpp v2, v1 quad_perm:[2,3,0,1] row_mask:0xf bank_mask:0xf
	v_lshlrev_b32_e32 v1, 16, v1
	v_lshlrev_b32_e32 v2, 16, v2
	s_delay_alu instid0(VALU_DEP_1) | instskip(NEXT) | instid1(VALU_DEP_1)
	v_add_f32_e32 v1, v2, v1
	v_bfe_u32 v2, v1, 16, 1
	v_cmp_o_f32_e32 vcc_lo, v1, v1
	s_delay_alu instid0(VALU_DEP_2) | instskip(NEXT) | instid1(VALU_DEP_1)
	v_add3_u32 v2, v1, v2, 0x7fff
	v_lshrrev_b32_e32 v2, 16, v2
	s_delay_alu instid0(VALU_DEP_1) | instskip(NEXT) | instid1(VALU_DEP_1)
	v_cndmask_b32_e32 v1, 0x7fc0, v2, vcc_lo
	v_mov_b32_dpp v2, v1 row_ror:4 row_mask:0xf bank_mask:0xf
	v_lshlrev_b32_e32 v1, 16, v1
	s_delay_alu instid0(VALU_DEP_2) | instskip(NEXT) | instid1(VALU_DEP_1)
	v_lshlrev_b32_e32 v2, 16, v2
	v_add_f32_e32 v1, v2, v1
	s_delay_alu instid0(VALU_DEP_1) | instskip(SKIP_1) | instid1(VALU_DEP_2)
	v_bfe_u32 v2, v1, 16, 1
	v_cmp_o_f32_e32 vcc_lo, v1, v1
	v_add3_u32 v2, v1, v2, 0x7fff
	s_delay_alu instid0(VALU_DEP_1) | instskip(NEXT) | instid1(VALU_DEP_1)
	v_lshrrev_b32_e32 v2, 16, v2
	v_cndmask_b32_e32 v1, 0x7fc0, v2, vcc_lo
	s_delay_alu instid0(VALU_DEP_1) | instskip(SKIP_1) | instid1(VALU_DEP_2)
	v_mov_b32_dpp v2, v1 row_ror:8 row_mask:0xf bank_mask:0xf
	v_lshlrev_b32_e32 v1, 16, v1
	v_lshlrev_b32_e32 v2, 16, v2
	s_delay_alu instid0(VALU_DEP_1) | instskip(NEXT) | instid1(VALU_DEP_1)
	v_add_f32_e32 v1, v2, v1
	v_bfe_u32 v2, v1, 16, 1
	v_cmp_o_f32_e32 vcc_lo, v1, v1
	s_delay_alu instid0(VALU_DEP_2) | instskip(NEXT) | instid1(VALU_DEP_1)
	v_add3_u32 v2, v1, v2, 0x7fff
	v_lshrrev_b32_e32 v2, 16, v2
	s_delay_alu instid0(VALU_DEP_1) | instskip(SKIP_4) | instid1(VALU_DEP_1)
	v_cndmask_b32_e32 v1, 0x7fc0, v2, vcc_lo
	ds_swizzle_b32 v2, v1 offset:swizzle(BROADCAST,32,15)
	v_lshlrev_b32_e32 v1, 16, v1
	s_waitcnt lgkmcnt(0)
	v_lshlrev_b32_e32 v2, 16, v2
	v_add_f32_e32 v1, v2, v1
	s_delay_alu instid0(VALU_DEP_1) | instskip(SKIP_1) | instid1(VALU_DEP_2)
	v_bfe_u32 v2, v1, 16, 1
	v_cmp_o_f32_e32 vcc_lo, v1, v1
	v_add3_u32 v2, v1, v2, 0x7fff
	s_delay_alu instid0(VALU_DEP_1) | instskip(NEXT) | instid1(VALU_DEP_1)
	v_lshrrev_b32_e32 v2, 16, v2
	v_dual_cndmask_b32 v1, 0x7fc0, v2 :: v_dual_mov_b32 v2, 0
	ds_bpermute_b32 v2, v2, v1 offset:124
	v_mbcnt_lo_u32_b32 v1, -1, 0
	s_delay_alu instid0(VALU_DEP_1)
	v_cmpx_eq_u32_e32 0, v1
	s_xor_b32 s0, exec_lo, s0
	s_cbranch_execz .LBB261_58
; %bb.57:
	s_waitcnt vmcnt(0)
	v_lshrrev_b32_e32 v3, 4, v0
	s_delay_alu instid0(VALU_DEP_1)
	v_and_b32_e32 v3, 14, v3
	s_waitcnt lgkmcnt(0)
	ds_store_b16 v3, v2
.LBB261_58:
	s_or_b32 exec_lo, exec_lo, s0
	s_delay_alu instid0(SALU_CYCLE_1)
	s_mov_b32 s0, exec_lo
	s_waitcnt vmcnt(0) lgkmcnt(0)
	s_barrier
	buffer_gl0_inv
	v_cmpx_gt_u32_e32 32, v0
	s_cbranch_execz .LBB261_60
; %bb.59:
	v_and_b32_e32 v2, 7, v1
	s_delay_alu instid0(VALU_DEP_1) | instskip(SKIP_3) | instid1(VALU_DEP_1)
	v_lshlrev_b32_e32 v3, 1, v2
	v_cmp_ne_u32_e32 vcc_lo, 7, v2
	ds_load_u16 v3, v3
	v_add_co_ci_u32_e32 v4, vcc_lo, 0, v1, vcc_lo
	v_lshlrev_b32_e32 v4, 2, v4
	s_waitcnt lgkmcnt(0)
	ds_bpermute_b32 v4, v4, v3
	v_lshlrev_b32_e32 v3, 16, v3
	s_waitcnt lgkmcnt(0)
	v_lshlrev_b32_e32 v4, 16, v4
	s_delay_alu instid0(VALU_DEP_1) | instskip(SKIP_1) | instid1(VALU_DEP_2)
	v_add_f32_e32 v3, v3, v4
	v_cmp_gt_u32_e32 vcc_lo, 6, v2
	v_bfe_u32 v4, v3, 16, 1
	v_cndmask_b32_e64 v5, 0, 1, vcc_lo
	v_cmp_o_f32_e32 vcc_lo, v3, v3
	s_delay_alu instid0(VALU_DEP_3) | instskip(NEXT) | instid1(VALU_DEP_3)
	v_add3_u32 v4, v3, v4, 0x7fff
	v_lshlrev_b32_e32 v5, 1, v5
	s_delay_alu instid0(VALU_DEP_2) | instskip(NEXT) | instid1(VALU_DEP_2)
	v_lshrrev_b32_e32 v4, 16, v4
	v_add_lshl_u32 v5, v5, v1, 2
	s_delay_alu instid0(VALU_DEP_2) | instskip(SKIP_2) | instid1(VALU_DEP_1)
	v_cndmask_b32_e32 v3, 0x7fc0, v4, vcc_lo
	v_cmp_gt_u32_e32 vcc_lo, 4, v2
	v_cndmask_b32_e64 v2, 0, 1, vcc_lo
	v_lshlrev_b32_e32 v2, 2, v2
	ds_bpermute_b32 v4, v5, v3
	v_lshlrev_b32_e32 v3, 16, v3
	v_add_lshl_u32 v1, v2, v1, 2
	s_waitcnt lgkmcnt(0)
	v_lshlrev_b32_e32 v4, 16, v4
	s_delay_alu instid0(VALU_DEP_1) | instskip(NEXT) | instid1(VALU_DEP_1)
	v_add_f32_e32 v3, v4, v3
	v_bfe_u32 v4, v3, 16, 1
	v_cmp_o_f32_e32 vcc_lo, v3, v3
	s_delay_alu instid0(VALU_DEP_2) | instskip(NEXT) | instid1(VALU_DEP_1)
	v_add3_u32 v4, v3, v4, 0x7fff
	v_lshrrev_b32_e32 v4, 16, v4
	s_delay_alu instid0(VALU_DEP_1) | instskip(SKIP_4) | instid1(VALU_DEP_1)
	v_cndmask_b32_e32 v3, 0x7fc0, v4, vcc_lo
	ds_bpermute_b32 v1, v1, v3
	v_lshlrev_b32_e32 v2, 16, v3
	s_waitcnt lgkmcnt(0)
	v_lshlrev_b32_e32 v1, 16, v1
	v_add_f32_e32 v1, v1, v2
	s_delay_alu instid0(VALU_DEP_1) | instskip(SKIP_1) | instid1(VALU_DEP_2)
	v_bfe_u32 v2, v1, 16, 1
	v_cmp_o_f32_e32 vcc_lo, v1, v1
	v_add3_u32 v2, v1, v2, 0x7fff
	s_delay_alu instid0(VALU_DEP_1) | instskip(NEXT) | instid1(VALU_DEP_1)
	v_lshrrev_b32_e32 v2, 16, v2
	v_cndmask_b32_e32 v2, 0x7fc0, v2, vcc_lo
.LBB261_60:
	s_or_b32 exec_lo, exec_lo, s0
	s_branch .LBB261_112
.LBB261_61:
                                        ; implicit-def: $vgpr2
	s_cbranch_execz .LBB261_112
; %bb.62:
	s_sub_i32 s1, s22, s26
	s_mov_b32 s2, exec_lo
                                        ; implicit-def: $vgpr5
	v_cmpx_gt_u32_e64 s1, v0
	s_cbranch_execz .LBB261_68
; %bb.63:
	v_add_co_u32 v1, s0, s26, v0
	s_delay_alu instid0(VALU_DEP_1) | instskip(SKIP_1) | instid1(VALU_DEP_1)
	v_add_co_ci_u32_e64 v2, null, s27, 0, s0
	s_mov_b32 s3, exec_lo
	v_lshlrev_b64 v[3:4], 1, v[1:2]
	s_delay_alu instid0(VALU_DEP_1) | instskip(NEXT) | instid1(VALU_DEP_2)
	v_add_co_u32 v3, vcc_lo, s16, v3
	v_add_co_ci_u32_e32 v4, vcc_lo, s17, v4, vcc_lo
	v_add_co_u32 v1, vcc_lo, 0x100, v1
	v_add_co_ci_u32_e32 v2, vcc_lo, 0, v2, vcc_lo
	global_load_u16 v5, v[3:4], off
	v_cmpx_gt_i64_e64 s[22:23], v[1:2]
	s_cbranch_execz .LBB261_67
; %bb.64:
	v_add_co_u32 v3, vcc_lo, 0x200, v3
	v_add_co_ci_u32_e32 v4, vcc_lo, 0, v4, vcc_lo
	s_mov_b32 s4, 0
	.p2align	6
.LBB261_65:                             ; =>This Inner Loop Header: Depth=1
	global_load_u16 v6, v[3:4], off
	s_waitcnt vmcnt(1)
	v_lshlrev_b32_e32 v5, 16, v5
	v_add_co_u32 v1, vcc_lo, 0x100, v1
	v_add_co_ci_u32_e32 v2, vcc_lo, 0, v2, vcc_lo
	v_add_co_u32 v3, vcc_lo, 0x200, v3
	v_add_co_ci_u32_e32 v4, vcc_lo, 0, v4, vcc_lo
	s_delay_alu instid0(VALU_DEP_3) | instskip(NEXT) | instid1(VALU_DEP_1)
	v_cmp_le_i64_e64 s0, s[22:23], v[1:2]
	s_or_b32 s4, s0, s4
	s_waitcnt vmcnt(0)
	v_lshlrev_b32_e32 v6, 16, v6
	s_delay_alu instid0(VALU_DEP_1) | instskip(NEXT) | instid1(VALU_DEP_1)
	v_add_f32_e32 v5, v5, v6
	v_bfe_u32 v6, v5, 16, 1
	v_cmp_o_f32_e32 vcc_lo, v5, v5
	s_delay_alu instid0(VALU_DEP_2) | instskip(NEXT) | instid1(VALU_DEP_1)
	v_add3_u32 v6, v5, v6, 0x7fff
	v_lshrrev_b32_e32 v6, 16, v6
	s_delay_alu instid0(VALU_DEP_1)
	v_cndmask_b32_e32 v5, 0x7fc0, v6, vcc_lo
	s_and_not1_b32 exec_lo, exec_lo, s4
	s_cbranch_execnz .LBB261_65
; %bb.66:
	s_or_b32 exec_lo, exec_lo, s4
.LBB261_67:
	s_delay_alu instid0(SALU_CYCLE_1)
	s_or_b32 exec_lo, exec_lo, s3
.LBB261_68:
	s_delay_alu instid0(SALU_CYCLE_1)
	s_or_b32 exec_lo, exec_lo, s2
	v_mbcnt_lo_u32_b32 v1, -1, 0
	s_waitcnt vmcnt(0)
	v_and_b32_e32 v3, 0xffff, v5
	s_cmpk_lt_u32 s1, 0x100
	s_cbranch_scc0 .LBB261_106
; %bb.69:
	v_cmp_ne_u32_e32 vcc_lo, 31, v1
	s_delay_alu instid0(VALU_DEP_2) | instskip(SKIP_1) | instid1(VALU_DEP_1)
	v_mov_b32_e32 v6, v3
	v_add_co_ci_u32_e32 v2, vcc_lo, 0, v1, vcc_lo
	v_lshlrev_b32_e32 v2, 2, v2
	ds_bpermute_b32 v7, v2, v3
	v_and_b32_e32 v2, 0xe0, v0
	s_delay_alu instid0(VALU_DEP_1) | instskip(SKIP_1) | instid1(VALU_DEP_1)
	v_sub_nc_u32_e64 v4, s1, v2 clamp
	v_add_nc_u32_e32 v2, 1, v1
	v_cmp_lt_u32_e32 vcc_lo, v2, v4
	v_mov_b32_e32 v2, v5
	s_and_saveexec_b32 s0, vcc_lo
	s_cbranch_execz .LBB261_71
; %bb.70:
	v_lshlrev_b32_e32 v2, 16, v3
	s_waitcnt lgkmcnt(0)
	v_lshlrev_b32_e32 v6, 16, v7
	s_delay_alu instid0(VALU_DEP_1) | instskip(NEXT) | instid1(VALU_DEP_1)
	v_add_f32_e32 v2, v2, v6
	v_bfe_u32 v6, v2, 16, 1
	v_cmp_o_f32_e32 vcc_lo, v2, v2
	s_delay_alu instid0(VALU_DEP_2) | instskip(NEXT) | instid1(VALU_DEP_1)
	v_add3_u32 v6, v2, v6, 0x7fff
	v_lshrrev_b32_e32 v6, 16, v6
	s_delay_alu instid0(VALU_DEP_1) | instskip(NEXT) | instid1(VALU_DEP_1)
	v_cndmask_b32_e32 v2, 0x7fc0, v6, vcc_lo
	v_and_b32_e32 v6, 0xffff, v2
.LBB261_71:
	s_or_b32 exec_lo, exec_lo, s0
	v_cmp_gt_u32_e32 vcc_lo, 30, v1
	v_add_nc_u32_e32 v8, 2, v1
	s_mov_b32 s0, exec_lo
	s_waitcnt lgkmcnt(0)
	v_cndmask_b32_e64 v7, 0, 1, vcc_lo
	s_delay_alu instid0(VALU_DEP_1) | instskip(NEXT) | instid1(VALU_DEP_1)
	v_lshlrev_b32_e32 v7, 1, v7
	v_add_lshl_u32 v7, v7, v1, 2
	ds_bpermute_b32 v7, v7, v6
	v_cmpx_lt_u32_e64 v8, v4
	s_cbranch_execz .LBB261_73
; %bb.72:
	v_lshlrev_b32_e32 v2, 16, v6
	s_waitcnt lgkmcnt(0)
	v_lshlrev_b32_e32 v6, 16, v7
	s_delay_alu instid0(VALU_DEP_1) | instskip(NEXT) | instid1(VALU_DEP_1)
	v_add_f32_e32 v2, v2, v6
	v_bfe_u32 v6, v2, 16, 1
	v_cmp_o_f32_e32 vcc_lo, v2, v2
	s_delay_alu instid0(VALU_DEP_2) | instskip(NEXT) | instid1(VALU_DEP_1)
	v_add3_u32 v6, v2, v6, 0x7fff
	v_lshrrev_b32_e32 v6, 16, v6
	s_delay_alu instid0(VALU_DEP_1) | instskip(NEXT) | instid1(VALU_DEP_1)
	v_cndmask_b32_e32 v2, 0x7fc0, v6, vcc_lo
	v_and_b32_e32 v6, 0xffff, v2
.LBB261_73:
	s_or_b32 exec_lo, exec_lo, s0
	v_cmp_gt_u32_e32 vcc_lo, 28, v1
	v_add_nc_u32_e32 v8, 4, v1
	s_mov_b32 s0, exec_lo
	s_waitcnt lgkmcnt(0)
	v_cndmask_b32_e64 v7, 0, 1, vcc_lo
	s_delay_alu instid0(VALU_DEP_1) | instskip(NEXT) | instid1(VALU_DEP_1)
	v_lshlrev_b32_e32 v7, 2, v7
	v_add_lshl_u32 v7, v7, v1, 2
	ds_bpermute_b32 v7, v7, v6
	v_cmpx_lt_u32_e64 v8, v4
	;; [unrolled: 27-line block ×4, first 2 shown]
	s_cbranch_execz .LBB261_79
; %bb.78:
	v_lshlrev_b32_e32 v2, 16, v6
	s_waitcnt lgkmcnt(0)
	v_lshlrev_b32_e32 v4, 16, v7
	s_delay_alu instid0(VALU_DEP_1) | instskip(NEXT) | instid1(VALU_DEP_1)
	v_add_f32_e32 v2, v2, v4
	v_bfe_u32 v4, v2, 16, 1
	v_cmp_o_f32_e32 vcc_lo, v2, v2
	s_delay_alu instid0(VALU_DEP_2) | instskip(NEXT) | instid1(VALU_DEP_1)
	v_add3_u32 v4, v2, v4, 0x7fff
	v_lshrrev_b32_e32 v4, 16, v4
	s_delay_alu instid0(VALU_DEP_1)
	v_cndmask_b32_e32 v2, 0x7fc0, v4, vcc_lo
.LBB261_79:
	s_or_b32 exec_lo, exec_lo, s0
	s_delay_alu instid0(SALU_CYCLE_1)
	s_mov_b32 s0, exec_lo
	v_cmpx_eq_u32_e32 0, v1
	s_cbranch_execz .LBB261_81
; %bb.80:
	v_lshrrev_b32_e32 v4, 4, v0
	s_delay_alu instid0(VALU_DEP_1)
	v_and_b32_e32 v4, 14, v4
	ds_store_b16 v4, v2
.LBB261_81:
	s_or_b32 exec_lo, exec_lo, s0
	s_delay_alu instid0(SALU_CYCLE_1)
	s_mov_b32 s0, exec_lo
	s_waitcnt lgkmcnt(0)
	s_barrier
	buffer_gl0_inv
	v_cmpx_gt_u32_e32 8, v0
	s_cbranch_execz .LBB261_89
; %bb.82:
	v_lshlrev_b32_e32 v2, 1, v1
	v_and_b32_e32 v4, 7, v1
	s_add_i32 s1, s1, 31
	s_mov_b32 s2, exec_lo
	s_lshr_b32 s1, s1, 5
	ds_load_u16 v2, v2
	v_cmp_ne_u32_e32 vcc_lo, 7, v4
	v_add_nc_u32_e32 v8, 1, v4
	v_add_co_ci_u32_e32 v7, vcc_lo, 0, v1, vcc_lo
	s_delay_alu instid0(VALU_DEP_1)
	v_lshlrev_b32_e32 v7, 2, v7
	s_waitcnt lgkmcnt(0)
	v_and_b32_e32 v6, 0xffff, v2
	ds_bpermute_b32 v7, v7, v6
	v_cmpx_gt_u32_e64 s1, v8
	s_cbranch_execz .LBB261_84
; %bb.83:
	v_lshlrev_b32_e32 v2, 16, v6
	s_waitcnt lgkmcnt(0)
	v_lshlrev_b32_e32 v6, 16, v7
	s_delay_alu instid0(VALU_DEP_1) | instskip(NEXT) | instid1(VALU_DEP_1)
	v_add_f32_e32 v2, v2, v6
	v_bfe_u32 v6, v2, 16, 1
	v_cmp_o_f32_e32 vcc_lo, v2, v2
	s_delay_alu instid0(VALU_DEP_2) | instskip(NEXT) | instid1(VALU_DEP_1)
	v_add3_u32 v6, v2, v6, 0x7fff
	v_lshrrev_b32_e32 v6, 16, v6
	s_delay_alu instid0(VALU_DEP_1) | instskip(NEXT) | instid1(VALU_DEP_1)
	v_cndmask_b32_e32 v2, 0x7fc0, v6, vcc_lo
	v_and_b32_e32 v6, 0xffff, v2
.LBB261_84:
	s_or_b32 exec_lo, exec_lo, s2
	v_cmp_gt_u32_e32 vcc_lo, 6, v4
	v_add_nc_u32_e32 v8, 2, v4
	s_mov_b32 s2, exec_lo
	s_waitcnt lgkmcnt(0)
	v_cndmask_b32_e64 v7, 0, 1, vcc_lo
	s_delay_alu instid0(VALU_DEP_1) | instskip(NEXT) | instid1(VALU_DEP_1)
	v_lshlrev_b32_e32 v7, 1, v7
	v_add_lshl_u32 v7, v7, v1, 2
	ds_bpermute_b32 v7, v7, v6
	v_cmpx_gt_u32_e64 s1, v8
	s_cbranch_execz .LBB261_86
; %bb.85:
	v_lshlrev_b32_e32 v2, 16, v6
	s_waitcnt lgkmcnt(0)
	v_lshlrev_b32_e32 v6, 16, v7
	s_delay_alu instid0(VALU_DEP_1) | instskip(NEXT) | instid1(VALU_DEP_1)
	v_add_f32_e32 v2, v2, v6
	v_bfe_u32 v6, v2, 16, 1
	v_cmp_o_f32_e32 vcc_lo, v2, v2
	s_delay_alu instid0(VALU_DEP_2) | instskip(NEXT) | instid1(VALU_DEP_1)
	v_add3_u32 v6, v2, v6, 0x7fff
	v_lshrrev_b32_e32 v6, 16, v6
	s_delay_alu instid0(VALU_DEP_1) | instskip(NEXT) | instid1(VALU_DEP_1)
	v_cndmask_b32_e32 v2, 0x7fc0, v6, vcc_lo
	v_and_b32_e32 v6, 0xffff, v2
.LBB261_86:
	s_or_b32 exec_lo, exec_lo, s2
	v_cmp_gt_u32_e32 vcc_lo, 4, v4
	v_add_nc_u32_e32 v4, 4, v4
	s_waitcnt lgkmcnt(0)
	v_cndmask_b32_e64 v7, 0, 1, vcc_lo
	s_delay_alu instid0(VALU_DEP_2) | instskip(NEXT) | instid1(VALU_DEP_2)
	v_cmp_gt_u32_e32 vcc_lo, s1, v4
	v_lshlrev_b32_e32 v7, 2, v7
	s_delay_alu instid0(VALU_DEP_1)
	v_add_lshl_u32 v7, v7, v1, 2
	ds_bpermute_b32 v7, v7, v6
	s_and_saveexec_b32 s1, vcc_lo
	s_cbranch_execz .LBB261_88
; %bb.87:
	v_lshlrev_b32_e32 v2, 16, v6
	s_waitcnt lgkmcnt(0)
	v_lshlrev_b32_e32 v4, 16, v7
	s_delay_alu instid0(VALU_DEP_1) | instskip(NEXT) | instid1(VALU_DEP_1)
	v_add_f32_e32 v2, v2, v4
	v_bfe_u32 v4, v2, 16, 1
	v_cmp_o_f32_e32 vcc_lo, v2, v2
	s_delay_alu instid0(VALU_DEP_2) | instskip(NEXT) | instid1(VALU_DEP_1)
	v_add3_u32 v4, v2, v4, 0x7fff
	v_lshrrev_b32_e32 v4, 16, v4
	s_delay_alu instid0(VALU_DEP_1)
	v_cndmask_b32_e32 v2, 0x7fc0, v4, vcc_lo
.LBB261_88:
	s_or_b32 exec_lo, exec_lo, s1
.LBB261_89:
	s_delay_alu instid0(SALU_CYCLE_1)
	s_or_b32 exec_lo, exec_lo, s0
	s_branch .LBB261_112
.LBB261_90:
	v_lshlrev_b32_e32 v1, 1, v1
	global_load_u16 v4, v1, s[28:29]
	s_or_b32 exec_lo, exec_lo, s31
	s_and_saveexec_b32 s28, s14
	s_cbranch_execz .LBB261_40
.LBB261_91:
	v_lshlrev_b32_e32 v1, 16, v20
	s_waitcnt vmcnt(0)
	v_lshlrev_b32_e32 v2, 16, v18
	s_delay_alu instid0(VALU_DEP_1) | instskip(NEXT) | instid1(VALU_DEP_1)
	v_add_f32_e32 v1, v1, v2
	v_bfe_u32 v2, v1, 16, 1
	v_cmp_o_f32_e64 s14, v1, v1
	s_delay_alu instid0(VALU_DEP_2) | instskip(NEXT) | instid1(VALU_DEP_1)
	v_add3_u32 v2, v1, v2, 0x7fff
	v_lshrrev_b32_e32 v2, 16, v2
	s_delay_alu instid0(VALU_DEP_1)
	v_cndmask_b32_e64 v20, 0x7fc0, v2, s14
	s_or_b32 exec_lo, exec_lo, s28
	s_and_saveexec_b32 s14, s13
	s_cbranch_execz .LBB261_41
.LBB261_92:
	s_delay_alu instid0(VALU_DEP_1) | instskip(SKIP_2) | instid1(VALU_DEP_1)
	v_lshlrev_b32_e32 v1, 16, v20
	s_waitcnt vmcnt(0)
	v_lshlrev_b32_e32 v2, 16, v17
	v_add_f32_e32 v1, v2, v1
	s_delay_alu instid0(VALU_DEP_1) | instskip(SKIP_1) | instid1(VALU_DEP_2)
	v_bfe_u32 v2, v1, 16, 1
	v_cmp_o_f32_e64 s13, v1, v1
	v_add3_u32 v2, v1, v2, 0x7fff
	s_delay_alu instid0(VALU_DEP_1) | instskip(NEXT) | instid1(VALU_DEP_1)
	v_lshrrev_b32_e32 v2, 16, v2
	v_cndmask_b32_e64 v20, 0x7fc0, v2, s13
	s_or_b32 exec_lo, exec_lo, s14
	s_and_saveexec_b32 s13, s12
	s_cbranch_execz .LBB261_42
.LBB261_93:
	s_delay_alu instid0(VALU_DEP_1) | instskip(SKIP_2) | instid1(VALU_DEP_1)
	v_lshlrev_b32_e32 v1, 16, v20
	s_waitcnt vmcnt(0)
	v_lshlrev_b32_e32 v2, 16, v16
	v_add_f32_e32 v1, v2, v1
	s_delay_alu instid0(VALU_DEP_1) | instskip(SKIP_1) | instid1(VALU_DEP_2)
	v_bfe_u32 v2, v1, 16, 1
	v_cmp_o_f32_e64 s12, v1, v1
	v_add3_u32 v2, v1, v2, 0x7fff
	s_delay_alu instid0(VALU_DEP_1) | instskip(NEXT) | instid1(VALU_DEP_1)
	v_lshrrev_b32_e32 v2, 16, v2
	v_cndmask_b32_e64 v20, 0x7fc0, v2, s12
	s_or_b32 exec_lo, exec_lo, s13
	s_and_saveexec_b32 s12, s11
	s_cbranch_execz .LBB261_43
.LBB261_94:
	s_delay_alu instid0(VALU_DEP_1) | instskip(SKIP_2) | instid1(VALU_DEP_1)
	v_lshlrev_b32_e32 v1, 16, v20
	s_waitcnt vmcnt(0)
	v_lshlrev_b32_e32 v2, 16, v15
	v_add_f32_e32 v1, v2, v1
	s_delay_alu instid0(VALU_DEP_1) | instskip(SKIP_1) | instid1(VALU_DEP_2)
	v_bfe_u32 v2, v1, 16, 1
	v_cmp_o_f32_e64 s11, v1, v1
	v_add3_u32 v2, v1, v2, 0x7fff
	s_delay_alu instid0(VALU_DEP_1) | instskip(NEXT) | instid1(VALU_DEP_1)
	v_lshrrev_b32_e32 v2, 16, v2
	v_cndmask_b32_e64 v20, 0x7fc0, v2, s11
	s_or_b32 exec_lo, exec_lo, s12
	s_and_saveexec_b32 s11, s10
	s_cbranch_execz .LBB261_44
.LBB261_95:
	s_delay_alu instid0(VALU_DEP_1) | instskip(SKIP_2) | instid1(VALU_DEP_1)
	v_lshlrev_b32_e32 v1, 16, v20
	s_waitcnt vmcnt(0)
	v_lshlrev_b32_e32 v2, 16, v14
	v_add_f32_e32 v1, v2, v1
	s_delay_alu instid0(VALU_DEP_1) | instskip(SKIP_1) | instid1(VALU_DEP_2)
	v_bfe_u32 v2, v1, 16, 1
	v_cmp_o_f32_e64 s10, v1, v1
	v_add3_u32 v2, v1, v2, 0x7fff
	s_delay_alu instid0(VALU_DEP_1) | instskip(NEXT) | instid1(VALU_DEP_1)
	v_lshrrev_b32_e32 v2, 16, v2
	v_cndmask_b32_e64 v20, 0x7fc0, v2, s10
	s_or_b32 exec_lo, exec_lo, s11
	s_and_saveexec_b32 s10, s9
	s_cbranch_execz .LBB261_45
.LBB261_96:
	s_delay_alu instid0(VALU_DEP_1) | instskip(SKIP_2) | instid1(VALU_DEP_1)
	v_lshlrev_b32_e32 v1, 16, v20
	s_waitcnt vmcnt(0)
	v_lshlrev_b32_e32 v2, 16, v13
	v_add_f32_e32 v1, v2, v1
	s_delay_alu instid0(VALU_DEP_1) | instskip(SKIP_1) | instid1(VALU_DEP_2)
	v_bfe_u32 v2, v1, 16, 1
	v_cmp_o_f32_e64 s9, v1, v1
	v_add3_u32 v2, v1, v2, 0x7fff
	s_delay_alu instid0(VALU_DEP_1) | instskip(NEXT) | instid1(VALU_DEP_1)
	v_lshrrev_b32_e32 v2, 16, v2
	v_cndmask_b32_e64 v20, 0x7fc0, v2, s9
	s_or_b32 exec_lo, exec_lo, s10
	s_and_saveexec_b32 s9, s8
	s_cbranch_execz .LBB261_46
.LBB261_97:
	s_delay_alu instid0(VALU_DEP_1) | instskip(SKIP_2) | instid1(VALU_DEP_1)
	v_lshlrev_b32_e32 v1, 16, v20
	s_waitcnt vmcnt(0)
	v_lshlrev_b32_e32 v2, 16, v12
	v_add_f32_e32 v1, v2, v1
	s_delay_alu instid0(VALU_DEP_1) | instskip(SKIP_1) | instid1(VALU_DEP_2)
	v_bfe_u32 v2, v1, 16, 1
	v_cmp_o_f32_e64 s8, v1, v1
	v_add3_u32 v2, v1, v2, 0x7fff
	s_delay_alu instid0(VALU_DEP_1) | instskip(NEXT) | instid1(VALU_DEP_1)
	v_lshrrev_b32_e32 v2, 16, v2
	v_cndmask_b32_e64 v20, 0x7fc0, v2, s8
	s_or_b32 exec_lo, exec_lo, s9
	s_and_saveexec_b32 s8, s7
	s_cbranch_execz .LBB261_47
.LBB261_98:
	s_delay_alu instid0(VALU_DEP_1) | instskip(SKIP_2) | instid1(VALU_DEP_1)
	v_lshlrev_b32_e32 v1, 16, v20
	s_waitcnt vmcnt(0)
	v_lshlrev_b32_e32 v2, 16, v11
	v_add_f32_e32 v1, v2, v1
	s_delay_alu instid0(VALU_DEP_1) | instskip(SKIP_1) | instid1(VALU_DEP_2)
	v_bfe_u32 v2, v1, 16, 1
	v_cmp_o_f32_e64 s7, v1, v1
	v_add3_u32 v2, v1, v2, 0x7fff
	s_delay_alu instid0(VALU_DEP_1) | instskip(NEXT) | instid1(VALU_DEP_1)
	v_lshrrev_b32_e32 v2, 16, v2
	v_cndmask_b32_e64 v20, 0x7fc0, v2, s7
	s_or_b32 exec_lo, exec_lo, s8
	s_and_saveexec_b32 s7, s6
	s_cbranch_execz .LBB261_48
.LBB261_99:
	s_delay_alu instid0(VALU_DEP_1) | instskip(SKIP_2) | instid1(VALU_DEP_1)
	v_lshlrev_b32_e32 v1, 16, v20
	s_waitcnt vmcnt(0)
	v_lshlrev_b32_e32 v2, 16, v10
	v_add_f32_e32 v1, v2, v1
	s_delay_alu instid0(VALU_DEP_1) | instskip(SKIP_1) | instid1(VALU_DEP_2)
	v_bfe_u32 v2, v1, 16, 1
	v_cmp_o_f32_e64 s6, v1, v1
	v_add3_u32 v2, v1, v2, 0x7fff
	s_delay_alu instid0(VALU_DEP_1) | instskip(NEXT) | instid1(VALU_DEP_1)
	v_lshrrev_b32_e32 v2, 16, v2
	v_cndmask_b32_e64 v20, 0x7fc0, v2, s6
	s_or_b32 exec_lo, exec_lo, s7
	s_and_saveexec_b32 s6, s5
	s_cbranch_execz .LBB261_49
.LBB261_100:
	s_delay_alu instid0(VALU_DEP_1) | instskip(SKIP_2) | instid1(VALU_DEP_1)
	v_lshlrev_b32_e32 v1, 16, v20
	s_waitcnt vmcnt(0)
	v_lshlrev_b32_e32 v2, 16, v9
	v_add_f32_e32 v1, v2, v1
	s_delay_alu instid0(VALU_DEP_1) | instskip(SKIP_1) | instid1(VALU_DEP_2)
	v_bfe_u32 v2, v1, 16, 1
	v_cmp_o_f32_e64 s5, v1, v1
	v_add3_u32 v2, v1, v2, 0x7fff
	s_delay_alu instid0(VALU_DEP_1) | instskip(NEXT) | instid1(VALU_DEP_1)
	v_lshrrev_b32_e32 v2, 16, v2
	v_cndmask_b32_e64 v20, 0x7fc0, v2, s5
	s_or_b32 exec_lo, exec_lo, s6
	s_and_saveexec_b32 s5, s4
	s_cbranch_execz .LBB261_50
.LBB261_101:
	s_delay_alu instid0(VALU_DEP_1) | instskip(SKIP_2) | instid1(VALU_DEP_1)
	v_lshlrev_b32_e32 v1, 16, v20
	s_waitcnt vmcnt(0)
	v_lshlrev_b32_e32 v2, 16, v8
	v_add_f32_e32 v1, v2, v1
	s_delay_alu instid0(VALU_DEP_1) | instskip(SKIP_1) | instid1(VALU_DEP_2)
	v_bfe_u32 v2, v1, 16, 1
	v_cmp_o_f32_e64 s4, v1, v1
	v_add3_u32 v2, v1, v2, 0x7fff
	s_delay_alu instid0(VALU_DEP_1) | instskip(NEXT) | instid1(VALU_DEP_1)
	v_lshrrev_b32_e32 v2, 16, v2
	v_cndmask_b32_e64 v20, 0x7fc0, v2, s4
	s_or_b32 exec_lo, exec_lo, s5
	s_and_saveexec_b32 s4, s3
	s_cbranch_execz .LBB261_51
.LBB261_102:
	s_delay_alu instid0(VALU_DEP_1) | instskip(SKIP_2) | instid1(VALU_DEP_1)
	v_lshlrev_b32_e32 v1, 16, v20
	s_waitcnt vmcnt(0)
	v_lshlrev_b32_e32 v2, 16, v7
	v_add_f32_e32 v1, v2, v1
	s_delay_alu instid0(VALU_DEP_1) | instskip(SKIP_1) | instid1(VALU_DEP_2)
	v_bfe_u32 v2, v1, 16, 1
	v_cmp_o_f32_e64 s3, v1, v1
	v_add3_u32 v2, v1, v2, 0x7fff
	s_delay_alu instid0(VALU_DEP_1) | instskip(NEXT) | instid1(VALU_DEP_1)
	v_lshrrev_b32_e32 v2, 16, v2
	v_cndmask_b32_e64 v20, 0x7fc0, v2, s3
	s_or_b32 exec_lo, exec_lo, s4
	s_and_saveexec_b32 s3, s2
	s_cbranch_execz .LBB261_52
.LBB261_103:
	s_delay_alu instid0(VALU_DEP_1) | instskip(SKIP_2) | instid1(VALU_DEP_1)
	v_lshlrev_b32_e32 v1, 16, v20
	s_waitcnt vmcnt(0)
	v_lshlrev_b32_e32 v2, 16, v6
	v_add_f32_e32 v1, v2, v1
	s_delay_alu instid0(VALU_DEP_1) | instskip(SKIP_1) | instid1(VALU_DEP_2)
	v_bfe_u32 v2, v1, 16, 1
	v_cmp_o_f32_e64 s2, v1, v1
	v_add3_u32 v2, v1, v2, 0x7fff
	s_delay_alu instid0(VALU_DEP_1) | instskip(NEXT) | instid1(VALU_DEP_1)
	v_lshrrev_b32_e32 v2, 16, v2
	v_cndmask_b32_e64 v20, 0x7fc0, v2, s2
	s_or_b32 exec_lo, exec_lo, s3
	s_and_saveexec_b32 s2, s1
	s_cbranch_execz .LBB261_53
.LBB261_104:
	s_delay_alu instid0(VALU_DEP_1) | instskip(SKIP_2) | instid1(VALU_DEP_1)
	v_lshlrev_b32_e32 v1, 16, v20
	s_waitcnt vmcnt(0)
	v_lshlrev_b32_e32 v2, 16, v5
	v_add_f32_e32 v1, v2, v1
	s_delay_alu instid0(VALU_DEP_1) | instskip(SKIP_1) | instid1(VALU_DEP_2)
	v_bfe_u32 v2, v1, 16, 1
	v_cmp_o_f32_e64 s1, v1, v1
	v_add3_u32 v2, v1, v2, 0x7fff
	s_delay_alu instid0(VALU_DEP_1) | instskip(NEXT) | instid1(VALU_DEP_1)
	v_lshrrev_b32_e32 v2, 16, v2
	v_cndmask_b32_e64 v20, 0x7fc0, v2, s1
	s_or_b32 exec_lo, exec_lo, s2
	s_and_saveexec_b32 s1, s0
	s_cbranch_execz .LBB261_54
.LBB261_105:
	s_delay_alu instid0(VALU_DEP_1) | instskip(SKIP_2) | instid1(VALU_DEP_1)
	v_lshlrev_b32_e32 v1, 16, v20
	s_waitcnt vmcnt(0)
	v_lshlrev_b32_e32 v2, 16, v3
	v_add_f32_e32 v1, v2, v1
	s_delay_alu instid0(VALU_DEP_1) | instskip(SKIP_1) | instid1(VALU_DEP_2)
	v_bfe_u32 v2, v1, 16, 1
	v_cmp_o_f32_e64 s0, v1, v1
	v_add3_u32 v2, v1, v2, 0x7fff
	s_delay_alu instid0(VALU_DEP_1) | instskip(NEXT) | instid1(VALU_DEP_1)
	v_lshrrev_b32_e32 v2, 16, v2
	v_cndmask_b32_e64 v20, 0x7fc0, v2, s0
	s_or_b32 exec_lo, exec_lo, s1
	s_and_saveexec_b32 s0, vcc_lo
	s_cbranch_execnz .LBB261_55
	s_branch .LBB261_56
.LBB261_106:
                                        ; implicit-def: $vgpr2
	s_cbranch_execz .LBB261_112
; %bb.107:
	s_delay_alu instid0(VALU_DEP_1) | instskip(SKIP_2) | instid1(VALU_DEP_2)
	v_mov_b32_dpp v2, v3 quad_perm:[1,0,3,2] row_mask:0xf bank_mask:0xf
	v_lshlrev_b32_e32 v3, 16, v5
	s_mov_b32 s0, exec_lo
	v_lshlrev_b32_e32 v2, 16, v2
	s_delay_alu instid0(VALU_DEP_1) | instskip(NEXT) | instid1(VALU_DEP_1)
	v_add_f32_e32 v2, v3, v2
	v_bfe_u32 v3, v2, 16, 1
	v_cmp_o_f32_e32 vcc_lo, v2, v2
	s_delay_alu instid0(VALU_DEP_2) | instskip(NEXT) | instid1(VALU_DEP_1)
	v_add3_u32 v3, v2, v3, 0x7fff
	v_lshrrev_b32_e32 v3, 16, v3
	s_delay_alu instid0(VALU_DEP_1) | instskip(NEXT) | instid1(VALU_DEP_1)
	v_cndmask_b32_e32 v2, 0x7fc0, v3, vcc_lo
	v_mov_b32_dpp v3, v2 quad_perm:[2,3,0,1] row_mask:0xf bank_mask:0xf
	v_lshlrev_b32_e32 v2, 16, v2
	s_delay_alu instid0(VALU_DEP_2) | instskip(NEXT) | instid1(VALU_DEP_1)
	v_lshlrev_b32_e32 v3, 16, v3
	v_add_f32_e32 v2, v3, v2
	s_delay_alu instid0(VALU_DEP_1) | instskip(SKIP_1) | instid1(VALU_DEP_2)
	v_bfe_u32 v3, v2, 16, 1
	v_cmp_o_f32_e32 vcc_lo, v2, v2
	v_add3_u32 v3, v2, v3, 0x7fff
	s_delay_alu instid0(VALU_DEP_1) | instskip(NEXT) | instid1(VALU_DEP_1)
	v_lshrrev_b32_e32 v3, 16, v3
	v_cndmask_b32_e32 v2, 0x7fc0, v3, vcc_lo
	s_delay_alu instid0(VALU_DEP_1) | instskip(SKIP_1) | instid1(VALU_DEP_2)
	v_mov_b32_dpp v3, v2 row_ror:4 row_mask:0xf bank_mask:0xf
	v_lshlrev_b32_e32 v2, 16, v2
	v_lshlrev_b32_e32 v3, 16, v3
	s_delay_alu instid0(VALU_DEP_1) | instskip(NEXT) | instid1(VALU_DEP_1)
	v_add_f32_e32 v2, v3, v2
	v_bfe_u32 v3, v2, 16, 1
	v_cmp_o_f32_e32 vcc_lo, v2, v2
	s_delay_alu instid0(VALU_DEP_2) | instskip(NEXT) | instid1(VALU_DEP_1)
	v_add3_u32 v3, v2, v3, 0x7fff
	v_lshrrev_b32_e32 v3, 16, v3
	s_delay_alu instid0(VALU_DEP_1) | instskip(NEXT) | instid1(VALU_DEP_1)
	v_cndmask_b32_e32 v2, 0x7fc0, v3, vcc_lo
	v_mov_b32_dpp v3, v2 row_ror:8 row_mask:0xf bank_mask:0xf
	v_lshlrev_b32_e32 v2, 16, v2
	s_delay_alu instid0(VALU_DEP_2) | instskip(NEXT) | instid1(VALU_DEP_1)
	v_lshlrev_b32_e32 v3, 16, v3
	v_add_f32_e32 v2, v3, v2
	s_delay_alu instid0(VALU_DEP_1) | instskip(SKIP_1) | instid1(VALU_DEP_2)
	v_bfe_u32 v3, v2, 16, 1
	v_cmp_o_f32_e32 vcc_lo, v2, v2
	v_add3_u32 v3, v2, v3, 0x7fff
	s_delay_alu instid0(VALU_DEP_1) | instskip(NEXT) | instid1(VALU_DEP_1)
	v_lshrrev_b32_e32 v3, 16, v3
	v_cndmask_b32_e32 v2, 0x7fc0, v3, vcc_lo
	ds_swizzle_b32 v3, v2 offset:swizzle(BROADCAST,32,15)
	v_lshlrev_b32_e32 v2, 16, v2
	s_waitcnt lgkmcnt(0)
	v_lshlrev_b32_e32 v3, 16, v3
	s_delay_alu instid0(VALU_DEP_1) | instskip(NEXT) | instid1(VALU_DEP_1)
	v_add_f32_e32 v2, v3, v2
	v_bfe_u32 v3, v2, 16, 1
	v_cmp_o_f32_e32 vcc_lo, v2, v2
	s_delay_alu instid0(VALU_DEP_2) | instskip(NEXT) | instid1(VALU_DEP_1)
	v_add3_u32 v3, v2, v3, 0x7fff
	v_lshrrev_b32_e32 v3, 16, v3
	s_delay_alu instid0(VALU_DEP_1)
	v_dual_cndmask_b32 v2, 0x7fc0, v3 :: v_dual_mov_b32 v3, 0
	ds_bpermute_b32 v2, v3, v2 offset:124
	v_cmpx_eq_u32_e32 0, v1
	s_cbranch_execz .LBB261_109
; %bb.108:
	v_lshrrev_b32_e32 v3, 4, v0
	s_delay_alu instid0(VALU_DEP_1)
	v_and_b32_e32 v3, 14, v3
	s_waitcnt lgkmcnt(0)
	ds_store_b16 v3, v2
.LBB261_109:
	s_or_b32 exec_lo, exec_lo, s0
	s_delay_alu instid0(SALU_CYCLE_1)
	s_mov_b32 s0, exec_lo
	s_waitcnt lgkmcnt(0)
	s_barrier
	buffer_gl0_inv
	v_cmpx_gt_u32_e32 32, v0
	s_cbranch_execz .LBB261_111
; %bb.110:
	v_and_b32_e32 v2, 7, v1
	s_delay_alu instid0(VALU_DEP_1) | instskip(SKIP_3) | instid1(VALU_DEP_1)
	v_lshlrev_b32_e32 v3, 1, v2
	v_cmp_ne_u32_e32 vcc_lo, 7, v2
	ds_load_u16 v3, v3
	v_add_co_ci_u32_e32 v4, vcc_lo, 0, v1, vcc_lo
	v_lshlrev_b32_e32 v4, 2, v4
	s_waitcnt lgkmcnt(0)
	ds_bpermute_b32 v4, v4, v3
	v_lshlrev_b32_e32 v3, 16, v3
	s_waitcnt lgkmcnt(0)
	v_lshlrev_b32_e32 v4, 16, v4
	s_delay_alu instid0(VALU_DEP_1) | instskip(SKIP_1) | instid1(VALU_DEP_2)
	v_add_f32_e32 v3, v3, v4
	v_cmp_gt_u32_e32 vcc_lo, 6, v2
	v_bfe_u32 v4, v3, 16, 1
	v_cndmask_b32_e64 v5, 0, 1, vcc_lo
	v_cmp_o_f32_e32 vcc_lo, v3, v3
	s_delay_alu instid0(VALU_DEP_3) | instskip(NEXT) | instid1(VALU_DEP_3)
	v_add3_u32 v4, v3, v4, 0x7fff
	v_lshlrev_b32_e32 v5, 1, v5
	s_delay_alu instid0(VALU_DEP_2) | instskip(NEXT) | instid1(VALU_DEP_2)
	v_lshrrev_b32_e32 v4, 16, v4
	v_add_lshl_u32 v5, v5, v1, 2
	s_delay_alu instid0(VALU_DEP_2) | instskip(SKIP_2) | instid1(VALU_DEP_1)
	v_cndmask_b32_e32 v3, 0x7fc0, v4, vcc_lo
	v_cmp_gt_u32_e32 vcc_lo, 4, v2
	v_cndmask_b32_e64 v2, 0, 1, vcc_lo
	v_lshlrev_b32_e32 v2, 2, v2
	ds_bpermute_b32 v4, v5, v3
	v_lshlrev_b32_e32 v3, 16, v3
	v_add_lshl_u32 v1, v2, v1, 2
	s_waitcnt lgkmcnt(0)
	v_lshlrev_b32_e32 v4, 16, v4
	s_delay_alu instid0(VALU_DEP_1) | instskip(NEXT) | instid1(VALU_DEP_1)
	v_add_f32_e32 v3, v4, v3
	v_bfe_u32 v4, v3, 16, 1
	v_cmp_o_f32_e32 vcc_lo, v3, v3
	s_delay_alu instid0(VALU_DEP_2) | instskip(NEXT) | instid1(VALU_DEP_1)
	v_add3_u32 v4, v3, v4, 0x7fff
	v_lshrrev_b32_e32 v4, 16, v4
	s_delay_alu instid0(VALU_DEP_1) | instskip(SKIP_4) | instid1(VALU_DEP_1)
	v_cndmask_b32_e32 v3, 0x7fc0, v4, vcc_lo
	ds_bpermute_b32 v1, v1, v3
	v_lshlrev_b32_e32 v2, 16, v3
	s_waitcnt lgkmcnt(0)
	v_lshlrev_b32_e32 v1, 16, v1
	v_add_f32_e32 v1, v1, v2
	s_delay_alu instid0(VALU_DEP_1) | instskip(SKIP_1) | instid1(VALU_DEP_2)
	v_bfe_u32 v2, v1, 16, 1
	v_cmp_o_f32_e32 vcc_lo, v1, v1
	v_add3_u32 v2, v1, v2, 0x7fff
	s_delay_alu instid0(VALU_DEP_1) | instskip(NEXT) | instid1(VALU_DEP_1)
	v_lshrrev_b32_e32 v2, 16, v2
	v_cndmask_b32_e32 v2, 0x7fc0, v2, vcc_lo
.LBB261_111:
	s_or_b32 exec_lo, exec_lo, s0
.LBB261_112:
	s_delay_alu instid0(SALU_CYCLE_1)
	s_mov_b32 s0, exec_lo
                                        ; implicit-def: $vgpr1
	v_cmpx_eq_u32_e32 0, v0
; %bb.113:
	s_delay_alu instid0(VALU_DEP_2) | instskip(SKIP_2) | instid1(VALU_DEP_1)
	v_lshlrev_b32_e32 v0, 16, v2
	s_lshl_b32 s1, s15, 16
	s_or_b32 s30, s30, exec_lo
	v_add_f32_e32 v0, s1, v0
	s_delay_alu instid0(VALU_DEP_1) | instskip(SKIP_1) | instid1(VALU_DEP_2)
	v_bfe_u32 v1, v0, 16, 1
	v_cmp_o_f32_e32 vcc_lo, v0, v0
	v_add3_u32 v1, v0, v1, 0x7fff
	s_delay_alu instid0(VALU_DEP_1) | instskip(NEXT) | instid1(VALU_DEP_1)
	v_lshrrev_b32_e32 v1, 16, v1
	v_cndmask_b32_e32 v1, 0x7fc0, v1, vcc_lo
; %bb.114:
	s_or_b32 exec_lo, exec_lo, s0
	s_and_saveexec_b32 s0, s30
	s_cbranch_execz .LBB261_116
.LBB261_115:
	s_lshl_b64 s[0:1], s[20:21], 1
	v_mov_b32_e32 v0, 0
	s_add_u32 s2, s18, s0
	s_addc_u32 s3, s19, s1
	s_lshl_b64 s[0:1], s[24:25], 1
	s_delay_alu instid0(SALU_CYCLE_1)
	s_add_u32 s0, s2, s0
	s_addc_u32 s1, s3, s1
	global_store_b16 v0, v1, s[0:1]
.LBB261_116:
	s_nop 0
	s_sendmsg sendmsg(MSG_DEALLOC_VGPRS)
	s_endpgm
	.section	.rodata,"a",@progbits
	.p2align	6, 0x0
	.amdhsa_kernel _ZN7rocprim17ROCPRIM_400000_NS6detail17trampoline_kernelINS0_14default_configENS1_32segmented_reduce_config_selectorIN3c108BFloat16EEEZNS1_21segmented_reduce_implIS3_PKS6_PS6_PKlS6_N6hipcub16HIPCUB_304000_NS6detail27convert_result_type_wrapperISA_SB_N2at6native12_GLOBAL__N_19CustomSumEEEEE10hipError_tPvRmT0_T1_jT2_SS_T4_T3_P12ihipStream_tbEUlT_E_NS1_11comp_targetILNS1_3genE9ELNS1_11target_archE1100ELNS1_3gpuE3ELNS1_3repE0EEENS1_30default_config_static_selectorELNS0_4arch9wavefront6targetE0EEEvSR_
		.amdhsa_group_segment_fixed_size 16
		.amdhsa_private_segment_fixed_size 0
		.amdhsa_kernarg_size 48
		.amdhsa_user_sgpr_count 15
		.amdhsa_user_sgpr_dispatch_ptr 0
		.amdhsa_user_sgpr_queue_ptr 0
		.amdhsa_user_sgpr_kernarg_segment_ptr 1
		.amdhsa_user_sgpr_dispatch_id 0
		.amdhsa_user_sgpr_private_segment_size 0
		.amdhsa_wavefront_size32 1
		.amdhsa_uses_dynamic_stack 0
		.amdhsa_enable_private_segment 0
		.amdhsa_system_sgpr_workgroup_id_x 1
		.amdhsa_system_sgpr_workgroup_id_y 0
		.amdhsa_system_sgpr_workgroup_id_z 0
		.amdhsa_system_sgpr_workgroup_info 0
		.amdhsa_system_vgpr_workitem_id 0
		.amdhsa_next_free_vgpr 24
		.amdhsa_next_free_sgpr 34
		.amdhsa_reserve_vcc 1
		.amdhsa_float_round_mode_32 0
		.amdhsa_float_round_mode_16_64 0
		.amdhsa_float_denorm_mode_32 3
		.amdhsa_float_denorm_mode_16_64 3
		.amdhsa_dx10_clamp 1
		.amdhsa_ieee_mode 1
		.amdhsa_fp16_overflow 0
		.amdhsa_workgroup_processor_mode 1
		.amdhsa_memory_ordered 1
		.amdhsa_forward_progress 0
		.amdhsa_shared_vgpr_count 0
		.amdhsa_exception_fp_ieee_invalid_op 0
		.amdhsa_exception_fp_denorm_src 0
		.amdhsa_exception_fp_ieee_div_zero 0
		.amdhsa_exception_fp_ieee_overflow 0
		.amdhsa_exception_fp_ieee_underflow 0
		.amdhsa_exception_fp_ieee_inexact 0
		.amdhsa_exception_int_div_zero 0
	.end_amdhsa_kernel
	.section	.text._ZN7rocprim17ROCPRIM_400000_NS6detail17trampoline_kernelINS0_14default_configENS1_32segmented_reduce_config_selectorIN3c108BFloat16EEEZNS1_21segmented_reduce_implIS3_PKS6_PS6_PKlS6_N6hipcub16HIPCUB_304000_NS6detail27convert_result_type_wrapperISA_SB_N2at6native12_GLOBAL__N_19CustomSumEEEEE10hipError_tPvRmT0_T1_jT2_SS_T4_T3_P12ihipStream_tbEUlT_E_NS1_11comp_targetILNS1_3genE9ELNS1_11target_archE1100ELNS1_3gpuE3ELNS1_3repE0EEENS1_30default_config_static_selectorELNS0_4arch9wavefront6targetE0EEEvSR_,"axG",@progbits,_ZN7rocprim17ROCPRIM_400000_NS6detail17trampoline_kernelINS0_14default_configENS1_32segmented_reduce_config_selectorIN3c108BFloat16EEEZNS1_21segmented_reduce_implIS3_PKS6_PS6_PKlS6_N6hipcub16HIPCUB_304000_NS6detail27convert_result_type_wrapperISA_SB_N2at6native12_GLOBAL__N_19CustomSumEEEEE10hipError_tPvRmT0_T1_jT2_SS_T4_T3_P12ihipStream_tbEUlT_E_NS1_11comp_targetILNS1_3genE9ELNS1_11target_archE1100ELNS1_3gpuE3ELNS1_3repE0EEENS1_30default_config_static_selectorELNS0_4arch9wavefront6targetE0EEEvSR_,comdat
.Lfunc_end261:
	.size	_ZN7rocprim17ROCPRIM_400000_NS6detail17trampoline_kernelINS0_14default_configENS1_32segmented_reduce_config_selectorIN3c108BFloat16EEEZNS1_21segmented_reduce_implIS3_PKS6_PS6_PKlS6_N6hipcub16HIPCUB_304000_NS6detail27convert_result_type_wrapperISA_SB_N2at6native12_GLOBAL__N_19CustomSumEEEEE10hipError_tPvRmT0_T1_jT2_SS_T4_T3_P12ihipStream_tbEUlT_E_NS1_11comp_targetILNS1_3genE9ELNS1_11target_archE1100ELNS1_3gpuE3ELNS1_3repE0EEENS1_30default_config_static_selectorELNS0_4arch9wavefront6targetE0EEEvSR_, .Lfunc_end261-_ZN7rocprim17ROCPRIM_400000_NS6detail17trampoline_kernelINS0_14default_configENS1_32segmented_reduce_config_selectorIN3c108BFloat16EEEZNS1_21segmented_reduce_implIS3_PKS6_PS6_PKlS6_N6hipcub16HIPCUB_304000_NS6detail27convert_result_type_wrapperISA_SB_N2at6native12_GLOBAL__N_19CustomSumEEEEE10hipError_tPvRmT0_T1_jT2_SS_T4_T3_P12ihipStream_tbEUlT_E_NS1_11comp_targetILNS1_3genE9ELNS1_11target_archE1100ELNS1_3gpuE3ELNS1_3repE0EEENS1_30default_config_static_selectorELNS0_4arch9wavefront6targetE0EEEvSR_
                                        ; -- End function
	.section	.AMDGPU.csdata,"",@progbits
; Kernel info:
; codeLenInByte = 7964
; NumSgprs: 36
; NumVgprs: 24
; ScratchSize: 0
; MemoryBound: 0
; FloatMode: 240
; IeeeMode: 1
; LDSByteSize: 16 bytes/workgroup (compile time only)
; SGPRBlocks: 4
; VGPRBlocks: 2
; NumSGPRsForWavesPerEU: 36
; NumVGPRsForWavesPerEU: 24
; Occupancy: 16
; WaveLimiterHint : 1
; COMPUTE_PGM_RSRC2:SCRATCH_EN: 0
; COMPUTE_PGM_RSRC2:USER_SGPR: 15
; COMPUTE_PGM_RSRC2:TRAP_HANDLER: 0
; COMPUTE_PGM_RSRC2:TGID_X_EN: 1
; COMPUTE_PGM_RSRC2:TGID_Y_EN: 0
; COMPUTE_PGM_RSRC2:TGID_Z_EN: 0
; COMPUTE_PGM_RSRC2:TIDIG_COMP_CNT: 0
	.section	.text._ZN7rocprim17ROCPRIM_400000_NS6detail17trampoline_kernelINS0_14default_configENS1_32segmented_reduce_config_selectorIN3c108BFloat16EEEZNS1_21segmented_reduce_implIS3_PKS6_PS6_PKlS6_N6hipcub16HIPCUB_304000_NS6detail27convert_result_type_wrapperISA_SB_N2at6native12_GLOBAL__N_19CustomSumEEEEE10hipError_tPvRmT0_T1_jT2_SS_T4_T3_P12ihipStream_tbEUlT_E_NS1_11comp_targetILNS1_3genE8ELNS1_11target_archE1030ELNS1_3gpuE2ELNS1_3repE0EEENS1_30default_config_static_selectorELNS0_4arch9wavefront6targetE0EEEvSR_,"axG",@progbits,_ZN7rocprim17ROCPRIM_400000_NS6detail17trampoline_kernelINS0_14default_configENS1_32segmented_reduce_config_selectorIN3c108BFloat16EEEZNS1_21segmented_reduce_implIS3_PKS6_PS6_PKlS6_N6hipcub16HIPCUB_304000_NS6detail27convert_result_type_wrapperISA_SB_N2at6native12_GLOBAL__N_19CustomSumEEEEE10hipError_tPvRmT0_T1_jT2_SS_T4_T3_P12ihipStream_tbEUlT_E_NS1_11comp_targetILNS1_3genE8ELNS1_11target_archE1030ELNS1_3gpuE2ELNS1_3repE0EEENS1_30default_config_static_selectorELNS0_4arch9wavefront6targetE0EEEvSR_,comdat
	.globl	_ZN7rocprim17ROCPRIM_400000_NS6detail17trampoline_kernelINS0_14default_configENS1_32segmented_reduce_config_selectorIN3c108BFloat16EEEZNS1_21segmented_reduce_implIS3_PKS6_PS6_PKlS6_N6hipcub16HIPCUB_304000_NS6detail27convert_result_type_wrapperISA_SB_N2at6native12_GLOBAL__N_19CustomSumEEEEE10hipError_tPvRmT0_T1_jT2_SS_T4_T3_P12ihipStream_tbEUlT_E_NS1_11comp_targetILNS1_3genE8ELNS1_11target_archE1030ELNS1_3gpuE2ELNS1_3repE0EEENS1_30default_config_static_selectorELNS0_4arch9wavefront6targetE0EEEvSR_ ; -- Begin function _ZN7rocprim17ROCPRIM_400000_NS6detail17trampoline_kernelINS0_14default_configENS1_32segmented_reduce_config_selectorIN3c108BFloat16EEEZNS1_21segmented_reduce_implIS3_PKS6_PS6_PKlS6_N6hipcub16HIPCUB_304000_NS6detail27convert_result_type_wrapperISA_SB_N2at6native12_GLOBAL__N_19CustomSumEEEEE10hipError_tPvRmT0_T1_jT2_SS_T4_T3_P12ihipStream_tbEUlT_E_NS1_11comp_targetILNS1_3genE8ELNS1_11target_archE1030ELNS1_3gpuE2ELNS1_3repE0EEENS1_30default_config_static_selectorELNS0_4arch9wavefront6targetE0EEEvSR_
	.p2align	8
	.type	_ZN7rocprim17ROCPRIM_400000_NS6detail17trampoline_kernelINS0_14default_configENS1_32segmented_reduce_config_selectorIN3c108BFloat16EEEZNS1_21segmented_reduce_implIS3_PKS6_PS6_PKlS6_N6hipcub16HIPCUB_304000_NS6detail27convert_result_type_wrapperISA_SB_N2at6native12_GLOBAL__N_19CustomSumEEEEE10hipError_tPvRmT0_T1_jT2_SS_T4_T3_P12ihipStream_tbEUlT_E_NS1_11comp_targetILNS1_3genE8ELNS1_11target_archE1030ELNS1_3gpuE2ELNS1_3repE0EEENS1_30default_config_static_selectorELNS0_4arch9wavefront6targetE0EEEvSR_,@function
_ZN7rocprim17ROCPRIM_400000_NS6detail17trampoline_kernelINS0_14default_configENS1_32segmented_reduce_config_selectorIN3c108BFloat16EEEZNS1_21segmented_reduce_implIS3_PKS6_PS6_PKlS6_N6hipcub16HIPCUB_304000_NS6detail27convert_result_type_wrapperISA_SB_N2at6native12_GLOBAL__N_19CustomSumEEEEE10hipError_tPvRmT0_T1_jT2_SS_T4_T3_P12ihipStream_tbEUlT_E_NS1_11comp_targetILNS1_3genE8ELNS1_11target_archE1030ELNS1_3gpuE2ELNS1_3repE0EEENS1_30default_config_static_selectorELNS0_4arch9wavefront6targetE0EEEvSR_: ; @_ZN7rocprim17ROCPRIM_400000_NS6detail17trampoline_kernelINS0_14default_configENS1_32segmented_reduce_config_selectorIN3c108BFloat16EEEZNS1_21segmented_reduce_implIS3_PKS6_PS6_PKlS6_N6hipcub16HIPCUB_304000_NS6detail27convert_result_type_wrapperISA_SB_N2at6native12_GLOBAL__N_19CustomSumEEEEE10hipError_tPvRmT0_T1_jT2_SS_T4_T3_P12ihipStream_tbEUlT_E_NS1_11comp_targetILNS1_3genE8ELNS1_11target_archE1030ELNS1_3gpuE2ELNS1_3repE0EEENS1_30default_config_static_selectorELNS0_4arch9wavefront6targetE0EEEvSR_
; %bb.0:
	.section	.rodata,"a",@progbits
	.p2align	6, 0x0
	.amdhsa_kernel _ZN7rocprim17ROCPRIM_400000_NS6detail17trampoline_kernelINS0_14default_configENS1_32segmented_reduce_config_selectorIN3c108BFloat16EEEZNS1_21segmented_reduce_implIS3_PKS6_PS6_PKlS6_N6hipcub16HIPCUB_304000_NS6detail27convert_result_type_wrapperISA_SB_N2at6native12_GLOBAL__N_19CustomSumEEEEE10hipError_tPvRmT0_T1_jT2_SS_T4_T3_P12ihipStream_tbEUlT_E_NS1_11comp_targetILNS1_3genE8ELNS1_11target_archE1030ELNS1_3gpuE2ELNS1_3repE0EEENS1_30default_config_static_selectorELNS0_4arch9wavefront6targetE0EEEvSR_
		.amdhsa_group_segment_fixed_size 0
		.amdhsa_private_segment_fixed_size 0
		.amdhsa_kernarg_size 48
		.amdhsa_user_sgpr_count 15
		.amdhsa_user_sgpr_dispatch_ptr 0
		.amdhsa_user_sgpr_queue_ptr 0
		.amdhsa_user_sgpr_kernarg_segment_ptr 1
		.amdhsa_user_sgpr_dispatch_id 0
		.amdhsa_user_sgpr_private_segment_size 0
		.amdhsa_wavefront_size32 1
		.amdhsa_uses_dynamic_stack 0
		.amdhsa_enable_private_segment 0
		.amdhsa_system_sgpr_workgroup_id_x 1
		.amdhsa_system_sgpr_workgroup_id_y 0
		.amdhsa_system_sgpr_workgroup_id_z 0
		.amdhsa_system_sgpr_workgroup_info 0
		.amdhsa_system_vgpr_workitem_id 0
		.amdhsa_next_free_vgpr 1
		.amdhsa_next_free_sgpr 1
		.amdhsa_reserve_vcc 0
		.amdhsa_float_round_mode_32 0
		.amdhsa_float_round_mode_16_64 0
		.amdhsa_float_denorm_mode_32 3
		.amdhsa_float_denorm_mode_16_64 3
		.amdhsa_dx10_clamp 1
		.amdhsa_ieee_mode 1
		.amdhsa_fp16_overflow 0
		.amdhsa_workgroup_processor_mode 1
		.amdhsa_memory_ordered 1
		.amdhsa_forward_progress 0
		.amdhsa_shared_vgpr_count 0
		.amdhsa_exception_fp_ieee_invalid_op 0
		.amdhsa_exception_fp_denorm_src 0
		.amdhsa_exception_fp_ieee_div_zero 0
		.amdhsa_exception_fp_ieee_overflow 0
		.amdhsa_exception_fp_ieee_underflow 0
		.amdhsa_exception_fp_ieee_inexact 0
		.amdhsa_exception_int_div_zero 0
	.end_amdhsa_kernel
	.section	.text._ZN7rocprim17ROCPRIM_400000_NS6detail17trampoline_kernelINS0_14default_configENS1_32segmented_reduce_config_selectorIN3c108BFloat16EEEZNS1_21segmented_reduce_implIS3_PKS6_PS6_PKlS6_N6hipcub16HIPCUB_304000_NS6detail27convert_result_type_wrapperISA_SB_N2at6native12_GLOBAL__N_19CustomSumEEEEE10hipError_tPvRmT0_T1_jT2_SS_T4_T3_P12ihipStream_tbEUlT_E_NS1_11comp_targetILNS1_3genE8ELNS1_11target_archE1030ELNS1_3gpuE2ELNS1_3repE0EEENS1_30default_config_static_selectorELNS0_4arch9wavefront6targetE0EEEvSR_,"axG",@progbits,_ZN7rocprim17ROCPRIM_400000_NS6detail17trampoline_kernelINS0_14default_configENS1_32segmented_reduce_config_selectorIN3c108BFloat16EEEZNS1_21segmented_reduce_implIS3_PKS6_PS6_PKlS6_N6hipcub16HIPCUB_304000_NS6detail27convert_result_type_wrapperISA_SB_N2at6native12_GLOBAL__N_19CustomSumEEEEE10hipError_tPvRmT0_T1_jT2_SS_T4_T3_P12ihipStream_tbEUlT_E_NS1_11comp_targetILNS1_3genE8ELNS1_11target_archE1030ELNS1_3gpuE2ELNS1_3repE0EEENS1_30default_config_static_selectorELNS0_4arch9wavefront6targetE0EEEvSR_,comdat
.Lfunc_end262:
	.size	_ZN7rocprim17ROCPRIM_400000_NS6detail17trampoline_kernelINS0_14default_configENS1_32segmented_reduce_config_selectorIN3c108BFloat16EEEZNS1_21segmented_reduce_implIS3_PKS6_PS6_PKlS6_N6hipcub16HIPCUB_304000_NS6detail27convert_result_type_wrapperISA_SB_N2at6native12_GLOBAL__N_19CustomSumEEEEE10hipError_tPvRmT0_T1_jT2_SS_T4_T3_P12ihipStream_tbEUlT_E_NS1_11comp_targetILNS1_3genE8ELNS1_11target_archE1030ELNS1_3gpuE2ELNS1_3repE0EEENS1_30default_config_static_selectorELNS0_4arch9wavefront6targetE0EEEvSR_, .Lfunc_end262-_ZN7rocprim17ROCPRIM_400000_NS6detail17trampoline_kernelINS0_14default_configENS1_32segmented_reduce_config_selectorIN3c108BFloat16EEEZNS1_21segmented_reduce_implIS3_PKS6_PS6_PKlS6_N6hipcub16HIPCUB_304000_NS6detail27convert_result_type_wrapperISA_SB_N2at6native12_GLOBAL__N_19CustomSumEEEEE10hipError_tPvRmT0_T1_jT2_SS_T4_T3_P12ihipStream_tbEUlT_E_NS1_11comp_targetILNS1_3genE8ELNS1_11target_archE1030ELNS1_3gpuE2ELNS1_3repE0EEENS1_30default_config_static_selectorELNS0_4arch9wavefront6targetE0EEEvSR_
                                        ; -- End function
	.section	.AMDGPU.csdata,"",@progbits
; Kernel info:
; codeLenInByte = 0
; NumSgprs: 0
; NumVgprs: 0
; ScratchSize: 0
; MemoryBound: 0
; FloatMode: 240
; IeeeMode: 1
; LDSByteSize: 0 bytes/workgroup (compile time only)
; SGPRBlocks: 0
; VGPRBlocks: 0
; NumSGPRsForWavesPerEU: 1
; NumVGPRsForWavesPerEU: 1
; Occupancy: 16
; WaveLimiterHint : 0
; COMPUTE_PGM_RSRC2:SCRATCH_EN: 0
; COMPUTE_PGM_RSRC2:USER_SGPR: 15
; COMPUTE_PGM_RSRC2:TRAP_HANDLER: 0
; COMPUTE_PGM_RSRC2:TGID_X_EN: 1
; COMPUTE_PGM_RSRC2:TGID_Y_EN: 0
; COMPUTE_PGM_RSRC2:TGID_Z_EN: 0
; COMPUTE_PGM_RSRC2:TIDIG_COMP_CNT: 0
	.section	.text._ZN2at6native12_GLOBAL__N_119post_sum_div_kernelIN3c108BFloat16ElEEvPT_PKT0_lbS5_,"axG",@progbits,_ZN2at6native12_GLOBAL__N_119post_sum_div_kernelIN3c108BFloat16ElEEvPT_PKT0_lbS5_,comdat
	.globl	_ZN2at6native12_GLOBAL__N_119post_sum_div_kernelIN3c108BFloat16ElEEvPT_PKT0_lbS5_ ; -- Begin function _ZN2at6native12_GLOBAL__N_119post_sum_div_kernelIN3c108BFloat16ElEEvPT_PKT0_lbS5_
	.p2align	8
	.type	_ZN2at6native12_GLOBAL__N_119post_sum_div_kernelIN3c108BFloat16ElEEvPT_PKT0_lbS5_,@function
_ZN2at6native12_GLOBAL__N_119post_sum_div_kernelIN3c108BFloat16ElEEvPT_PKT0_lbS5_: ; @_ZN2at6native12_GLOBAL__N_119post_sum_div_kernelIN3c108BFloat16ElEEvPT_PKT0_lbS5_
; %bb.0:
	s_clause 0x1
	s_load_b32 s6, s[0:1], 0x2c
	s_load_b64 s[2:3], s[0:1], 0x10
	v_mov_b32_e32 v1, 0
	s_add_u32 s4, s0, 32
	s_addc_u32 s5, s1, 0
	s_waitcnt lgkmcnt(0)
	s_and_b32 s8, s6, 0xffff
	s_mov_b32 s6, exec_lo
	v_mad_u64_u32 v[2:3], null, s8, s15, v[0:1]
	s_delay_alu instid0(VALU_DEP_1)
	v_cmpx_gt_i64_e64 s[2:3], v[2:3]
	s_cbranch_execz .LBB263_12
; %bb.1:
	s_load_b32 s9, s[0:1], 0x18
	s_load_b32 s10, s[4:5], 0x0
	s_load_b128 s[4:7], s[0:1], 0x0
	v_dual_mov_b32 v0, v1 :: v_dual_mov_b32 v1, v2
	s_mov_b32 s1, 0
                                        ; implicit-def: $sgpr13
                                        ; implicit-def: $sgpr12
	s_waitcnt lgkmcnt(0)
	s_and_b32 s0, 1, s9
	s_lshr_b32 s9, s9, 16
	s_cmp_eq_u32 s0, 1
	s_mul_i32 s8, s10, s8
	s_cselect_b32 s9, s9, 0x7fc0
	s_mov_b32 s11, s8
                                        ; implicit-def: $sgpr10
	s_branch .LBB263_4
.LBB263_2:                              ;   in Loop: Header=BB263_4 Depth=1
	s_or_b32 exec_lo, exec_lo, s0
	v_add_co_u32 v2, vcc_lo, v2, s8
	v_add_co_ci_u32_e32 v3, vcc_lo, 0, v3, vcc_lo
	v_add_co_u32 v0, s0, v0, 0
	s_delay_alu instid0(VALU_DEP_1) | instskip(NEXT) | instid1(VALU_DEP_3)
	v_add_co_ci_u32_e64 v1, s0, s11, v1, s0
	v_cmp_le_i64_e32 vcc_lo, s[2:3], v[2:3]
	s_and_not1_b32 s0, s13, exec_lo
	s_and_not1_b32 s12, s12, exec_lo
	s_and_b32 s13, vcc_lo, exec_lo
	s_delay_alu instid0(SALU_CYCLE_1)
	s_or_b32 s13, s0, s13
.LBB263_3:                              ;   in Loop: Header=BB263_4 Depth=1
	s_or_b32 exec_lo, exec_lo, s14
	s_delay_alu instid0(SALU_CYCLE_1) | instskip(NEXT) | instid1(SALU_CYCLE_1)
	s_and_b32 s0, exec_lo, s13
	s_or_b32 s1, s0, s1
	s_and_not1_b32 s0, s10, exec_lo
	s_and_b32 s10, s12, exec_lo
	s_delay_alu instid0(SALU_CYCLE_1)
	s_or_b32 s10, s0, s10
	s_and_not1_b32 exec_lo, exec_lo, s1
	s_cbranch_execz .LBB263_11
.LBB263_4:                              ; =>This Inner Loop Header: Depth=1
	v_ashrrev_i64 v[4:5], 29, v[0:1]
	s_or_b32 s12, s12, exec_lo
	s_or_b32 s13, s13, exec_lo
	s_mov_b32 s14, exec_lo
	s_delay_alu instid0(VALU_DEP_1) | instskip(NEXT) | instid1(VALU_DEP_2)
	v_add_co_u32 v4, vcc_lo, s6, v4
	v_add_co_ci_u32_e32 v5, vcc_lo, s7, v5, vcc_lo
	global_load_b64 v[6:7], v[4:5], off
	s_waitcnt vmcnt(0)
	v_cmpx_lt_i64_e32 -1, v[6:7]
	s_cbranch_execz .LBB263_3
; %bb.5:                                ;   in Loop: Header=BB263_4 Depth=1
	v_ashrrev_i32_e32 v5, 31, v1
	v_dual_mov_b32 v4, v1 :: v_dual_mov_b32 v9, s9
	s_mov_b32 s15, -1
	s_delay_alu instid0(VALU_DEP_1) | instskip(NEXT) | instid1(VALU_DEP_1)
	v_lshlrev_b64 v[4:5], 1, v[4:5]
	v_add_co_u32 v4, s0, s4, v4
	s_delay_alu instid0(VALU_DEP_1)
	v_add_co_ci_u32_e64 v5, s0, s5, v5, s0
	s_mov_b32 s0, exec_lo
	v_cmpx_ne_u64_e32 0, v[6:7]
	s_cbranch_execz .LBB263_9
; %bb.6:                                ;   in Loop: Header=BB263_4 Depth=1
	global_load_u16 v8, v[4:5], off
	s_mov_b32 s15, 0
	s_mov_b32 s16, exec_lo
                                        ; implicit-def: $vgpr9
	s_waitcnt vmcnt(0)
	v_lshlrev_b32_e32 v8, 16, v8
	s_delay_alu instid0(VALU_DEP_1)
	v_cmpx_o_f32_e32 v8, v8
	s_cbranch_execz .LBB263_8
; %bb.7:                                ;   in Loop: Header=BB263_4 Depth=1
	v_clz_i32_u32_e32 v9, v7
	s_mov_b32 s15, exec_lo
	s_delay_alu instid0(VALU_DEP_1) | instskip(NEXT) | instid1(VALU_DEP_1)
	v_min_u32_e32 v9, 32, v9
	v_lshlrev_b64 v[6:7], v9, v[6:7]
	s_delay_alu instid0(VALU_DEP_1) | instskip(NEXT) | instid1(VALU_DEP_1)
	v_min_u32_e32 v6, 1, v6
	v_or_b32_e32 v6, v7, v6
	v_sub_nc_u32_e32 v7, 32, v9
	s_delay_alu instid0(VALU_DEP_2) | instskip(NEXT) | instid1(VALU_DEP_1)
	v_cvt_f32_u32_e32 v6, v6
	v_ldexp_f32 v6, v6, v7
	s_delay_alu instid0(VALU_DEP_1) | instskip(NEXT) | instid1(VALU_DEP_1)
	v_bfe_u32 v7, v6, 16, 1
	v_add3_u32 v6, v6, v7, 0x7fff
	s_delay_alu instid0(VALU_DEP_1) | instskip(NEXT) | instid1(VALU_DEP_1)
	v_and_b32_e32 v6, 0xffff0000, v6
	v_div_scale_f32 v7, null, v6, v6, v8
	s_delay_alu instid0(VALU_DEP_1) | instskip(SKIP_2) | instid1(VALU_DEP_1)
	v_rcp_f32_e32 v9, v7
	s_waitcnt_depctr 0xfff
	v_fma_f32 v10, -v7, v9, 1.0
	v_fmac_f32_e32 v9, v10, v9
	v_div_scale_f32 v10, vcc_lo, v8, v6, v8
	s_delay_alu instid0(VALU_DEP_1) | instskip(NEXT) | instid1(VALU_DEP_1)
	v_mul_f32_e32 v11, v10, v9
	v_fma_f32 v12, -v7, v11, v10
	s_delay_alu instid0(VALU_DEP_1) | instskip(NEXT) | instid1(VALU_DEP_1)
	v_fmac_f32_e32 v11, v12, v9
	v_fma_f32 v7, -v7, v11, v10
	s_delay_alu instid0(VALU_DEP_1) | instskip(NEXT) | instid1(VALU_DEP_1)
	v_div_fmas_f32 v7, v7, v9, v11
	v_div_fixup_f32 v6, v7, v6, v8
	s_delay_alu instid0(VALU_DEP_1) | instskip(SKIP_1) | instid1(VALU_DEP_2)
	v_bfe_u32 v7, v6, 16, 1
	v_cmp_o_f32_e32 vcc_lo, v6, v6
	v_add3_u32 v7, v6, v7, 0x7fff
	s_delay_alu instid0(VALU_DEP_1) | instskip(NEXT) | instid1(VALU_DEP_1)
	v_lshrrev_b32_e32 v7, 16, v7
	v_cndmask_b32_e32 v9, 0x7fc0, v7, vcc_lo
.LBB263_8:                              ;   in Loop: Header=BB263_4 Depth=1
	s_or_b32 exec_lo, exec_lo, s16
	s_delay_alu instid0(SALU_CYCLE_1)
	s_or_not1_b32 s15, s15, exec_lo
.LBB263_9:                              ;   in Loop: Header=BB263_4 Depth=1
	s_or_b32 exec_lo, exec_lo, s0
	s_and_saveexec_b32 s0, s15
	s_cbranch_execz .LBB263_2
; %bb.10:                               ;   in Loop: Header=BB263_4 Depth=1
	global_store_b16 v[4:5], v9, off
	s_branch .LBB263_2
.LBB263_11:
	s_or_b32 exec_lo, exec_lo, s1
	s_and_saveexec_b32 s0, s10
	s_delay_alu instid0(SALU_CYCLE_1)
	s_xor_b32 s0, exec_lo, s0
	s_cbranch_execnz .LBB263_13
.LBB263_12:
	s_nop 0
	s_sendmsg sendmsg(MSG_DEALLOC_VGPRS)
	s_endpgm
.LBB263_13:
	s_cbranch_execnz .LBB263_15
; %bb.14:
	; divergent unreachable
	s_nop 0
	s_sendmsg sendmsg(MSG_DEALLOC_VGPRS)
	s_endpgm
.LBB263_15:
	s_trap 2
	s_sendmsg_rtn_b32 s0, sendmsg(MSG_RTN_GET_DOORBELL)
	s_mov_b32 ttmp2, m0
	s_waitcnt lgkmcnt(0)
	s_and_b32 s0, s0, 0x3ff
	s_delay_alu instid0(SALU_CYCLE_1) | instskip(NEXT) | instid1(SALU_CYCLE_1)
	s_bitset1_b32 s0, 10
	s_mov_b32 m0, s0
	s_sendmsg sendmsg(MSG_INTERRUPT)
	s_mov_b32 m0, ttmp2
.LBB263_16:                             ; =>This Inner Loop Header: Depth=1
	s_sethalt 5
	s_branch .LBB263_16
	.section	.rodata,"a",@progbits
	.p2align	6, 0x0
	.amdhsa_kernel _ZN2at6native12_GLOBAL__N_119post_sum_div_kernelIN3c108BFloat16ElEEvPT_PKT0_lbS5_
		.amdhsa_group_segment_fixed_size 0
		.amdhsa_private_segment_fixed_size 0
		.amdhsa_kernarg_size 288
		.amdhsa_user_sgpr_count 15
		.amdhsa_user_sgpr_dispatch_ptr 0
		.amdhsa_user_sgpr_queue_ptr 0
		.amdhsa_user_sgpr_kernarg_segment_ptr 1
		.amdhsa_user_sgpr_dispatch_id 0
		.amdhsa_user_sgpr_private_segment_size 0
		.amdhsa_wavefront_size32 1
		.amdhsa_uses_dynamic_stack 0
		.amdhsa_enable_private_segment 0
		.amdhsa_system_sgpr_workgroup_id_x 1
		.amdhsa_system_sgpr_workgroup_id_y 0
		.amdhsa_system_sgpr_workgroup_id_z 0
		.amdhsa_system_sgpr_workgroup_info 0
		.amdhsa_system_vgpr_workitem_id 0
		.amdhsa_next_free_vgpr 13
		.amdhsa_next_free_sgpr 17
		.amdhsa_reserve_vcc 1
		.amdhsa_float_round_mode_32 0
		.amdhsa_float_round_mode_16_64 0
		.amdhsa_float_denorm_mode_32 3
		.amdhsa_float_denorm_mode_16_64 3
		.amdhsa_dx10_clamp 1
		.amdhsa_ieee_mode 1
		.amdhsa_fp16_overflow 0
		.amdhsa_workgroup_processor_mode 1
		.amdhsa_memory_ordered 1
		.amdhsa_forward_progress 0
		.amdhsa_shared_vgpr_count 0
		.amdhsa_exception_fp_ieee_invalid_op 0
		.amdhsa_exception_fp_denorm_src 0
		.amdhsa_exception_fp_ieee_div_zero 0
		.amdhsa_exception_fp_ieee_overflow 0
		.amdhsa_exception_fp_ieee_underflow 0
		.amdhsa_exception_fp_ieee_inexact 0
		.amdhsa_exception_int_div_zero 0
	.end_amdhsa_kernel
	.section	.text._ZN2at6native12_GLOBAL__N_119post_sum_div_kernelIN3c108BFloat16ElEEvPT_PKT0_lbS5_,"axG",@progbits,_ZN2at6native12_GLOBAL__N_119post_sum_div_kernelIN3c108BFloat16ElEEvPT_PKT0_lbS5_,comdat
.Lfunc_end263:
	.size	_ZN2at6native12_GLOBAL__N_119post_sum_div_kernelIN3c108BFloat16ElEEvPT_PKT0_lbS5_, .Lfunc_end263-_ZN2at6native12_GLOBAL__N_119post_sum_div_kernelIN3c108BFloat16ElEEvPT_PKT0_lbS5_
                                        ; -- End function
	.section	.AMDGPU.csdata,"",@progbits
; Kernel info:
; codeLenInByte = 760
; NumSgprs: 19
; NumVgprs: 13
; ScratchSize: 0
; MemoryBound: 0
; FloatMode: 240
; IeeeMode: 1
; LDSByteSize: 0 bytes/workgroup (compile time only)
; SGPRBlocks: 2
; VGPRBlocks: 1
; NumSGPRsForWavesPerEU: 19
; NumVGPRsForWavesPerEU: 13
; Occupancy: 16
; WaveLimiterHint : 0
; COMPUTE_PGM_RSRC2:SCRATCH_EN: 0
; COMPUTE_PGM_RSRC2:USER_SGPR: 15
; COMPUTE_PGM_RSRC2:TRAP_HANDLER: 0
; COMPUTE_PGM_RSRC2:TGID_X_EN: 1
; COMPUTE_PGM_RSRC2:TGID_Y_EN: 0
; COMPUTE_PGM_RSRC2:TGID_Z_EN: 0
; COMPUTE_PGM_RSRC2:TIDIG_COMP_CNT: 0
	.section	.text._ZN7rocprim17ROCPRIM_400000_NS6detail17trampoline_kernelINS0_14default_configENS1_32segmented_reduce_config_selectorIN3c108BFloat16EEEZNS1_21segmented_reduce_implIS3_PKS6_PS6_PKlS6_N6hipcub16HIPCUB_304000_NS6detail27convert_result_type_wrapperISA_SB_N2at6native12_GLOBAL__N_19CustomMinEEEEE10hipError_tPvRmT0_T1_jT2_SS_T4_T3_P12ihipStream_tbEUlT_E_NS1_11comp_targetILNS1_3genE0ELNS1_11target_archE4294967295ELNS1_3gpuE0ELNS1_3repE0EEENS1_30default_config_static_selectorELNS0_4arch9wavefront6targetE0EEEvSR_,"axG",@progbits,_ZN7rocprim17ROCPRIM_400000_NS6detail17trampoline_kernelINS0_14default_configENS1_32segmented_reduce_config_selectorIN3c108BFloat16EEEZNS1_21segmented_reduce_implIS3_PKS6_PS6_PKlS6_N6hipcub16HIPCUB_304000_NS6detail27convert_result_type_wrapperISA_SB_N2at6native12_GLOBAL__N_19CustomMinEEEEE10hipError_tPvRmT0_T1_jT2_SS_T4_T3_P12ihipStream_tbEUlT_E_NS1_11comp_targetILNS1_3genE0ELNS1_11target_archE4294967295ELNS1_3gpuE0ELNS1_3repE0EEENS1_30default_config_static_selectorELNS0_4arch9wavefront6targetE0EEEvSR_,comdat
	.globl	_ZN7rocprim17ROCPRIM_400000_NS6detail17trampoline_kernelINS0_14default_configENS1_32segmented_reduce_config_selectorIN3c108BFloat16EEEZNS1_21segmented_reduce_implIS3_PKS6_PS6_PKlS6_N6hipcub16HIPCUB_304000_NS6detail27convert_result_type_wrapperISA_SB_N2at6native12_GLOBAL__N_19CustomMinEEEEE10hipError_tPvRmT0_T1_jT2_SS_T4_T3_P12ihipStream_tbEUlT_E_NS1_11comp_targetILNS1_3genE0ELNS1_11target_archE4294967295ELNS1_3gpuE0ELNS1_3repE0EEENS1_30default_config_static_selectorELNS0_4arch9wavefront6targetE0EEEvSR_ ; -- Begin function _ZN7rocprim17ROCPRIM_400000_NS6detail17trampoline_kernelINS0_14default_configENS1_32segmented_reduce_config_selectorIN3c108BFloat16EEEZNS1_21segmented_reduce_implIS3_PKS6_PS6_PKlS6_N6hipcub16HIPCUB_304000_NS6detail27convert_result_type_wrapperISA_SB_N2at6native12_GLOBAL__N_19CustomMinEEEEE10hipError_tPvRmT0_T1_jT2_SS_T4_T3_P12ihipStream_tbEUlT_E_NS1_11comp_targetILNS1_3genE0ELNS1_11target_archE4294967295ELNS1_3gpuE0ELNS1_3repE0EEENS1_30default_config_static_selectorELNS0_4arch9wavefront6targetE0EEEvSR_
	.p2align	8
	.type	_ZN7rocprim17ROCPRIM_400000_NS6detail17trampoline_kernelINS0_14default_configENS1_32segmented_reduce_config_selectorIN3c108BFloat16EEEZNS1_21segmented_reduce_implIS3_PKS6_PS6_PKlS6_N6hipcub16HIPCUB_304000_NS6detail27convert_result_type_wrapperISA_SB_N2at6native12_GLOBAL__N_19CustomMinEEEEE10hipError_tPvRmT0_T1_jT2_SS_T4_T3_P12ihipStream_tbEUlT_E_NS1_11comp_targetILNS1_3genE0ELNS1_11target_archE4294967295ELNS1_3gpuE0ELNS1_3repE0EEENS1_30default_config_static_selectorELNS0_4arch9wavefront6targetE0EEEvSR_,@function
_ZN7rocprim17ROCPRIM_400000_NS6detail17trampoline_kernelINS0_14default_configENS1_32segmented_reduce_config_selectorIN3c108BFloat16EEEZNS1_21segmented_reduce_implIS3_PKS6_PS6_PKlS6_N6hipcub16HIPCUB_304000_NS6detail27convert_result_type_wrapperISA_SB_N2at6native12_GLOBAL__N_19CustomMinEEEEE10hipError_tPvRmT0_T1_jT2_SS_T4_T3_P12ihipStream_tbEUlT_E_NS1_11comp_targetILNS1_3genE0ELNS1_11target_archE4294967295ELNS1_3gpuE0ELNS1_3repE0EEENS1_30default_config_static_selectorELNS0_4arch9wavefront6targetE0EEEvSR_: ; @_ZN7rocprim17ROCPRIM_400000_NS6detail17trampoline_kernelINS0_14default_configENS1_32segmented_reduce_config_selectorIN3c108BFloat16EEEZNS1_21segmented_reduce_implIS3_PKS6_PS6_PKlS6_N6hipcub16HIPCUB_304000_NS6detail27convert_result_type_wrapperISA_SB_N2at6native12_GLOBAL__N_19CustomMinEEEEE10hipError_tPvRmT0_T1_jT2_SS_T4_T3_P12ihipStream_tbEUlT_E_NS1_11comp_targetILNS1_3genE0ELNS1_11target_archE4294967295ELNS1_3gpuE0ELNS1_3repE0EEENS1_30default_config_static_selectorELNS0_4arch9wavefront6targetE0EEEvSR_
; %bb.0:
	.section	.rodata,"a",@progbits
	.p2align	6, 0x0
	.amdhsa_kernel _ZN7rocprim17ROCPRIM_400000_NS6detail17trampoline_kernelINS0_14default_configENS1_32segmented_reduce_config_selectorIN3c108BFloat16EEEZNS1_21segmented_reduce_implIS3_PKS6_PS6_PKlS6_N6hipcub16HIPCUB_304000_NS6detail27convert_result_type_wrapperISA_SB_N2at6native12_GLOBAL__N_19CustomMinEEEEE10hipError_tPvRmT0_T1_jT2_SS_T4_T3_P12ihipStream_tbEUlT_E_NS1_11comp_targetILNS1_3genE0ELNS1_11target_archE4294967295ELNS1_3gpuE0ELNS1_3repE0EEENS1_30default_config_static_selectorELNS0_4arch9wavefront6targetE0EEEvSR_
		.amdhsa_group_segment_fixed_size 0
		.amdhsa_private_segment_fixed_size 0
		.amdhsa_kernarg_size 48
		.amdhsa_user_sgpr_count 15
		.amdhsa_user_sgpr_dispatch_ptr 0
		.amdhsa_user_sgpr_queue_ptr 0
		.amdhsa_user_sgpr_kernarg_segment_ptr 1
		.amdhsa_user_sgpr_dispatch_id 0
		.amdhsa_user_sgpr_private_segment_size 0
		.amdhsa_wavefront_size32 1
		.amdhsa_uses_dynamic_stack 0
		.amdhsa_enable_private_segment 0
		.amdhsa_system_sgpr_workgroup_id_x 1
		.amdhsa_system_sgpr_workgroup_id_y 0
		.amdhsa_system_sgpr_workgroup_id_z 0
		.amdhsa_system_sgpr_workgroup_info 0
		.amdhsa_system_vgpr_workitem_id 0
		.amdhsa_next_free_vgpr 1
		.amdhsa_next_free_sgpr 1
		.amdhsa_reserve_vcc 0
		.amdhsa_float_round_mode_32 0
		.amdhsa_float_round_mode_16_64 0
		.amdhsa_float_denorm_mode_32 3
		.amdhsa_float_denorm_mode_16_64 3
		.amdhsa_dx10_clamp 1
		.amdhsa_ieee_mode 1
		.amdhsa_fp16_overflow 0
		.amdhsa_workgroup_processor_mode 1
		.amdhsa_memory_ordered 1
		.amdhsa_forward_progress 0
		.amdhsa_shared_vgpr_count 0
		.amdhsa_exception_fp_ieee_invalid_op 0
		.amdhsa_exception_fp_denorm_src 0
		.amdhsa_exception_fp_ieee_div_zero 0
		.amdhsa_exception_fp_ieee_overflow 0
		.amdhsa_exception_fp_ieee_underflow 0
		.amdhsa_exception_fp_ieee_inexact 0
		.amdhsa_exception_int_div_zero 0
	.end_amdhsa_kernel
	.section	.text._ZN7rocprim17ROCPRIM_400000_NS6detail17trampoline_kernelINS0_14default_configENS1_32segmented_reduce_config_selectorIN3c108BFloat16EEEZNS1_21segmented_reduce_implIS3_PKS6_PS6_PKlS6_N6hipcub16HIPCUB_304000_NS6detail27convert_result_type_wrapperISA_SB_N2at6native12_GLOBAL__N_19CustomMinEEEEE10hipError_tPvRmT0_T1_jT2_SS_T4_T3_P12ihipStream_tbEUlT_E_NS1_11comp_targetILNS1_3genE0ELNS1_11target_archE4294967295ELNS1_3gpuE0ELNS1_3repE0EEENS1_30default_config_static_selectorELNS0_4arch9wavefront6targetE0EEEvSR_,"axG",@progbits,_ZN7rocprim17ROCPRIM_400000_NS6detail17trampoline_kernelINS0_14default_configENS1_32segmented_reduce_config_selectorIN3c108BFloat16EEEZNS1_21segmented_reduce_implIS3_PKS6_PS6_PKlS6_N6hipcub16HIPCUB_304000_NS6detail27convert_result_type_wrapperISA_SB_N2at6native12_GLOBAL__N_19CustomMinEEEEE10hipError_tPvRmT0_T1_jT2_SS_T4_T3_P12ihipStream_tbEUlT_E_NS1_11comp_targetILNS1_3genE0ELNS1_11target_archE4294967295ELNS1_3gpuE0ELNS1_3repE0EEENS1_30default_config_static_selectorELNS0_4arch9wavefront6targetE0EEEvSR_,comdat
.Lfunc_end264:
	.size	_ZN7rocprim17ROCPRIM_400000_NS6detail17trampoline_kernelINS0_14default_configENS1_32segmented_reduce_config_selectorIN3c108BFloat16EEEZNS1_21segmented_reduce_implIS3_PKS6_PS6_PKlS6_N6hipcub16HIPCUB_304000_NS6detail27convert_result_type_wrapperISA_SB_N2at6native12_GLOBAL__N_19CustomMinEEEEE10hipError_tPvRmT0_T1_jT2_SS_T4_T3_P12ihipStream_tbEUlT_E_NS1_11comp_targetILNS1_3genE0ELNS1_11target_archE4294967295ELNS1_3gpuE0ELNS1_3repE0EEENS1_30default_config_static_selectorELNS0_4arch9wavefront6targetE0EEEvSR_, .Lfunc_end264-_ZN7rocprim17ROCPRIM_400000_NS6detail17trampoline_kernelINS0_14default_configENS1_32segmented_reduce_config_selectorIN3c108BFloat16EEEZNS1_21segmented_reduce_implIS3_PKS6_PS6_PKlS6_N6hipcub16HIPCUB_304000_NS6detail27convert_result_type_wrapperISA_SB_N2at6native12_GLOBAL__N_19CustomMinEEEEE10hipError_tPvRmT0_T1_jT2_SS_T4_T3_P12ihipStream_tbEUlT_E_NS1_11comp_targetILNS1_3genE0ELNS1_11target_archE4294967295ELNS1_3gpuE0ELNS1_3repE0EEENS1_30default_config_static_selectorELNS0_4arch9wavefront6targetE0EEEvSR_
                                        ; -- End function
	.section	.AMDGPU.csdata,"",@progbits
; Kernel info:
; codeLenInByte = 0
; NumSgprs: 0
; NumVgprs: 0
; ScratchSize: 0
; MemoryBound: 0
; FloatMode: 240
; IeeeMode: 1
; LDSByteSize: 0 bytes/workgroup (compile time only)
; SGPRBlocks: 0
; VGPRBlocks: 0
; NumSGPRsForWavesPerEU: 1
; NumVGPRsForWavesPerEU: 1
; Occupancy: 16
; WaveLimiterHint : 0
; COMPUTE_PGM_RSRC2:SCRATCH_EN: 0
; COMPUTE_PGM_RSRC2:USER_SGPR: 15
; COMPUTE_PGM_RSRC2:TRAP_HANDLER: 0
; COMPUTE_PGM_RSRC2:TGID_X_EN: 1
; COMPUTE_PGM_RSRC2:TGID_Y_EN: 0
; COMPUTE_PGM_RSRC2:TGID_Z_EN: 0
; COMPUTE_PGM_RSRC2:TIDIG_COMP_CNT: 0
	.section	.text._ZN7rocprim17ROCPRIM_400000_NS6detail17trampoline_kernelINS0_14default_configENS1_32segmented_reduce_config_selectorIN3c108BFloat16EEEZNS1_21segmented_reduce_implIS3_PKS6_PS6_PKlS6_N6hipcub16HIPCUB_304000_NS6detail27convert_result_type_wrapperISA_SB_N2at6native12_GLOBAL__N_19CustomMinEEEEE10hipError_tPvRmT0_T1_jT2_SS_T4_T3_P12ihipStream_tbEUlT_E_NS1_11comp_targetILNS1_3genE5ELNS1_11target_archE942ELNS1_3gpuE9ELNS1_3repE0EEENS1_30default_config_static_selectorELNS0_4arch9wavefront6targetE0EEEvSR_,"axG",@progbits,_ZN7rocprim17ROCPRIM_400000_NS6detail17trampoline_kernelINS0_14default_configENS1_32segmented_reduce_config_selectorIN3c108BFloat16EEEZNS1_21segmented_reduce_implIS3_PKS6_PS6_PKlS6_N6hipcub16HIPCUB_304000_NS6detail27convert_result_type_wrapperISA_SB_N2at6native12_GLOBAL__N_19CustomMinEEEEE10hipError_tPvRmT0_T1_jT2_SS_T4_T3_P12ihipStream_tbEUlT_E_NS1_11comp_targetILNS1_3genE5ELNS1_11target_archE942ELNS1_3gpuE9ELNS1_3repE0EEENS1_30default_config_static_selectorELNS0_4arch9wavefront6targetE0EEEvSR_,comdat
	.globl	_ZN7rocprim17ROCPRIM_400000_NS6detail17trampoline_kernelINS0_14default_configENS1_32segmented_reduce_config_selectorIN3c108BFloat16EEEZNS1_21segmented_reduce_implIS3_PKS6_PS6_PKlS6_N6hipcub16HIPCUB_304000_NS6detail27convert_result_type_wrapperISA_SB_N2at6native12_GLOBAL__N_19CustomMinEEEEE10hipError_tPvRmT0_T1_jT2_SS_T4_T3_P12ihipStream_tbEUlT_E_NS1_11comp_targetILNS1_3genE5ELNS1_11target_archE942ELNS1_3gpuE9ELNS1_3repE0EEENS1_30default_config_static_selectorELNS0_4arch9wavefront6targetE0EEEvSR_ ; -- Begin function _ZN7rocprim17ROCPRIM_400000_NS6detail17trampoline_kernelINS0_14default_configENS1_32segmented_reduce_config_selectorIN3c108BFloat16EEEZNS1_21segmented_reduce_implIS3_PKS6_PS6_PKlS6_N6hipcub16HIPCUB_304000_NS6detail27convert_result_type_wrapperISA_SB_N2at6native12_GLOBAL__N_19CustomMinEEEEE10hipError_tPvRmT0_T1_jT2_SS_T4_T3_P12ihipStream_tbEUlT_E_NS1_11comp_targetILNS1_3genE5ELNS1_11target_archE942ELNS1_3gpuE9ELNS1_3repE0EEENS1_30default_config_static_selectorELNS0_4arch9wavefront6targetE0EEEvSR_
	.p2align	8
	.type	_ZN7rocprim17ROCPRIM_400000_NS6detail17trampoline_kernelINS0_14default_configENS1_32segmented_reduce_config_selectorIN3c108BFloat16EEEZNS1_21segmented_reduce_implIS3_PKS6_PS6_PKlS6_N6hipcub16HIPCUB_304000_NS6detail27convert_result_type_wrapperISA_SB_N2at6native12_GLOBAL__N_19CustomMinEEEEE10hipError_tPvRmT0_T1_jT2_SS_T4_T3_P12ihipStream_tbEUlT_E_NS1_11comp_targetILNS1_3genE5ELNS1_11target_archE942ELNS1_3gpuE9ELNS1_3repE0EEENS1_30default_config_static_selectorELNS0_4arch9wavefront6targetE0EEEvSR_,@function
_ZN7rocprim17ROCPRIM_400000_NS6detail17trampoline_kernelINS0_14default_configENS1_32segmented_reduce_config_selectorIN3c108BFloat16EEEZNS1_21segmented_reduce_implIS3_PKS6_PS6_PKlS6_N6hipcub16HIPCUB_304000_NS6detail27convert_result_type_wrapperISA_SB_N2at6native12_GLOBAL__N_19CustomMinEEEEE10hipError_tPvRmT0_T1_jT2_SS_T4_T3_P12ihipStream_tbEUlT_E_NS1_11comp_targetILNS1_3genE5ELNS1_11target_archE942ELNS1_3gpuE9ELNS1_3repE0EEENS1_30default_config_static_selectorELNS0_4arch9wavefront6targetE0EEEvSR_: ; @_ZN7rocprim17ROCPRIM_400000_NS6detail17trampoline_kernelINS0_14default_configENS1_32segmented_reduce_config_selectorIN3c108BFloat16EEEZNS1_21segmented_reduce_implIS3_PKS6_PS6_PKlS6_N6hipcub16HIPCUB_304000_NS6detail27convert_result_type_wrapperISA_SB_N2at6native12_GLOBAL__N_19CustomMinEEEEE10hipError_tPvRmT0_T1_jT2_SS_T4_T3_P12ihipStream_tbEUlT_E_NS1_11comp_targetILNS1_3genE5ELNS1_11target_archE942ELNS1_3gpuE9ELNS1_3repE0EEENS1_30default_config_static_selectorELNS0_4arch9wavefront6targetE0EEEvSR_
; %bb.0:
	.section	.rodata,"a",@progbits
	.p2align	6, 0x0
	.amdhsa_kernel _ZN7rocprim17ROCPRIM_400000_NS6detail17trampoline_kernelINS0_14default_configENS1_32segmented_reduce_config_selectorIN3c108BFloat16EEEZNS1_21segmented_reduce_implIS3_PKS6_PS6_PKlS6_N6hipcub16HIPCUB_304000_NS6detail27convert_result_type_wrapperISA_SB_N2at6native12_GLOBAL__N_19CustomMinEEEEE10hipError_tPvRmT0_T1_jT2_SS_T4_T3_P12ihipStream_tbEUlT_E_NS1_11comp_targetILNS1_3genE5ELNS1_11target_archE942ELNS1_3gpuE9ELNS1_3repE0EEENS1_30default_config_static_selectorELNS0_4arch9wavefront6targetE0EEEvSR_
		.amdhsa_group_segment_fixed_size 0
		.amdhsa_private_segment_fixed_size 0
		.amdhsa_kernarg_size 48
		.amdhsa_user_sgpr_count 15
		.amdhsa_user_sgpr_dispatch_ptr 0
		.amdhsa_user_sgpr_queue_ptr 0
		.amdhsa_user_sgpr_kernarg_segment_ptr 1
		.amdhsa_user_sgpr_dispatch_id 0
		.amdhsa_user_sgpr_private_segment_size 0
		.amdhsa_wavefront_size32 1
		.amdhsa_uses_dynamic_stack 0
		.amdhsa_enable_private_segment 0
		.amdhsa_system_sgpr_workgroup_id_x 1
		.amdhsa_system_sgpr_workgroup_id_y 0
		.amdhsa_system_sgpr_workgroup_id_z 0
		.amdhsa_system_sgpr_workgroup_info 0
		.amdhsa_system_vgpr_workitem_id 0
		.amdhsa_next_free_vgpr 1
		.amdhsa_next_free_sgpr 1
		.amdhsa_reserve_vcc 0
		.amdhsa_float_round_mode_32 0
		.amdhsa_float_round_mode_16_64 0
		.amdhsa_float_denorm_mode_32 3
		.amdhsa_float_denorm_mode_16_64 3
		.amdhsa_dx10_clamp 1
		.amdhsa_ieee_mode 1
		.amdhsa_fp16_overflow 0
		.amdhsa_workgroup_processor_mode 1
		.amdhsa_memory_ordered 1
		.amdhsa_forward_progress 0
		.amdhsa_shared_vgpr_count 0
		.amdhsa_exception_fp_ieee_invalid_op 0
		.amdhsa_exception_fp_denorm_src 0
		.amdhsa_exception_fp_ieee_div_zero 0
		.amdhsa_exception_fp_ieee_overflow 0
		.amdhsa_exception_fp_ieee_underflow 0
		.amdhsa_exception_fp_ieee_inexact 0
		.amdhsa_exception_int_div_zero 0
	.end_amdhsa_kernel
	.section	.text._ZN7rocprim17ROCPRIM_400000_NS6detail17trampoline_kernelINS0_14default_configENS1_32segmented_reduce_config_selectorIN3c108BFloat16EEEZNS1_21segmented_reduce_implIS3_PKS6_PS6_PKlS6_N6hipcub16HIPCUB_304000_NS6detail27convert_result_type_wrapperISA_SB_N2at6native12_GLOBAL__N_19CustomMinEEEEE10hipError_tPvRmT0_T1_jT2_SS_T4_T3_P12ihipStream_tbEUlT_E_NS1_11comp_targetILNS1_3genE5ELNS1_11target_archE942ELNS1_3gpuE9ELNS1_3repE0EEENS1_30default_config_static_selectorELNS0_4arch9wavefront6targetE0EEEvSR_,"axG",@progbits,_ZN7rocprim17ROCPRIM_400000_NS6detail17trampoline_kernelINS0_14default_configENS1_32segmented_reduce_config_selectorIN3c108BFloat16EEEZNS1_21segmented_reduce_implIS3_PKS6_PS6_PKlS6_N6hipcub16HIPCUB_304000_NS6detail27convert_result_type_wrapperISA_SB_N2at6native12_GLOBAL__N_19CustomMinEEEEE10hipError_tPvRmT0_T1_jT2_SS_T4_T3_P12ihipStream_tbEUlT_E_NS1_11comp_targetILNS1_3genE5ELNS1_11target_archE942ELNS1_3gpuE9ELNS1_3repE0EEENS1_30default_config_static_selectorELNS0_4arch9wavefront6targetE0EEEvSR_,comdat
.Lfunc_end265:
	.size	_ZN7rocprim17ROCPRIM_400000_NS6detail17trampoline_kernelINS0_14default_configENS1_32segmented_reduce_config_selectorIN3c108BFloat16EEEZNS1_21segmented_reduce_implIS3_PKS6_PS6_PKlS6_N6hipcub16HIPCUB_304000_NS6detail27convert_result_type_wrapperISA_SB_N2at6native12_GLOBAL__N_19CustomMinEEEEE10hipError_tPvRmT0_T1_jT2_SS_T4_T3_P12ihipStream_tbEUlT_E_NS1_11comp_targetILNS1_3genE5ELNS1_11target_archE942ELNS1_3gpuE9ELNS1_3repE0EEENS1_30default_config_static_selectorELNS0_4arch9wavefront6targetE0EEEvSR_, .Lfunc_end265-_ZN7rocprim17ROCPRIM_400000_NS6detail17trampoline_kernelINS0_14default_configENS1_32segmented_reduce_config_selectorIN3c108BFloat16EEEZNS1_21segmented_reduce_implIS3_PKS6_PS6_PKlS6_N6hipcub16HIPCUB_304000_NS6detail27convert_result_type_wrapperISA_SB_N2at6native12_GLOBAL__N_19CustomMinEEEEE10hipError_tPvRmT0_T1_jT2_SS_T4_T3_P12ihipStream_tbEUlT_E_NS1_11comp_targetILNS1_3genE5ELNS1_11target_archE942ELNS1_3gpuE9ELNS1_3repE0EEENS1_30default_config_static_selectorELNS0_4arch9wavefront6targetE0EEEvSR_
                                        ; -- End function
	.section	.AMDGPU.csdata,"",@progbits
; Kernel info:
; codeLenInByte = 0
; NumSgprs: 0
; NumVgprs: 0
; ScratchSize: 0
; MemoryBound: 0
; FloatMode: 240
; IeeeMode: 1
; LDSByteSize: 0 bytes/workgroup (compile time only)
; SGPRBlocks: 0
; VGPRBlocks: 0
; NumSGPRsForWavesPerEU: 1
; NumVGPRsForWavesPerEU: 1
; Occupancy: 16
; WaveLimiterHint : 0
; COMPUTE_PGM_RSRC2:SCRATCH_EN: 0
; COMPUTE_PGM_RSRC2:USER_SGPR: 15
; COMPUTE_PGM_RSRC2:TRAP_HANDLER: 0
; COMPUTE_PGM_RSRC2:TGID_X_EN: 1
; COMPUTE_PGM_RSRC2:TGID_Y_EN: 0
; COMPUTE_PGM_RSRC2:TGID_Z_EN: 0
; COMPUTE_PGM_RSRC2:TIDIG_COMP_CNT: 0
	.section	.text._ZN7rocprim17ROCPRIM_400000_NS6detail17trampoline_kernelINS0_14default_configENS1_32segmented_reduce_config_selectorIN3c108BFloat16EEEZNS1_21segmented_reduce_implIS3_PKS6_PS6_PKlS6_N6hipcub16HIPCUB_304000_NS6detail27convert_result_type_wrapperISA_SB_N2at6native12_GLOBAL__N_19CustomMinEEEEE10hipError_tPvRmT0_T1_jT2_SS_T4_T3_P12ihipStream_tbEUlT_E_NS1_11comp_targetILNS1_3genE10ELNS1_11target_archE1201ELNS1_3gpuE5ELNS1_3repE0EEENS1_30default_config_static_selectorELNS0_4arch9wavefront6targetE0EEEvSR_,"axG",@progbits,_ZN7rocprim17ROCPRIM_400000_NS6detail17trampoline_kernelINS0_14default_configENS1_32segmented_reduce_config_selectorIN3c108BFloat16EEEZNS1_21segmented_reduce_implIS3_PKS6_PS6_PKlS6_N6hipcub16HIPCUB_304000_NS6detail27convert_result_type_wrapperISA_SB_N2at6native12_GLOBAL__N_19CustomMinEEEEE10hipError_tPvRmT0_T1_jT2_SS_T4_T3_P12ihipStream_tbEUlT_E_NS1_11comp_targetILNS1_3genE10ELNS1_11target_archE1201ELNS1_3gpuE5ELNS1_3repE0EEENS1_30default_config_static_selectorELNS0_4arch9wavefront6targetE0EEEvSR_,comdat
	.globl	_ZN7rocprim17ROCPRIM_400000_NS6detail17trampoline_kernelINS0_14default_configENS1_32segmented_reduce_config_selectorIN3c108BFloat16EEEZNS1_21segmented_reduce_implIS3_PKS6_PS6_PKlS6_N6hipcub16HIPCUB_304000_NS6detail27convert_result_type_wrapperISA_SB_N2at6native12_GLOBAL__N_19CustomMinEEEEE10hipError_tPvRmT0_T1_jT2_SS_T4_T3_P12ihipStream_tbEUlT_E_NS1_11comp_targetILNS1_3genE10ELNS1_11target_archE1201ELNS1_3gpuE5ELNS1_3repE0EEENS1_30default_config_static_selectorELNS0_4arch9wavefront6targetE0EEEvSR_ ; -- Begin function _ZN7rocprim17ROCPRIM_400000_NS6detail17trampoline_kernelINS0_14default_configENS1_32segmented_reduce_config_selectorIN3c108BFloat16EEEZNS1_21segmented_reduce_implIS3_PKS6_PS6_PKlS6_N6hipcub16HIPCUB_304000_NS6detail27convert_result_type_wrapperISA_SB_N2at6native12_GLOBAL__N_19CustomMinEEEEE10hipError_tPvRmT0_T1_jT2_SS_T4_T3_P12ihipStream_tbEUlT_E_NS1_11comp_targetILNS1_3genE10ELNS1_11target_archE1201ELNS1_3gpuE5ELNS1_3repE0EEENS1_30default_config_static_selectorELNS0_4arch9wavefront6targetE0EEEvSR_
	.p2align	8
	.type	_ZN7rocprim17ROCPRIM_400000_NS6detail17trampoline_kernelINS0_14default_configENS1_32segmented_reduce_config_selectorIN3c108BFloat16EEEZNS1_21segmented_reduce_implIS3_PKS6_PS6_PKlS6_N6hipcub16HIPCUB_304000_NS6detail27convert_result_type_wrapperISA_SB_N2at6native12_GLOBAL__N_19CustomMinEEEEE10hipError_tPvRmT0_T1_jT2_SS_T4_T3_P12ihipStream_tbEUlT_E_NS1_11comp_targetILNS1_3genE10ELNS1_11target_archE1201ELNS1_3gpuE5ELNS1_3repE0EEENS1_30default_config_static_selectorELNS0_4arch9wavefront6targetE0EEEvSR_,@function
_ZN7rocprim17ROCPRIM_400000_NS6detail17trampoline_kernelINS0_14default_configENS1_32segmented_reduce_config_selectorIN3c108BFloat16EEEZNS1_21segmented_reduce_implIS3_PKS6_PS6_PKlS6_N6hipcub16HIPCUB_304000_NS6detail27convert_result_type_wrapperISA_SB_N2at6native12_GLOBAL__N_19CustomMinEEEEE10hipError_tPvRmT0_T1_jT2_SS_T4_T3_P12ihipStream_tbEUlT_E_NS1_11comp_targetILNS1_3genE10ELNS1_11target_archE1201ELNS1_3gpuE5ELNS1_3repE0EEENS1_30default_config_static_selectorELNS0_4arch9wavefront6targetE0EEEvSR_: ; @_ZN7rocprim17ROCPRIM_400000_NS6detail17trampoline_kernelINS0_14default_configENS1_32segmented_reduce_config_selectorIN3c108BFloat16EEEZNS1_21segmented_reduce_implIS3_PKS6_PS6_PKlS6_N6hipcub16HIPCUB_304000_NS6detail27convert_result_type_wrapperISA_SB_N2at6native12_GLOBAL__N_19CustomMinEEEEE10hipError_tPvRmT0_T1_jT2_SS_T4_T3_P12ihipStream_tbEUlT_E_NS1_11comp_targetILNS1_3genE10ELNS1_11target_archE1201ELNS1_3gpuE5ELNS1_3repE0EEENS1_30default_config_static_selectorELNS0_4arch9wavefront6targetE0EEEvSR_
; %bb.0:
	.section	.rodata,"a",@progbits
	.p2align	6, 0x0
	.amdhsa_kernel _ZN7rocprim17ROCPRIM_400000_NS6detail17trampoline_kernelINS0_14default_configENS1_32segmented_reduce_config_selectorIN3c108BFloat16EEEZNS1_21segmented_reduce_implIS3_PKS6_PS6_PKlS6_N6hipcub16HIPCUB_304000_NS6detail27convert_result_type_wrapperISA_SB_N2at6native12_GLOBAL__N_19CustomMinEEEEE10hipError_tPvRmT0_T1_jT2_SS_T4_T3_P12ihipStream_tbEUlT_E_NS1_11comp_targetILNS1_3genE10ELNS1_11target_archE1201ELNS1_3gpuE5ELNS1_3repE0EEENS1_30default_config_static_selectorELNS0_4arch9wavefront6targetE0EEEvSR_
		.amdhsa_group_segment_fixed_size 0
		.amdhsa_private_segment_fixed_size 0
		.amdhsa_kernarg_size 48
		.amdhsa_user_sgpr_count 15
		.amdhsa_user_sgpr_dispatch_ptr 0
		.amdhsa_user_sgpr_queue_ptr 0
		.amdhsa_user_sgpr_kernarg_segment_ptr 1
		.amdhsa_user_sgpr_dispatch_id 0
		.amdhsa_user_sgpr_private_segment_size 0
		.amdhsa_wavefront_size32 1
		.amdhsa_uses_dynamic_stack 0
		.amdhsa_enable_private_segment 0
		.amdhsa_system_sgpr_workgroup_id_x 1
		.amdhsa_system_sgpr_workgroup_id_y 0
		.amdhsa_system_sgpr_workgroup_id_z 0
		.amdhsa_system_sgpr_workgroup_info 0
		.amdhsa_system_vgpr_workitem_id 0
		.amdhsa_next_free_vgpr 1
		.amdhsa_next_free_sgpr 1
		.amdhsa_reserve_vcc 0
		.amdhsa_float_round_mode_32 0
		.amdhsa_float_round_mode_16_64 0
		.amdhsa_float_denorm_mode_32 3
		.amdhsa_float_denorm_mode_16_64 3
		.amdhsa_dx10_clamp 1
		.amdhsa_ieee_mode 1
		.amdhsa_fp16_overflow 0
		.amdhsa_workgroup_processor_mode 1
		.amdhsa_memory_ordered 1
		.amdhsa_forward_progress 0
		.amdhsa_shared_vgpr_count 0
		.amdhsa_exception_fp_ieee_invalid_op 0
		.amdhsa_exception_fp_denorm_src 0
		.amdhsa_exception_fp_ieee_div_zero 0
		.amdhsa_exception_fp_ieee_overflow 0
		.amdhsa_exception_fp_ieee_underflow 0
		.amdhsa_exception_fp_ieee_inexact 0
		.amdhsa_exception_int_div_zero 0
	.end_amdhsa_kernel
	.section	.text._ZN7rocprim17ROCPRIM_400000_NS6detail17trampoline_kernelINS0_14default_configENS1_32segmented_reduce_config_selectorIN3c108BFloat16EEEZNS1_21segmented_reduce_implIS3_PKS6_PS6_PKlS6_N6hipcub16HIPCUB_304000_NS6detail27convert_result_type_wrapperISA_SB_N2at6native12_GLOBAL__N_19CustomMinEEEEE10hipError_tPvRmT0_T1_jT2_SS_T4_T3_P12ihipStream_tbEUlT_E_NS1_11comp_targetILNS1_3genE10ELNS1_11target_archE1201ELNS1_3gpuE5ELNS1_3repE0EEENS1_30default_config_static_selectorELNS0_4arch9wavefront6targetE0EEEvSR_,"axG",@progbits,_ZN7rocprim17ROCPRIM_400000_NS6detail17trampoline_kernelINS0_14default_configENS1_32segmented_reduce_config_selectorIN3c108BFloat16EEEZNS1_21segmented_reduce_implIS3_PKS6_PS6_PKlS6_N6hipcub16HIPCUB_304000_NS6detail27convert_result_type_wrapperISA_SB_N2at6native12_GLOBAL__N_19CustomMinEEEEE10hipError_tPvRmT0_T1_jT2_SS_T4_T3_P12ihipStream_tbEUlT_E_NS1_11comp_targetILNS1_3genE10ELNS1_11target_archE1201ELNS1_3gpuE5ELNS1_3repE0EEENS1_30default_config_static_selectorELNS0_4arch9wavefront6targetE0EEEvSR_,comdat
.Lfunc_end266:
	.size	_ZN7rocprim17ROCPRIM_400000_NS6detail17trampoline_kernelINS0_14default_configENS1_32segmented_reduce_config_selectorIN3c108BFloat16EEEZNS1_21segmented_reduce_implIS3_PKS6_PS6_PKlS6_N6hipcub16HIPCUB_304000_NS6detail27convert_result_type_wrapperISA_SB_N2at6native12_GLOBAL__N_19CustomMinEEEEE10hipError_tPvRmT0_T1_jT2_SS_T4_T3_P12ihipStream_tbEUlT_E_NS1_11comp_targetILNS1_3genE10ELNS1_11target_archE1201ELNS1_3gpuE5ELNS1_3repE0EEENS1_30default_config_static_selectorELNS0_4arch9wavefront6targetE0EEEvSR_, .Lfunc_end266-_ZN7rocprim17ROCPRIM_400000_NS6detail17trampoline_kernelINS0_14default_configENS1_32segmented_reduce_config_selectorIN3c108BFloat16EEEZNS1_21segmented_reduce_implIS3_PKS6_PS6_PKlS6_N6hipcub16HIPCUB_304000_NS6detail27convert_result_type_wrapperISA_SB_N2at6native12_GLOBAL__N_19CustomMinEEEEE10hipError_tPvRmT0_T1_jT2_SS_T4_T3_P12ihipStream_tbEUlT_E_NS1_11comp_targetILNS1_3genE10ELNS1_11target_archE1201ELNS1_3gpuE5ELNS1_3repE0EEENS1_30default_config_static_selectorELNS0_4arch9wavefront6targetE0EEEvSR_
                                        ; -- End function
	.section	.AMDGPU.csdata,"",@progbits
; Kernel info:
; codeLenInByte = 0
; NumSgprs: 0
; NumVgprs: 0
; ScratchSize: 0
; MemoryBound: 0
; FloatMode: 240
; IeeeMode: 1
; LDSByteSize: 0 bytes/workgroup (compile time only)
; SGPRBlocks: 0
; VGPRBlocks: 0
; NumSGPRsForWavesPerEU: 1
; NumVGPRsForWavesPerEU: 1
; Occupancy: 16
; WaveLimiterHint : 0
; COMPUTE_PGM_RSRC2:SCRATCH_EN: 0
; COMPUTE_PGM_RSRC2:USER_SGPR: 15
; COMPUTE_PGM_RSRC2:TRAP_HANDLER: 0
; COMPUTE_PGM_RSRC2:TGID_X_EN: 1
; COMPUTE_PGM_RSRC2:TGID_Y_EN: 0
; COMPUTE_PGM_RSRC2:TGID_Z_EN: 0
; COMPUTE_PGM_RSRC2:TIDIG_COMP_CNT: 0
	.section	.text._ZN7rocprim17ROCPRIM_400000_NS6detail17trampoline_kernelINS0_14default_configENS1_32segmented_reduce_config_selectorIN3c108BFloat16EEEZNS1_21segmented_reduce_implIS3_PKS6_PS6_PKlS6_N6hipcub16HIPCUB_304000_NS6detail27convert_result_type_wrapperISA_SB_N2at6native12_GLOBAL__N_19CustomMinEEEEE10hipError_tPvRmT0_T1_jT2_SS_T4_T3_P12ihipStream_tbEUlT_E_NS1_11comp_targetILNS1_3genE4ELNS1_11target_archE910ELNS1_3gpuE8ELNS1_3repE0EEENS1_30default_config_static_selectorELNS0_4arch9wavefront6targetE0EEEvSR_,"axG",@progbits,_ZN7rocprim17ROCPRIM_400000_NS6detail17trampoline_kernelINS0_14default_configENS1_32segmented_reduce_config_selectorIN3c108BFloat16EEEZNS1_21segmented_reduce_implIS3_PKS6_PS6_PKlS6_N6hipcub16HIPCUB_304000_NS6detail27convert_result_type_wrapperISA_SB_N2at6native12_GLOBAL__N_19CustomMinEEEEE10hipError_tPvRmT0_T1_jT2_SS_T4_T3_P12ihipStream_tbEUlT_E_NS1_11comp_targetILNS1_3genE4ELNS1_11target_archE910ELNS1_3gpuE8ELNS1_3repE0EEENS1_30default_config_static_selectorELNS0_4arch9wavefront6targetE0EEEvSR_,comdat
	.globl	_ZN7rocprim17ROCPRIM_400000_NS6detail17trampoline_kernelINS0_14default_configENS1_32segmented_reduce_config_selectorIN3c108BFloat16EEEZNS1_21segmented_reduce_implIS3_PKS6_PS6_PKlS6_N6hipcub16HIPCUB_304000_NS6detail27convert_result_type_wrapperISA_SB_N2at6native12_GLOBAL__N_19CustomMinEEEEE10hipError_tPvRmT0_T1_jT2_SS_T4_T3_P12ihipStream_tbEUlT_E_NS1_11comp_targetILNS1_3genE4ELNS1_11target_archE910ELNS1_3gpuE8ELNS1_3repE0EEENS1_30default_config_static_selectorELNS0_4arch9wavefront6targetE0EEEvSR_ ; -- Begin function _ZN7rocprim17ROCPRIM_400000_NS6detail17trampoline_kernelINS0_14default_configENS1_32segmented_reduce_config_selectorIN3c108BFloat16EEEZNS1_21segmented_reduce_implIS3_PKS6_PS6_PKlS6_N6hipcub16HIPCUB_304000_NS6detail27convert_result_type_wrapperISA_SB_N2at6native12_GLOBAL__N_19CustomMinEEEEE10hipError_tPvRmT0_T1_jT2_SS_T4_T3_P12ihipStream_tbEUlT_E_NS1_11comp_targetILNS1_3genE4ELNS1_11target_archE910ELNS1_3gpuE8ELNS1_3repE0EEENS1_30default_config_static_selectorELNS0_4arch9wavefront6targetE0EEEvSR_
	.p2align	8
	.type	_ZN7rocprim17ROCPRIM_400000_NS6detail17trampoline_kernelINS0_14default_configENS1_32segmented_reduce_config_selectorIN3c108BFloat16EEEZNS1_21segmented_reduce_implIS3_PKS6_PS6_PKlS6_N6hipcub16HIPCUB_304000_NS6detail27convert_result_type_wrapperISA_SB_N2at6native12_GLOBAL__N_19CustomMinEEEEE10hipError_tPvRmT0_T1_jT2_SS_T4_T3_P12ihipStream_tbEUlT_E_NS1_11comp_targetILNS1_3genE4ELNS1_11target_archE910ELNS1_3gpuE8ELNS1_3repE0EEENS1_30default_config_static_selectorELNS0_4arch9wavefront6targetE0EEEvSR_,@function
_ZN7rocprim17ROCPRIM_400000_NS6detail17trampoline_kernelINS0_14default_configENS1_32segmented_reduce_config_selectorIN3c108BFloat16EEEZNS1_21segmented_reduce_implIS3_PKS6_PS6_PKlS6_N6hipcub16HIPCUB_304000_NS6detail27convert_result_type_wrapperISA_SB_N2at6native12_GLOBAL__N_19CustomMinEEEEE10hipError_tPvRmT0_T1_jT2_SS_T4_T3_P12ihipStream_tbEUlT_E_NS1_11comp_targetILNS1_3genE4ELNS1_11target_archE910ELNS1_3gpuE8ELNS1_3repE0EEENS1_30default_config_static_selectorELNS0_4arch9wavefront6targetE0EEEvSR_: ; @_ZN7rocprim17ROCPRIM_400000_NS6detail17trampoline_kernelINS0_14default_configENS1_32segmented_reduce_config_selectorIN3c108BFloat16EEEZNS1_21segmented_reduce_implIS3_PKS6_PS6_PKlS6_N6hipcub16HIPCUB_304000_NS6detail27convert_result_type_wrapperISA_SB_N2at6native12_GLOBAL__N_19CustomMinEEEEE10hipError_tPvRmT0_T1_jT2_SS_T4_T3_P12ihipStream_tbEUlT_E_NS1_11comp_targetILNS1_3genE4ELNS1_11target_archE910ELNS1_3gpuE8ELNS1_3repE0EEENS1_30default_config_static_selectorELNS0_4arch9wavefront6targetE0EEEvSR_
; %bb.0:
	.section	.rodata,"a",@progbits
	.p2align	6, 0x0
	.amdhsa_kernel _ZN7rocprim17ROCPRIM_400000_NS6detail17trampoline_kernelINS0_14default_configENS1_32segmented_reduce_config_selectorIN3c108BFloat16EEEZNS1_21segmented_reduce_implIS3_PKS6_PS6_PKlS6_N6hipcub16HIPCUB_304000_NS6detail27convert_result_type_wrapperISA_SB_N2at6native12_GLOBAL__N_19CustomMinEEEEE10hipError_tPvRmT0_T1_jT2_SS_T4_T3_P12ihipStream_tbEUlT_E_NS1_11comp_targetILNS1_3genE4ELNS1_11target_archE910ELNS1_3gpuE8ELNS1_3repE0EEENS1_30default_config_static_selectorELNS0_4arch9wavefront6targetE0EEEvSR_
		.amdhsa_group_segment_fixed_size 0
		.amdhsa_private_segment_fixed_size 0
		.amdhsa_kernarg_size 48
		.amdhsa_user_sgpr_count 15
		.amdhsa_user_sgpr_dispatch_ptr 0
		.amdhsa_user_sgpr_queue_ptr 0
		.amdhsa_user_sgpr_kernarg_segment_ptr 1
		.amdhsa_user_sgpr_dispatch_id 0
		.amdhsa_user_sgpr_private_segment_size 0
		.amdhsa_wavefront_size32 1
		.amdhsa_uses_dynamic_stack 0
		.amdhsa_enable_private_segment 0
		.amdhsa_system_sgpr_workgroup_id_x 1
		.amdhsa_system_sgpr_workgroup_id_y 0
		.amdhsa_system_sgpr_workgroup_id_z 0
		.amdhsa_system_sgpr_workgroup_info 0
		.amdhsa_system_vgpr_workitem_id 0
		.amdhsa_next_free_vgpr 1
		.amdhsa_next_free_sgpr 1
		.amdhsa_reserve_vcc 0
		.amdhsa_float_round_mode_32 0
		.amdhsa_float_round_mode_16_64 0
		.amdhsa_float_denorm_mode_32 3
		.amdhsa_float_denorm_mode_16_64 3
		.amdhsa_dx10_clamp 1
		.amdhsa_ieee_mode 1
		.amdhsa_fp16_overflow 0
		.amdhsa_workgroup_processor_mode 1
		.amdhsa_memory_ordered 1
		.amdhsa_forward_progress 0
		.amdhsa_shared_vgpr_count 0
		.amdhsa_exception_fp_ieee_invalid_op 0
		.amdhsa_exception_fp_denorm_src 0
		.amdhsa_exception_fp_ieee_div_zero 0
		.amdhsa_exception_fp_ieee_overflow 0
		.amdhsa_exception_fp_ieee_underflow 0
		.amdhsa_exception_fp_ieee_inexact 0
		.amdhsa_exception_int_div_zero 0
	.end_amdhsa_kernel
	.section	.text._ZN7rocprim17ROCPRIM_400000_NS6detail17trampoline_kernelINS0_14default_configENS1_32segmented_reduce_config_selectorIN3c108BFloat16EEEZNS1_21segmented_reduce_implIS3_PKS6_PS6_PKlS6_N6hipcub16HIPCUB_304000_NS6detail27convert_result_type_wrapperISA_SB_N2at6native12_GLOBAL__N_19CustomMinEEEEE10hipError_tPvRmT0_T1_jT2_SS_T4_T3_P12ihipStream_tbEUlT_E_NS1_11comp_targetILNS1_3genE4ELNS1_11target_archE910ELNS1_3gpuE8ELNS1_3repE0EEENS1_30default_config_static_selectorELNS0_4arch9wavefront6targetE0EEEvSR_,"axG",@progbits,_ZN7rocprim17ROCPRIM_400000_NS6detail17trampoline_kernelINS0_14default_configENS1_32segmented_reduce_config_selectorIN3c108BFloat16EEEZNS1_21segmented_reduce_implIS3_PKS6_PS6_PKlS6_N6hipcub16HIPCUB_304000_NS6detail27convert_result_type_wrapperISA_SB_N2at6native12_GLOBAL__N_19CustomMinEEEEE10hipError_tPvRmT0_T1_jT2_SS_T4_T3_P12ihipStream_tbEUlT_E_NS1_11comp_targetILNS1_3genE4ELNS1_11target_archE910ELNS1_3gpuE8ELNS1_3repE0EEENS1_30default_config_static_selectorELNS0_4arch9wavefront6targetE0EEEvSR_,comdat
.Lfunc_end267:
	.size	_ZN7rocprim17ROCPRIM_400000_NS6detail17trampoline_kernelINS0_14default_configENS1_32segmented_reduce_config_selectorIN3c108BFloat16EEEZNS1_21segmented_reduce_implIS3_PKS6_PS6_PKlS6_N6hipcub16HIPCUB_304000_NS6detail27convert_result_type_wrapperISA_SB_N2at6native12_GLOBAL__N_19CustomMinEEEEE10hipError_tPvRmT0_T1_jT2_SS_T4_T3_P12ihipStream_tbEUlT_E_NS1_11comp_targetILNS1_3genE4ELNS1_11target_archE910ELNS1_3gpuE8ELNS1_3repE0EEENS1_30default_config_static_selectorELNS0_4arch9wavefront6targetE0EEEvSR_, .Lfunc_end267-_ZN7rocprim17ROCPRIM_400000_NS6detail17trampoline_kernelINS0_14default_configENS1_32segmented_reduce_config_selectorIN3c108BFloat16EEEZNS1_21segmented_reduce_implIS3_PKS6_PS6_PKlS6_N6hipcub16HIPCUB_304000_NS6detail27convert_result_type_wrapperISA_SB_N2at6native12_GLOBAL__N_19CustomMinEEEEE10hipError_tPvRmT0_T1_jT2_SS_T4_T3_P12ihipStream_tbEUlT_E_NS1_11comp_targetILNS1_3genE4ELNS1_11target_archE910ELNS1_3gpuE8ELNS1_3repE0EEENS1_30default_config_static_selectorELNS0_4arch9wavefront6targetE0EEEvSR_
                                        ; -- End function
	.section	.AMDGPU.csdata,"",@progbits
; Kernel info:
; codeLenInByte = 0
; NumSgprs: 0
; NumVgprs: 0
; ScratchSize: 0
; MemoryBound: 0
; FloatMode: 240
; IeeeMode: 1
; LDSByteSize: 0 bytes/workgroup (compile time only)
; SGPRBlocks: 0
; VGPRBlocks: 0
; NumSGPRsForWavesPerEU: 1
; NumVGPRsForWavesPerEU: 1
; Occupancy: 16
; WaveLimiterHint : 0
; COMPUTE_PGM_RSRC2:SCRATCH_EN: 0
; COMPUTE_PGM_RSRC2:USER_SGPR: 15
; COMPUTE_PGM_RSRC2:TRAP_HANDLER: 0
; COMPUTE_PGM_RSRC2:TGID_X_EN: 1
; COMPUTE_PGM_RSRC2:TGID_Y_EN: 0
; COMPUTE_PGM_RSRC2:TGID_Z_EN: 0
; COMPUTE_PGM_RSRC2:TIDIG_COMP_CNT: 0
	.section	.text._ZN7rocprim17ROCPRIM_400000_NS6detail17trampoline_kernelINS0_14default_configENS1_32segmented_reduce_config_selectorIN3c108BFloat16EEEZNS1_21segmented_reduce_implIS3_PKS6_PS6_PKlS6_N6hipcub16HIPCUB_304000_NS6detail27convert_result_type_wrapperISA_SB_N2at6native12_GLOBAL__N_19CustomMinEEEEE10hipError_tPvRmT0_T1_jT2_SS_T4_T3_P12ihipStream_tbEUlT_E_NS1_11comp_targetILNS1_3genE3ELNS1_11target_archE908ELNS1_3gpuE7ELNS1_3repE0EEENS1_30default_config_static_selectorELNS0_4arch9wavefront6targetE0EEEvSR_,"axG",@progbits,_ZN7rocprim17ROCPRIM_400000_NS6detail17trampoline_kernelINS0_14default_configENS1_32segmented_reduce_config_selectorIN3c108BFloat16EEEZNS1_21segmented_reduce_implIS3_PKS6_PS6_PKlS6_N6hipcub16HIPCUB_304000_NS6detail27convert_result_type_wrapperISA_SB_N2at6native12_GLOBAL__N_19CustomMinEEEEE10hipError_tPvRmT0_T1_jT2_SS_T4_T3_P12ihipStream_tbEUlT_E_NS1_11comp_targetILNS1_3genE3ELNS1_11target_archE908ELNS1_3gpuE7ELNS1_3repE0EEENS1_30default_config_static_selectorELNS0_4arch9wavefront6targetE0EEEvSR_,comdat
	.globl	_ZN7rocprim17ROCPRIM_400000_NS6detail17trampoline_kernelINS0_14default_configENS1_32segmented_reduce_config_selectorIN3c108BFloat16EEEZNS1_21segmented_reduce_implIS3_PKS6_PS6_PKlS6_N6hipcub16HIPCUB_304000_NS6detail27convert_result_type_wrapperISA_SB_N2at6native12_GLOBAL__N_19CustomMinEEEEE10hipError_tPvRmT0_T1_jT2_SS_T4_T3_P12ihipStream_tbEUlT_E_NS1_11comp_targetILNS1_3genE3ELNS1_11target_archE908ELNS1_3gpuE7ELNS1_3repE0EEENS1_30default_config_static_selectorELNS0_4arch9wavefront6targetE0EEEvSR_ ; -- Begin function _ZN7rocprim17ROCPRIM_400000_NS6detail17trampoline_kernelINS0_14default_configENS1_32segmented_reduce_config_selectorIN3c108BFloat16EEEZNS1_21segmented_reduce_implIS3_PKS6_PS6_PKlS6_N6hipcub16HIPCUB_304000_NS6detail27convert_result_type_wrapperISA_SB_N2at6native12_GLOBAL__N_19CustomMinEEEEE10hipError_tPvRmT0_T1_jT2_SS_T4_T3_P12ihipStream_tbEUlT_E_NS1_11comp_targetILNS1_3genE3ELNS1_11target_archE908ELNS1_3gpuE7ELNS1_3repE0EEENS1_30default_config_static_selectorELNS0_4arch9wavefront6targetE0EEEvSR_
	.p2align	8
	.type	_ZN7rocprim17ROCPRIM_400000_NS6detail17trampoline_kernelINS0_14default_configENS1_32segmented_reduce_config_selectorIN3c108BFloat16EEEZNS1_21segmented_reduce_implIS3_PKS6_PS6_PKlS6_N6hipcub16HIPCUB_304000_NS6detail27convert_result_type_wrapperISA_SB_N2at6native12_GLOBAL__N_19CustomMinEEEEE10hipError_tPvRmT0_T1_jT2_SS_T4_T3_P12ihipStream_tbEUlT_E_NS1_11comp_targetILNS1_3genE3ELNS1_11target_archE908ELNS1_3gpuE7ELNS1_3repE0EEENS1_30default_config_static_selectorELNS0_4arch9wavefront6targetE0EEEvSR_,@function
_ZN7rocprim17ROCPRIM_400000_NS6detail17trampoline_kernelINS0_14default_configENS1_32segmented_reduce_config_selectorIN3c108BFloat16EEEZNS1_21segmented_reduce_implIS3_PKS6_PS6_PKlS6_N6hipcub16HIPCUB_304000_NS6detail27convert_result_type_wrapperISA_SB_N2at6native12_GLOBAL__N_19CustomMinEEEEE10hipError_tPvRmT0_T1_jT2_SS_T4_T3_P12ihipStream_tbEUlT_E_NS1_11comp_targetILNS1_3genE3ELNS1_11target_archE908ELNS1_3gpuE7ELNS1_3repE0EEENS1_30default_config_static_selectorELNS0_4arch9wavefront6targetE0EEEvSR_: ; @_ZN7rocprim17ROCPRIM_400000_NS6detail17trampoline_kernelINS0_14default_configENS1_32segmented_reduce_config_selectorIN3c108BFloat16EEEZNS1_21segmented_reduce_implIS3_PKS6_PS6_PKlS6_N6hipcub16HIPCUB_304000_NS6detail27convert_result_type_wrapperISA_SB_N2at6native12_GLOBAL__N_19CustomMinEEEEE10hipError_tPvRmT0_T1_jT2_SS_T4_T3_P12ihipStream_tbEUlT_E_NS1_11comp_targetILNS1_3genE3ELNS1_11target_archE908ELNS1_3gpuE7ELNS1_3repE0EEENS1_30default_config_static_selectorELNS0_4arch9wavefront6targetE0EEEvSR_
; %bb.0:
	.section	.rodata,"a",@progbits
	.p2align	6, 0x0
	.amdhsa_kernel _ZN7rocprim17ROCPRIM_400000_NS6detail17trampoline_kernelINS0_14default_configENS1_32segmented_reduce_config_selectorIN3c108BFloat16EEEZNS1_21segmented_reduce_implIS3_PKS6_PS6_PKlS6_N6hipcub16HIPCUB_304000_NS6detail27convert_result_type_wrapperISA_SB_N2at6native12_GLOBAL__N_19CustomMinEEEEE10hipError_tPvRmT0_T1_jT2_SS_T4_T3_P12ihipStream_tbEUlT_E_NS1_11comp_targetILNS1_3genE3ELNS1_11target_archE908ELNS1_3gpuE7ELNS1_3repE0EEENS1_30default_config_static_selectorELNS0_4arch9wavefront6targetE0EEEvSR_
		.amdhsa_group_segment_fixed_size 0
		.amdhsa_private_segment_fixed_size 0
		.amdhsa_kernarg_size 48
		.amdhsa_user_sgpr_count 15
		.amdhsa_user_sgpr_dispatch_ptr 0
		.amdhsa_user_sgpr_queue_ptr 0
		.amdhsa_user_sgpr_kernarg_segment_ptr 1
		.amdhsa_user_sgpr_dispatch_id 0
		.amdhsa_user_sgpr_private_segment_size 0
		.amdhsa_wavefront_size32 1
		.amdhsa_uses_dynamic_stack 0
		.amdhsa_enable_private_segment 0
		.amdhsa_system_sgpr_workgroup_id_x 1
		.amdhsa_system_sgpr_workgroup_id_y 0
		.amdhsa_system_sgpr_workgroup_id_z 0
		.amdhsa_system_sgpr_workgroup_info 0
		.amdhsa_system_vgpr_workitem_id 0
		.amdhsa_next_free_vgpr 1
		.amdhsa_next_free_sgpr 1
		.amdhsa_reserve_vcc 0
		.amdhsa_float_round_mode_32 0
		.amdhsa_float_round_mode_16_64 0
		.amdhsa_float_denorm_mode_32 3
		.amdhsa_float_denorm_mode_16_64 3
		.amdhsa_dx10_clamp 1
		.amdhsa_ieee_mode 1
		.amdhsa_fp16_overflow 0
		.amdhsa_workgroup_processor_mode 1
		.amdhsa_memory_ordered 1
		.amdhsa_forward_progress 0
		.amdhsa_shared_vgpr_count 0
		.amdhsa_exception_fp_ieee_invalid_op 0
		.amdhsa_exception_fp_denorm_src 0
		.amdhsa_exception_fp_ieee_div_zero 0
		.amdhsa_exception_fp_ieee_overflow 0
		.amdhsa_exception_fp_ieee_underflow 0
		.amdhsa_exception_fp_ieee_inexact 0
		.amdhsa_exception_int_div_zero 0
	.end_amdhsa_kernel
	.section	.text._ZN7rocprim17ROCPRIM_400000_NS6detail17trampoline_kernelINS0_14default_configENS1_32segmented_reduce_config_selectorIN3c108BFloat16EEEZNS1_21segmented_reduce_implIS3_PKS6_PS6_PKlS6_N6hipcub16HIPCUB_304000_NS6detail27convert_result_type_wrapperISA_SB_N2at6native12_GLOBAL__N_19CustomMinEEEEE10hipError_tPvRmT0_T1_jT2_SS_T4_T3_P12ihipStream_tbEUlT_E_NS1_11comp_targetILNS1_3genE3ELNS1_11target_archE908ELNS1_3gpuE7ELNS1_3repE0EEENS1_30default_config_static_selectorELNS0_4arch9wavefront6targetE0EEEvSR_,"axG",@progbits,_ZN7rocprim17ROCPRIM_400000_NS6detail17trampoline_kernelINS0_14default_configENS1_32segmented_reduce_config_selectorIN3c108BFloat16EEEZNS1_21segmented_reduce_implIS3_PKS6_PS6_PKlS6_N6hipcub16HIPCUB_304000_NS6detail27convert_result_type_wrapperISA_SB_N2at6native12_GLOBAL__N_19CustomMinEEEEE10hipError_tPvRmT0_T1_jT2_SS_T4_T3_P12ihipStream_tbEUlT_E_NS1_11comp_targetILNS1_3genE3ELNS1_11target_archE908ELNS1_3gpuE7ELNS1_3repE0EEENS1_30default_config_static_selectorELNS0_4arch9wavefront6targetE0EEEvSR_,comdat
.Lfunc_end268:
	.size	_ZN7rocprim17ROCPRIM_400000_NS6detail17trampoline_kernelINS0_14default_configENS1_32segmented_reduce_config_selectorIN3c108BFloat16EEEZNS1_21segmented_reduce_implIS3_PKS6_PS6_PKlS6_N6hipcub16HIPCUB_304000_NS6detail27convert_result_type_wrapperISA_SB_N2at6native12_GLOBAL__N_19CustomMinEEEEE10hipError_tPvRmT0_T1_jT2_SS_T4_T3_P12ihipStream_tbEUlT_E_NS1_11comp_targetILNS1_3genE3ELNS1_11target_archE908ELNS1_3gpuE7ELNS1_3repE0EEENS1_30default_config_static_selectorELNS0_4arch9wavefront6targetE0EEEvSR_, .Lfunc_end268-_ZN7rocprim17ROCPRIM_400000_NS6detail17trampoline_kernelINS0_14default_configENS1_32segmented_reduce_config_selectorIN3c108BFloat16EEEZNS1_21segmented_reduce_implIS3_PKS6_PS6_PKlS6_N6hipcub16HIPCUB_304000_NS6detail27convert_result_type_wrapperISA_SB_N2at6native12_GLOBAL__N_19CustomMinEEEEE10hipError_tPvRmT0_T1_jT2_SS_T4_T3_P12ihipStream_tbEUlT_E_NS1_11comp_targetILNS1_3genE3ELNS1_11target_archE908ELNS1_3gpuE7ELNS1_3repE0EEENS1_30default_config_static_selectorELNS0_4arch9wavefront6targetE0EEEvSR_
                                        ; -- End function
	.section	.AMDGPU.csdata,"",@progbits
; Kernel info:
; codeLenInByte = 0
; NumSgprs: 0
; NumVgprs: 0
; ScratchSize: 0
; MemoryBound: 0
; FloatMode: 240
; IeeeMode: 1
; LDSByteSize: 0 bytes/workgroup (compile time only)
; SGPRBlocks: 0
; VGPRBlocks: 0
; NumSGPRsForWavesPerEU: 1
; NumVGPRsForWavesPerEU: 1
; Occupancy: 16
; WaveLimiterHint : 0
; COMPUTE_PGM_RSRC2:SCRATCH_EN: 0
; COMPUTE_PGM_RSRC2:USER_SGPR: 15
; COMPUTE_PGM_RSRC2:TRAP_HANDLER: 0
; COMPUTE_PGM_RSRC2:TGID_X_EN: 1
; COMPUTE_PGM_RSRC2:TGID_Y_EN: 0
; COMPUTE_PGM_RSRC2:TGID_Z_EN: 0
; COMPUTE_PGM_RSRC2:TIDIG_COMP_CNT: 0
	.section	.text._ZN7rocprim17ROCPRIM_400000_NS6detail17trampoline_kernelINS0_14default_configENS1_32segmented_reduce_config_selectorIN3c108BFloat16EEEZNS1_21segmented_reduce_implIS3_PKS6_PS6_PKlS6_N6hipcub16HIPCUB_304000_NS6detail27convert_result_type_wrapperISA_SB_N2at6native12_GLOBAL__N_19CustomMinEEEEE10hipError_tPvRmT0_T1_jT2_SS_T4_T3_P12ihipStream_tbEUlT_E_NS1_11comp_targetILNS1_3genE2ELNS1_11target_archE906ELNS1_3gpuE6ELNS1_3repE0EEENS1_30default_config_static_selectorELNS0_4arch9wavefront6targetE0EEEvSR_,"axG",@progbits,_ZN7rocprim17ROCPRIM_400000_NS6detail17trampoline_kernelINS0_14default_configENS1_32segmented_reduce_config_selectorIN3c108BFloat16EEEZNS1_21segmented_reduce_implIS3_PKS6_PS6_PKlS6_N6hipcub16HIPCUB_304000_NS6detail27convert_result_type_wrapperISA_SB_N2at6native12_GLOBAL__N_19CustomMinEEEEE10hipError_tPvRmT0_T1_jT2_SS_T4_T3_P12ihipStream_tbEUlT_E_NS1_11comp_targetILNS1_3genE2ELNS1_11target_archE906ELNS1_3gpuE6ELNS1_3repE0EEENS1_30default_config_static_selectorELNS0_4arch9wavefront6targetE0EEEvSR_,comdat
	.globl	_ZN7rocprim17ROCPRIM_400000_NS6detail17trampoline_kernelINS0_14default_configENS1_32segmented_reduce_config_selectorIN3c108BFloat16EEEZNS1_21segmented_reduce_implIS3_PKS6_PS6_PKlS6_N6hipcub16HIPCUB_304000_NS6detail27convert_result_type_wrapperISA_SB_N2at6native12_GLOBAL__N_19CustomMinEEEEE10hipError_tPvRmT0_T1_jT2_SS_T4_T3_P12ihipStream_tbEUlT_E_NS1_11comp_targetILNS1_3genE2ELNS1_11target_archE906ELNS1_3gpuE6ELNS1_3repE0EEENS1_30default_config_static_selectorELNS0_4arch9wavefront6targetE0EEEvSR_ ; -- Begin function _ZN7rocprim17ROCPRIM_400000_NS6detail17trampoline_kernelINS0_14default_configENS1_32segmented_reduce_config_selectorIN3c108BFloat16EEEZNS1_21segmented_reduce_implIS3_PKS6_PS6_PKlS6_N6hipcub16HIPCUB_304000_NS6detail27convert_result_type_wrapperISA_SB_N2at6native12_GLOBAL__N_19CustomMinEEEEE10hipError_tPvRmT0_T1_jT2_SS_T4_T3_P12ihipStream_tbEUlT_E_NS1_11comp_targetILNS1_3genE2ELNS1_11target_archE906ELNS1_3gpuE6ELNS1_3repE0EEENS1_30default_config_static_selectorELNS0_4arch9wavefront6targetE0EEEvSR_
	.p2align	8
	.type	_ZN7rocprim17ROCPRIM_400000_NS6detail17trampoline_kernelINS0_14default_configENS1_32segmented_reduce_config_selectorIN3c108BFloat16EEEZNS1_21segmented_reduce_implIS3_PKS6_PS6_PKlS6_N6hipcub16HIPCUB_304000_NS6detail27convert_result_type_wrapperISA_SB_N2at6native12_GLOBAL__N_19CustomMinEEEEE10hipError_tPvRmT0_T1_jT2_SS_T4_T3_P12ihipStream_tbEUlT_E_NS1_11comp_targetILNS1_3genE2ELNS1_11target_archE906ELNS1_3gpuE6ELNS1_3repE0EEENS1_30default_config_static_selectorELNS0_4arch9wavefront6targetE0EEEvSR_,@function
_ZN7rocprim17ROCPRIM_400000_NS6detail17trampoline_kernelINS0_14default_configENS1_32segmented_reduce_config_selectorIN3c108BFloat16EEEZNS1_21segmented_reduce_implIS3_PKS6_PS6_PKlS6_N6hipcub16HIPCUB_304000_NS6detail27convert_result_type_wrapperISA_SB_N2at6native12_GLOBAL__N_19CustomMinEEEEE10hipError_tPvRmT0_T1_jT2_SS_T4_T3_P12ihipStream_tbEUlT_E_NS1_11comp_targetILNS1_3genE2ELNS1_11target_archE906ELNS1_3gpuE6ELNS1_3repE0EEENS1_30default_config_static_selectorELNS0_4arch9wavefront6targetE0EEEvSR_: ; @_ZN7rocprim17ROCPRIM_400000_NS6detail17trampoline_kernelINS0_14default_configENS1_32segmented_reduce_config_selectorIN3c108BFloat16EEEZNS1_21segmented_reduce_implIS3_PKS6_PS6_PKlS6_N6hipcub16HIPCUB_304000_NS6detail27convert_result_type_wrapperISA_SB_N2at6native12_GLOBAL__N_19CustomMinEEEEE10hipError_tPvRmT0_T1_jT2_SS_T4_T3_P12ihipStream_tbEUlT_E_NS1_11comp_targetILNS1_3genE2ELNS1_11target_archE906ELNS1_3gpuE6ELNS1_3repE0EEENS1_30default_config_static_selectorELNS0_4arch9wavefront6targetE0EEEvSR_
; %bb.0:
	.section	.rodata,"a",@progbits
	.p2align	6, 0x0
	.amdhsa_kernel _ZN7rocprim17ROCPRIM_400000_NS6detail17trampoline_kernelINS0_14default_configENS1_32segmented_reduce_config_selectorIN3c108BFloat16EEEZNS1_21segmented_reduce_implIS3_PKS6_PS6_PKlS6_N6hipcub16HIPCUB_304000_NS6detail27convert_result_type_wrapperISA_SB_N2at6native12_GLOBAL__N_19CustomMinEEEEE10hipError_tPvRmT0_T1_jT2_SS_T4_T3_P12ihipStream_tbEUlT_E_NS1_11comp_targetILNS1_3genE2ELNS1_11target_archE906ELNS1_3gpuE6ELNS1_3repE0EEENS1_30default_config_static_selectorELNS0_4arch9wavefront6targetE0EEEvSR_
		.amdhsa_group_segment_fixed_size 0
		.amdhsa_private_segment_fixed_size 0
		.amdhsa_kernarg_size 48
		.amdhsa_user_sgpr_count 15
		.amdhsa_user_sgpr_dispatch_ptr 0
		.amdhsa_user_sgpr_queue_ptr 0
		.amdhsa_user_sgpr_kernarg_segment_ptr 1
		.amdhsa_user_sgpr_dispatch_id 0
		.amdhsa_user_sgpr_private_segment_size 0
		.amdhsa_wavefront_size32 1
		.amdhsa_uses_dynamic_stack 0
		.amdhsa_enable_private_segment 0
		.amdhsa_system_sgpr_workgroup_id_x 1
		.amdhsa_system_sgpr_workgroup_id_y 0
		.amdhsa_system_sgpr_workgroup_id_z 0
		.amdhsa_system_sgpr_workgroup_info 0
		.amdhsa_system_vgpr_workitem_id 0
		.amdhsa_next_free_vgpr 1
		.amdhsa_next_free_sgpr 1
		.amdhsa_reserve_vcc 0
		.amdhsa_float_round_mode_32 0
		.amdhsa_float_round_mode_16_64 0
		.amdhsa_float_denorm_mode_32 3
		.amdhsa_float_denorm_mode_16_64 3
		.amdhsa_dx10_clamp 1
		.amdhsa_ieee_mode 1
		.amdhsa_fp16_overflow 0
		.amdhsa_workgroup_processor_mode 1
		.amdhsa_memory_ordered 1
		.amdhsa_forward_progress 0
		.amdhsa_shared_vgpr_count 0
		.amdhsa_exception_fp_ieee_invalid_op 0
		.amdhsa_exception_fp_denorm_src 0
		.amdhsa_exception_fp_ieee_div_zero 0
		.amdhsa_exception_fp_ieee_overflow 0
		.amdhsa_exception_fp_ieee_underflow 0
		.amdhsa_exception_fp_ieee_inexact 0
		.amdhsa_exception_int_div_zero 0
	.end_amdhsa_kernel
	.section	.text._ZN7rocprim17ROCPRIM_400000_NS6detail17trampoline_kernelINS0_14default_configENS1_32segmented_reduce_config_selectorIN3c108BFloat16EEEZNS1_21segmented_reduce_implIS3_PKS6_PS6_PKlS6_N6hipcub16HIPCUB_304000_NS6detail27convert_result_type_wrapperISA_SB_N2at6native12_GLOBAL__N_19CustomMinEEEEE10hipError_tPvRmT0_T1_jT2_SS_T4_T3_P12ihipStream_tbEUlT_E_NS1_11comp_targetILNS1_3genE2ELNS1_11target_archE906ELNS1_3gpuE6ELNS1_3repE0EEENS1_30default_config_static_selectorELNS0_4arch9wavefront6targetE0EEEvSR_,"axG",@progbits,_ZN7rocprim17ROCPRIM_400000_NS6detail17trampoline_kernelINS0_14default_configENS1_32segmented_reduce_config_selectorIN3c108BFloat16EEEZNS1_21segmented_reduce_implIS3_PKS6_PS6_PKlS6_N6hipcub16HIPCUB_304000_NS6detail27convert_result_type_wrapperISA_SB_N2at6native12_GLOBAL__N_19CustomMinEEEEE10hipError_tPvRmT0_T1_jT2_SS_T4_T3_P12ihipStream_tbEUlT_E_NS1_11comp_targetILNS1_3genE2ELNS1_11target_archE906ELNS1_3gpuE6ELNS1_3repE0EEENS1_30default_config_static_selectorELNS0_4arch9wavefront6targetE0EEEvSR_,comdat
.Lfunc_end269:
	.size	_ZN7rocprim17ROCPRIM_400000_NS6detail17trampoline_kernelINS0_14default_configENS1_32segmented_reduce_config_selectorIN3c108BFloat16EEEZNS1_21segmented_reduce_implIS3_PKS6_PS6_PKlS6_N6hipcub16HIPCUB_304000_NS6detail27convert_result_type_wrapperISA_SB_N2at6native12_GLOBAL__N_19CustomMinEEEEE10hipError_tPvRmT0_T1_jT2_SS_T4_T3_P12ihipStream_tbEUlT_E_NS1_11comp_targetILNS1_3genE2ELNS1_11target_archE906ELNS1_3gpuE6ELNS1_3repE0EEENS1_30default_config_static_selectorELNS0_4arch9wavefront6targetE0EEEvSR_, .Lfunc_end269-_ZN7rocprim17ROCPRIM_400000_NS6detail17trampoline_kernelINS0_14default_configENS1_32segmented_reduce_config_selectorIN3c108BFloat16EEEZNS1_21segmented_reduce_implIS3_PKS6_PS6_PKlS6_N6hipcub16HIPCUB_304000_NS6detail27convert_result_type_wrapperISA_SB_N2at6native12_GLOBAL__N_19CustomMinEEEEE10hipError_tPvRmT0_T1_jT2_SS_T4_T3_P12ihipStream_tbEUlT_E_NS1_11comp_targetILNS1_3genE2ELNS1_11target_archE906ELNS1_3gpuE6ELNS1_3repE0EEENS1_30default_config_static_selectorELNS0_4arch9wavefront6targetE0EEEvSR_
                                        ; -- End function
	.section	.AMDGPU.csdata,"",@progbits
; Kernel info:
; codeLenInByte = 0
; NumSgprs: 0
; NumVgprs: 0
; ScratchSize: 0
; MemoryBound: 0
; FloatMode: 240
; IeeeMode: 1
; LDSByteSize: 0 bytes/workgroup (compile time only)
; SGPRBlocks: 0
; VGPRBlocks: 0
; NumSGPRsForWavesPerEU: 1
; NumVGPRsForWavesPerEU: 1
; Occupancy: 16
; WaveLimiterHint : 0
; COMPUTE_PGM_RSRC2:SCRATCH_EN: 0
; COMPUTE_PGM_RSRC2:USER_SGPR: 15
; COMPUTE_PGM_RSRC2:TRAP_HANDLER: 0
; COMPUTE_PGM_RSRC2:TGID_X_EN: 1
; COMPUTE_PGM_RSRC2:TGID_Y_EN: 0
; COMPUTE_PGM_RSRC2:TGID_Z_EN: 0
; COMPUTE_PGM_RSRC2:TIDIG_COMP_CNT: 0
	.section	.text._ZN7rocprim17ROCPRIM_400000_NS6detail17trampoline_kernelINS0_14default_configENS1_32segmented_reduce_config_selectorIN3c108BFloat16EEEZNS1_21segmented_reduce_implIS3_PKS6_PS6_PKlS6_N6hipcub16HIPCUB_304000_NS6detail27convert_result_type_wrapperISA_SB_N2at6native12_GLOBAL__N_19CustomMinEEEEE10hipError_tPvRmT0_T1_jT2_SS_T4_T3_P12ihipStream_tbEUlT_E_NS1_11comp_targetILNS1_3genE9ELNS1_11target_archE1100ELNS1_3gpuE3ELNS1_3repE0EEENS1_30default_config_static_selectorELNS0_4arch9wavefront6targetE0EEEvSR_,"axG",@progbits,_ZN7rocprim17ROCPRIM_400000_NS6detail17trampoline_kernelINS0_14default_configENS1_32segmented_reduce_config_selectorIN3c108BFloat16EEEZNS1_21segmented_reduce_implIS3_PKS6_PS6_PKlS6_N6hipcub16HIPCUB_304000_NS6detail27convert_result_type_wrapperISA_SB_N2at6native12_GLOBAL__N_19CustomMinEEEEE10hipError_tPvRmT0_T1_jT2_SS_T4_T3_P12ihipStream_tbEUlT_E_NS1_11comp_targetILNS1_3genE9ELNS1_11target_archE1100ELNS1_3gpuE3ELNS1_3repE0EEENS1_30default_config_static_selectorELNS0_4arch9wavefront6targetE0EEEvSR_,comdat
	.globl	_ZN7rocprim17ROCPRIM_400000_NS6detail17trampoline_kernelINS0_14default_configENS1_32segmented_reduce_config_selectorIN3c108BFloat16EEEZNS1_21segmented_reduce_implIS3_PKS6_PS6_PKlS6_N6hipcub16HIPCUB_304000_NS6detail27convert_result_type_wrapperISA_SB_N2at6native12_GLOBAL__N_19CustomMinEEEEE10hipError_tPvRmT0_T1_jT2_SS_T4_T3_P12ihipStream_tbEUlT_E_NS1_11comp_targetILNS1_3genE9ELNS1_11target_archE1100ELNS1_3gpuE3ELNS1_3repE0EEENS1_30default_config_static_selectorELNS0_4arch9wavefront6targetE0EEEvSR_ ; -- Begin function _ZN7rocprim17ROCPRIM_400000_NS6detail17trampoline_kernelINS0_14default_configENS1_32segmented_reduce_config_selectorIN3c108BFloat16EEEZNS1_21segmented_reduce_implIS3_PKS6_PS6_PKlS6_N6hipcub16HIPCUB_304000_NS6detail27convert_result_type_wrapperISA_SB_N2at6native12_GLOBAL__N_19CustomMinEEEEE10hipError_tPvRmT0_T1_jT2_SS_T4_T3_P12ihipStream_tbEUlT_E_NS1_11comp_targetILNS1_3genE9ELNS1_11target_archE1100ELNS1_3gpuE3ELNS1_3repE0EEENS1_30default_config_static_selectorELNS0_4arch9wavefront6targetE0EEEvSR_
	.p2align	8
	.type	_ZN7rocprim17ROCPRIM_400000_NS6detail17trampoline_kernelINS0_14default_configENS1_32segmented_reduce_config_selectorIN3c108BFloat16EEEZNS1_21segmented_reduce_implIS3_PKS6_PS6_PKlS6_N6hipcub16HIPCUB_304000_NS6detail27convert_result_type_wrapperISA_SB_N2at6native12_GLOBAL__N_19CustomMinEEEEE10hipError_tPvRmT0_T1_jT2_SS_T4_T3_P12ihipStream_tbEUlT_E_NS1_11comp_targetILNS1_3genE9ELNS1_11target_archE1100ELNS1_3gpuE3ELNS1_3repE0EEENS1_30default_config_static_selectorELNS0_4arch9wavefront6targetE0EEEvSR_,@function
_ZN7rocprim17ROCPRIM_400000_NS6detail17trampoline_kernelINS0_14default_configENS1_32segmented_reduce_config_selectorIN3c108BFloat16EEEZNS1_21segmented_reduce_implIS3_PKS6_PS6_PKlS6_N6hipcub16HIPCUB_304000_NS6detail27convert_result_type_wrapperISA_SB_N2at6native12_GLOBAL__N_19CustomMinEEEEE10hipError_tPvRmT0_T1_jT2_SS_T4_T3_P12ihipStream_tbEUlT_E_NS1_11comp_targetILNS1_3genE9ELNS1_11target_archE1100ELNS1_3gpuE3ELNS1_3repE0EEENS1_30default_config_static_selectorELNS0_4arch9wavefront6targetE0EEEvSR_: ; @_ZN7rocprim17ROCPRIM_400000_NS6detail17trampoline_kernelINS0_14default_configENS1_32segmented_reduce_config_selectorIN3c108BFloat16EEEZNS1_21segmented_reduce_implIS3_PKS6_PS6_PKlS6_N6hipcub16HIPCUB_304000_NS6detail27convert_result_type_wrapperISA_SB_N2at6native12_GLOBAL__N_19CustomMinEEEEE10hipError_tPvRmT0_T1_jT2_SS_T4_T3_P12ihipStream_tbEUlT_E_NS1_11comp_targetILNS1_3genE9ELNS1_11target_archE1100ELNS1_3gpuE3ELNS1_3repE0EEENS1_30default_config_static_selectorELNS0_4arch9wavefront6targetE0EEEvSR_
; %bb.0:
	s_clause 0x2
	s_load_b256 s[16:23], s[0:1], 0x0
	s_load_b32 s4, s[0:1], 0x28
	s_load_b64 s[0:1], s[0:1], 0x20
	s_mov_b32 s24, s15
	s_mov_b32 s25, 0
	s_waitcnt lgkmcnt(0)
	s_lshl_b64 s[2:3], s[20:21], 3
	s_lshr_b32 s15, s4, 16
	s_add_u32 s4, s22, s2
	s_addc_u32 s5, s23, s3
	s_add_u32 s6, s0, s2
	s_addc_u32 s7, s1, s3
	s_lshl_b64 s[0:1], s[24:25], 3
	s_delay_alu instid0(SALU_CYCLE_1)
	s_add_u32 s2, s4, s0
	s_addc_u32 s3, s5, s1
	s_add_u32 s0, s6, s0
	s_addc_u32 s1, s7, s1
	s_load_b64 s[26:27], s[2:3], 0x0
	s_load_b64 s[22:23], s[0:1], 0x0
	s_waitcnt lgkmcnt(0)
	v_cmp_gt_i64_e64 s0, s[22:23], s[26:27]
	s_delay_alu instid0(VALU_DEP_1)
	s_and_b32 vcc_lo, exec_lo, s0
	v_cmp_eq_u32_e64 s0, 0, v0
	s_cbranch_vccnz .LBB270_3
; %bb.1:
	s_delay_alu instid0(VALU_DEP_1)
	s_and_b32 s30, s0, exec_lo
	s_cbranch_execz .LBB270_4
; %bb.2:
	v_mov_b32_e32 v1, s15
	s_and_saveexec_b32 s0, s30
	s_cbranch_execnz .LBB270_409
	s_branch .LBB270_410
.LBB270_3:
	s_mov_b32 s30, s25
.LBB270_4:
	s_add_u32 s0, s26, 0x1000
	s_addc_u32 s1, s27, 0
	s_delay_alu instid0(SALU_CYCLE_1) | instskip(NEXT) | instid1(VALU_DEP_1)
	v_cmp_le_i64_e64 s2, s[0:1], s[22:23]
	s_and_b32 vcc_lo, exec_lo, s2
	s_cbranch_vccz .LBB270_133
; %bb.5:
	v_lshlrev_b32_e32 v20, 1, v0
	s_lshl_b64 s[2:3], s[26:27], 1
	s_delay_alu instid0(SALU_CYCLE_1) | instskip(SKIP_1) | instid1(VALU_DEP_1)
	s_add_u32 s4, s16, s2
	s_addc_u32 s5, s17, s3
	v_add_co_u32 v1, s6, s4, v20
	s_delay_alu instid0(VALU_DEP_1) | instskip(NEXT) | instid1(VALU_DEP_2)
	v_add_co_ci_u32_e64 v2, null, s5, 0, s6
	v_add_co_u32 v1, vcc_lo, 0x1000, v1
	s_delay_alu instid0(VALU_DEP_2)
	v_add_co_ci_u32_e32 v2, vcc_lo, 0, v2, vcc_lo
	s_clause 0xf
	global_load_u16 v19, v20, s[4:5]
	global_load_u16 v18, v20, s[4:5] offset:512
	global_load_u16 v17, v20, s[4:5] offset:1024
	;; [unrolled: 1-line block ×7, first 2 shown]
	global_load_u16 v10, v[1:2], off
	global_load_u16 v9, v[1:2], off offset:512
	global_load_u16 v8, v[1:2], off offset:1024
	;; [unrolled: 1-line block ×7, first 2 shown]
	s_mov_b32 s4, exec_lo
	s_waitcnt vmcnt(15)
	v_mov_b32_e32 v11, v19
	v_lshlrev_b32_e32 v1, 16, v19
	s_delay_alu instid0(VALU_DEP_1)
	v_cmpx_o_f32_e32 v1, v1
	s_cbranch_execz .LBB270_9
; %bb.6:
	s_waitcnt vmcnt(14)
	v_dual_mov_b32 v11, v18 :: v_dual_lshlrev_b32 v2, 16, v18
	s_mov_b32 s5, exec_lo
	s_delay_alu instid0(VALU_DEP_1)
	v_cmpx_o_f32_e32 v2, v2
; %bb.7:
	v_cmp_lt_f32_e32 vcc_lo, v2, v1
	v_cndmask_b32_e32 v11, v19, v18, vcc_lo
	s_delay_alu instid0(VALU_DEP_1)
	v_lshlrev_b32_e32 v2, 16, v11
; %bb.8:
	s_or_b32 exec_lo, exec_lo, s5
	s_delay_alu instid0(VALU_DEP_1)
	v_mov_b32_e32 v1, v2
.LBB270_9:
	s_or_b32 exec_lo, exec_lo, s4
	s_delay_alu instid0(SALU_CYCLE_1) | instskip(NEXT) | instid1(VALU_DEP_1)
	s_mov_b32 s4, exec_lo
	v_cmpx_o_f32_e32 v1, v1
	s_cbranch_execz .LBB270_13
; %bb.10:
	s_waitcnt vmcnt(13)
	v_dual_mov_b32 v21, v17 :: v_dual_lshlrev_b32 v2, 16, v17
	s_mov_b32 s5, exec_lo
	s_delay_alu instid0(VALU_DEP_1)
	v_cmpx_o_f32_e32 v2, v2
; %bb.11:
	v_cmp_gt_f32_e32 vcc_lo, v1, v2
	v_cndmask_b32_e32 v21, v11, v17, vcc_lo
	s_delay_alu instid0(VALU_DEP_1)
	v_lshlrev_b32_e32 v2, 16, v21
; %bb.12:
	s_or_b32 exec_lo, exec_lo, s5
	s_delay_alu instid0(VALU_DEP_1)
	v_mov_b32_e32 v1, v2
	v_mov_b32_e32 v11, v21
.LBB270_13:
	s_or_b32 exec_lo, exec_lo, s4
	s_delay_alu instid0(SALU_CYCLE_1) | instskip(NEXT) | instid1(VALU_DEP_2)
	s_mov_b32 s4, exec_lo
	v_cmpx_o_f32_e32 v1, v1
	s_cbranch_execz .LBB270_17
; %bb.14:
	s_waitcnt vmcnt(12)
	v_dual_mov_b32 v21, v16 :: v_dual_lshlrev_b32 v2, 16, v16
	s_mov_b32 s5, exec_lo
	s_delay_alu instid0(VALU_DEP_1)
	v_cmpx_o_f32_e32 v2, v2
; %bb.15:
	v_cmp_gt_f32_e32 vcc_lo, v1, v2
	v_cndmask_b32_e32 v21, v11, v16, vcc_lo
	s_delay_alu instid0(VALU_DEP_1)
	v_lshlrev_b32_e32 v2, 16, v21
; %bb.16:
	s_or_b32 exec_lo, exec_lo, s5
	s_delay_alu instid0(VALU_DEP_1)
	v_mov_b32_e32 v1, v2
	v_mov_b32_e32 v11, v21
.LBB270_17:
	s_or_b32 exec_lo, exec_lo, s4
	s_delay_alu instid0(SALU_CYCLE_1) | instskip(NEXT) | instid1(VALU_DEP_2)
	;; [unrolled: 22-line block ×13, first 2 shown]
	s_mov_b32 s4, exec_lo
	v_cmpx_o_f32_e32 v1, v1
	s_cbranch_execz .LBB270_65
; %bb.62:
	s_waitcnt vmcnt(0)
	v_dual_mov_b32 v2, v3 :: v_dual_lshlrev_b32 v21, 16, v3
	s_mov_b32 s5, exec_lo
	s_delay_alu instid0(VALU_DEP_1)
	v_cmpx_o_f32_e32 v21, v21
; %bb.63:
	v_cmp_gt_f32_e32 vcc_lo, v1, v21
	v_cndmask_b32_e32 v2, v11, v3, vcc_lo
; %bb.64:
	s_or_b32 exec_lo, exec_lo, s5
	s_delay_alu instid0(VALU_DEP_1)
	v_mov_b32_e32 v11, v2
.LBB270_65:
	s_or_b32 exec_lo, exec_lo, s4
	s_add_u32 s4, s26, 0x2000
	s_addc_u32 s5, s27, 0
	s_delay_alu instid0(SALU_CYCLE_1) | instskip(NEXT) | instid1(VALU_DEP_1)
	v_cmp_ge_i64_e64 s4, s[4:5], s[22:23]
	s_and_b32 vcc_lo, exec_lo, s4
	s_cbranch_vccnz .LBB270_134
; %bb.66:
	s_add_u32 s2, s16, s2
	s_addc_u32 s3, s17, s3
	v_add_co_u32 v1, s2, s2, v20
	s_delay_alu instid0(VALU_DEP_1) | instskip(NEXT) | instid1(VALU_DEP_2)
	v_add_co_ci_u32_e64 v2, null, s3, 0, s2
	v_add_co_u32 v1, vcc_lo, 0x2000, v1
	s_delay_alu instid0(VALU_DEP_2)
	v_add_co_ci_u32_e32 v2, vcc_lo, 0, v2, vcc_lo
.LBB270_67:                             ; =>This Inner Loop Header: Depth=1
	s_delay_alu instid0(VALU_DEP_2) | instskip(NEXT) | instid1(VALU_DEP_2)
	v_add_co_u32 v21, vcc_lo, 0x1000, v1
	v_add_co_ci_u32_e32 v22, vcc_lo, 0, v2, vcc_lo
	s_clause 0xf
	global_load_u16 v19, v[1:2], off
	global_load_u16 v18, v[1:2], off offset:512
	global_load_u16 v17, v[1:2], off offset:1024
	;; [unrolled: 1-line block ×7, first 2 shown]
	global_load_u16 v10, v[21:22], off
	global_load_u16 v9, v[21:22], off offset:512
	global_load_u16 v8, v[21:22], off offset:1024
	;; [unrolled: 1-line block ×7, first 2 shown]
	v_lshlrev_b32_e32 v21, 16, v11
	s_mov_b32 s2, exec_lo
	s_delay_alu instid0(VALU_DEP_1)
	v_cmpx_o_f32_e32 v21, v21
	s_cbranch_execz .LBB270_71
; %bb.68:                               ;   in Loop: Header=BB270_67 Depth=1
	s_waitcnt vmcnt(15)
	v_dual_mov_b32 v23, v19 :: v_dual_lshlrev_b32 v22, 16, v19
	s_mov_b32 s3, exec_lo
	s_delay_alu instid0(VALU_DEP_1)
	v_cmpx_o_f32_e32 v22, v22
; %bb.69:                               ;   in Loop: Header=BB270_67 Depth=1
	v_cmp_lt_f32_e32 vcc_lo, v22, v21
	v_cndmask_b32_e32 v23, v11, v19, vcc_lo
	s_delay_alu instid0(VALU_DEP_1)
	v_lshlrev_b32_e32 v22, 16, v23
; %bb.70:                               ;   in Loop: Header=BB270_67 Depth=1
	s_or_b32 exec_lo, exec_lo, s3
	s_delay_alu instid0(VALU_DEP_1)
	v_mov_b32_e32 v21, v22
	v_mov_b32_e32 v11, v23
.LBB270_71:                             ;   in Loop: Header=BB270_67 Depth=1
	s_or_b32 exec_lo, exec_lo, s2
	s_delay_alu instid0(SALU_CYCLE_1) | instskip(NEXT) | instid1(VALU_DEP_2)
	s_mov_b32 s2, exec_lo
	v_cmpx_o_f32_e32 v21, v21
	s_cbranch_execz .LBB270_75
; %bb.72:                               ;   in Loop: Header=BB270_67 Depth=1
	s_waitcnt vmcnt(14)
	v_dual_mov_b32 v23, v18 :: v_dual_lshlrev_b32 v22, 16, v18
	s_mov_b32 s3, exec_lo
	s_delay_alu instid0(VALU_DEP_1)
	v_cmpx_o_f32_e32 v22, v22
; %bb.73:                               ;   in Loop: Header=BB270_67 Depth=1
	v_cmp_gt_f32_e32 vcc_lo, v21, v22
	v_cndmask_b32_e32 v23, v11, v18, vcc_lo
	s_delay_alu instid0(VALU_DEP_1)
	v_lshlrev_b32_e32 v22, 16, v23
; %bb.74:                               ;   in Loop: Header=BB270_67 Depth=1
	s_or_b32 exec_lo, exec_lo, s3
	s_delay_alu instid0(VALU_DEP_1)
	v_mov_b32_e32 v21, v22
	v_mov_b32_e32 v11, v23
.LBB270_75:                             ;   in Loop: Header=BB270_67 Depth=1
	s_or_b32 exec_lo, exec_lo, s2
	s_delay_alu instid0(SALU_CYCLE_1) | instskip(NEXT) | instid1(VALU_DEP_2)
	s_mov_b32 s2, exec_lo
	v_cmpx_o_f32_e32 v21, v21
	s_cbranch_execz .LBB270_79
; %bb.76:                               ;   in Loop: Header=BB270_67 Depth=1
	s_waitcnt vmcnt(13)
	v_dual_mov_b32 v23, v17 :: v_dual_lshlrev_b32 v22, 16, v17
	s_mov_b32 s3, exec_lo
	s_delay_alu instid0(VALU_DEP_1)
	v_cmpx_o_f32_e32 v22, v22
; %bb.77:                               ;   in Loop: Header=BB270_67 Depth=1
	v_cmp_gt_f32_e32 vcc_lo, v21, v22
	v_cndmask_b32_e32 v23, v11, v17, vcc_lo
	s_delay_alu instid0(VALU_DEP_1)
	v_lshlrev_b32_e32 v22, 16, v23
; %bb.78:                               ;   in Loop: Header=BB270_67 Depth=1
	s_or_b32 exec_lo, exec_lo, s3
	s_delay_alu instid0(VALU_DEP_1)
	v_mov_b32_e32 v21, v22
	v_mov_b32_e32 v11, v23
.LBB270_79:                             ;   in Loop: Header=BB270_67 Depth=1
	;; [unrolled: 22-line block ×7, first 2 shown]
	s_or_b32 exec_lo, exec_lo, s2
	s_delay_alu instid0(SALU_CYCLE_1) | instskip(NEXT) | instid1(VALU_DEP_2)
	s_mov_b32 s2, exec_lo
	v_cmpx_o_f32_e32 v21, v21
	s_cbranch_execz .LBB270_103
; %bb.100:                              ;   in Loop: Header=BB270_67 Depth=1
	s_waitcnt vmcnt(7)
	v_dual_mov_b32 v23, v10 :: v_dual_lshlrev_b32 v22, 16, v10
	s_mov_b32 s3, exec_lo
	s_delay_alu instid0(VALU_DEP_1)
	v_cmpx_o_f32_e32 v22, v22
; %bb.101:                              ;   in Loop: Header=BB270_67 Depth=1
	v_cmp_gt_f32_e32 vcc_lo, v21, v22
	v_cndmask_b32_e32 v23, v11, v10, vcc_lo
	s_delay_alu instid0(VALU_DEP_1)
	v_lshlrev_b32_e32 v22, 16, v23
; %bb.102:                              ;   in Loop: Header=BB270_67 Depth=1
	s_or_b32 exec_lo, exec_lo, s3
	s_delay_alu instid0(VALU_DEP_1)
	v_mov_b32_e32 v21, v22
	v_mov_b32_e32 v11, v23
.LBB270_103:                            ;   in Loop: Header=BB270_67 Depth=1
	s_or_b32 exec_lo, exec_lo, s2
	s_delay_alu instid0(SALU_CYCLE_1) | instskip(NEXT) | instid1(VALU_DEP_2)
	s_mov_b32 s2, exec_lo
	v_cmpx_o_f32_e32 v21, v21
	s_cbranch_execz .LBB270_107
; %bb.104:                              ;   in Loop: Header=BB270_67 Depth=1
	s_waitcnt vmcnt(6)
	v_dual_mov_b32 v23, v9 :: v_dual_lshlrev_b32 v22, 16, v9
	s_mov_b32 s3, exec_lo
	s_delay_alu instid0(VALU_DEP_1)
	v_cmpx_o_f32_e32 v22, v22
; %bb.105:                              ;   in Loop: Header=BB270_67 Depth=1
	v_cmp_gt_f32_e32 vcc_lo, v21, v22
	v_cndmask_b32_e32 v23, v11, v9, vcc_lo
	s_delay_alu instid0(VALU_DEP_1)
	v_lshlrev_b32_e32 v22, 16, v23
; %bb.106:                              ;   in Loop: Header=BB270_67 Depth=1
	s_or_b32 exec_lo, exec_lo, s3
	s_delay_alu instid0(VALU_DEP_1)
	v_mov_b32_e32 v21, v22
	v_mov_b32_e32 v11, v23
.LBB270_107:                            ;   in Loop: Header=BB270_67 Depth=1
	;; [unrolled: 22-line block ×7, first 2 shown]
	s_or_b32 exec_lo, exec_lo, s2
	s_delay_alu instid0(SALU_CYCLE_1) | instskip(NEXT) | instid1(VALU_DEP_2)
	s_mov_b32 s2, exec_lo
	v_cmpx_o_f32_e32 v21, v21
	s_cbranch_execz .LBB270_131
; %bb.128:                              ;   in Loop: Header=BB270_67 Depth=1
	s_waitcnt vmcnt(0)
	v_dual_mov_b32 v22, v3 :: v_dual_lshlrev_b32 v23, 16, v3
	s_mov_b32 s3, exec_lo
	s_delay_alu instid0(VALU_DEP_1)
	v_cmpx_o_f32_e32 v23, v23
; %bb.129:                              ;   in Loop: Header=BB270_67 Depth=1
	v_cmp_gt_f32_e32 vcc_lo, v21, v23
	v_cndmask_b32_e32 v22, v11, v3, vcc_lo
; %bb.130:                              ;   in Loop: Header=BB270_67 Depth=1
	s_or_b32 exec_lo, exec_lo, s3
	s_delay_alu instid0(VALU_DEP_1)
	v_mov_b32_e32 v11, v22
.LBB270_131:                            ;   in Loop: Header=BB270_67 Depth=1
	s_or_b32 exec_lo, exec_lo, s2
	s_add_u32 s2, s0, 0x1000
	s_addc_u32 s3, s1, 0
	s_add_u32 s0, s0, 0x2000
	s_addc_u32 s1, s1, 0
	v_add_co_u32 v1, vcc_lo, 0x2000, v1
	v_cmp_lt_i64_e64 s0, s[0:1], s[22:23]
	v_add_co_ci_u32_e32 v2, vcc_lo, 0, v2, vcc_lo
	s_delay_alu instid0(VALU_DEP_2)
	s_and_b32 vcc_lo, exec_lo, s0
	s_cbranch_vccz .LBB270_135
; %bb.132:                              ;   in Loop: Header=BB270_67 Depth=1
	s_mov_b64 s[0:1], s[2:3]
	s_branch .LBB270_67
.LBB270_133:
                                        ; implicit-def: $vgpr2
	s_cbranch_execnz .LBB270_300
	s_branch .LBB270_402
.LBB270_134:
	s_mov_b64 s[2:3], s[0:1]
.LBB270_135:
	s_delay_alu instid0(SALU_CYCLE_1) | instskip(SKIP_4) | instid1(VALU_DEP_1)
	s_sub_i32 s31, s22, s2
	s_lshl_b64 s[0:1], s[2:3], 1
	v_cmp_gt_u32_e64 s14, s31, v0
	s_add_u32 s28, s16, s0
	s_addc_u32 s29, s17, s1
	s_and_saveexec_b32 s0, s14
	s_cbranch_execz .LBB270_137
; %bb.136:
	global_load_u16 v19, v20, s[28:29]
.LBB270_137:
	s_or_b32 exec_lo, exec_lo, s0
	v_or_b32_e32 v1, 0x100, v0
	s_delay_alu instid0(VALU_DEP_1) | instskip(NEXT) | instid1(VALU_DEP_1)
	v_cmp_gt_u32_e64 s13, s31, v1
	s_and_saveexec_b32 s0, s13
	s_cbranch_execz .LBB270_139
; %bb.138:
	global_load_u16 v18, v20, s[28:29] offset:512
.LBB270_139:
	s_or_b32 exec_lo, exec_lo, s0
	v_or_b32_e32 v1, 0x200, v0
	s_delay_alu instid0(VALU_DEP_1) | instskip(NEXT) | instid1(VALU_DEP_1)
	v_cmp_gt_u32_e64 s12, s31, v1
	s_and_saveexec_b32 s0, s12
	s_cbranch_execz .LBB270_141
; %bb.140:
	global_load_u16 v17, v20, s[28:29] offset:1024
.LBB270_141:
	;; [unrolled: 9-line block ×7, first 2 shown]
	s_or_b32 exec_lo, exec_lo, s0
	v_or_b32_e32 v1, 0x800, v0
	s_delay_alu instid0(VALU_DEP_1) | instskip(NEXT) | instid1(VALU_DEP_1)
	v_cmp_gt_u32_e64 s6, s31, v1
	s_and_saveexec_b32 s0, s6
	s_cbranch_execz .LBB270_153
; %bb.152:
	v_lshlrev_b32_e32 v1, 1, v1
	global_load_u16 v10, v1, s[28:29]
.LBB270_153:
	s_or_b32 exec_lo, exec_lo, s0
	v_or_b32_e32 v1, 0x900, v0
	s_delay_alu instid0(VALU_DEP_1) | instskip(NEXT) | instid1(VALU_DEP_1)
	v_cmp_gt_u32_e64 s5, s31, v1
	s_and_saveexec_b32 s0, s5
	s_cbranch_execz .LBB270_155
; %bb.154:
	v_lshlrev_b32_e32 v1, 1, v1
	global_load_u16 v9, v1, s[28:29]
.LBB270_155:
	;; [unrolled: 10-line block ×7, first 2 shown]
	s_or_b32 exec_lo, exec_lo, s33
	v_or_b32_e32 v1, 0xf00, v0
	s_delay_alu instid0(VALU_DEP_1)
	v_cmp_gt_u32_e32 vcc_lo, s31, v1
	s_and_saveexec_b32 s31, vcc_lo
	s_cbranch_execnz .LBB270_182
; %bb.166:
	s_or_b32 exec_lo, exec_lo, s31
	s_and_saveexec_b32 s28, s14
	s_cbranch_execnz .LBB270_183
.LBB270_167:
	s_or_b32 exec_lo, exec_lo, s28
	s_and_saveexec_b32 s14, s13
	s_cbranch_execnz .LBB270_188
.LBB270_168:
	s_or_b32 exec_lo, exec_lo, s14
	s_and_saveexec_b32 s13, s12
	s_cbranch_execnz .LBB270_193
.LBB270_169:
	s_or_b32 exec_lo, exec_lo, s13
	s_and_saveexec_b32 s12, s11
	s_cbranch_execnz .LBB270_198
.LBB270_170:
	s_or_b32 exec_lo, exec_lo, s12
	s_and_saveexec_b32 s11, s10
	s_cbranch_execnz .LBB270_203
.LBB270_171:
	s_or_b32 exec_lo, exec_lo, s11
	s_and_saveexec_b32 s10, s9
	s_cbranch_execnz .LBB270_208
.LBB270_172:
	s_or_b32 exec_lo, exec_lo, s10
	s_and_saveexec_b32 s9, s8
	s_cbranch_execnz .LBB270_213
.LBB270_173:
	s_or_b32 exec_lo, exec_lo, s9
	s_and_saveexec_b32 s8, s7
	s_cbranch_execnz .LBB270_218
.LBB270_174:
	s_or_b32 exec_lo, exec_lo, s8
	s_and_saveexec_b32 s7, s6
	s_cbranch_execnz .LBB270_223
.LBB270_175:
	s_or_b32 exec_lo, exec_lo, s7
	s_and_saveexec_b32 s6, s5
	s_cbranch_execnz .LBB270_228
.LBB270_176:
	s_or_b32 exec_lo, exec_lo, s6
	s_and_saveexec_b32 s5, s4
	s_cbranch_execnz .LBB270_233
.LBB270_177:
	s_or_b32 exec_lo, exec_lo, s5
	s_and_saveexec_b32 s4, s3
	s_cbranch_execnz .LBB270_238
.LBB270_178:
	s_or_b32 exec_lo, exec_lo, s4
	s_and_saveexec_b32 s3, s2
	s_cbranch_execnz .LBB270_243
.LBB270_179:
	s_or_b32 exec_lo, exec_lo, s3
	s_and_saveexec_b32 s2, s1
	s_cbranch_execnz .LBB270_248
.LBB270_180:
	s_or_b32 exec_lo, exec_lo, s2
	s_and_saveexec_b32 s1, s0
	s_cbranch_execnz .LBB270_253
.LBB270_181:
	s_or_b32 exec_lo, exec_lo, s1
	s_and_saveexec_b32 s0, vcc_lo
	s_cbranch_execnz .LBB270_258
	s_branch .LBB270_263
.LBB270_182:
	v_lshlrev_b32_e32 v1, 1, v1
	global_load_u16 v3, v1, s[28:29]
	s_or_b32 exec_lo, exec_lo, s31
	s_and_saveexec_b32 s28, s14
	s_cbranch_execz .LBB270_167
.LBB270_183:
	v_lshlrev_b32_e32 v1, 16, v11
	s_mov_b32 s29, exec_lo
	s_delay_alu instid0(VALU_DEP_1)
	v_cmpx_o_f32_e32 v1, v1
	s_cbranch_execz .LBB270_187
; %bb.184:
	s_waitcnt vmcnt(0)
	v_lshlrev_b32_e32 v2, 16, v19
	s_mov_b32 s31, exec_lo
	s_delay_alu instid0(VALU_DEP_1)
	v_cmpx_o_f32_e32 v2, v2
; %bb.185:
	v_cmp_lt_f32_e64 s14, v2, v1
	s_delay_alu instid0(VALU_DEP_1)
	v_cndmask_b32_e64 v19, v11, v19, s14
; %bb.186:
	s_or_b32 exec_lo, exec_lo, s31
	s_delay_alu instid0(VALU_DEP_1)
	v_mov_b32_e32 v11, v19
.LBB270_187:
	s_or_b32 exec_lo, exec_lo, s29
	s_delay_alu instid0(SALU_CYCLE_1)
	s_or_b32 exec_lo, exec_lo, s28
	s_and_saveexec_b32 s14, s13
	s_cbranch_execz .LBB270_168
.LBB270_188:
	v_lshlrev_b32_e32 v1, 16, v11
	s_mov_b32 s28, exec_lo
	s_delay_alu instid0(VALU_DEP_1)
	v_cmpx_o_f32_e32 v1, v1
	s_cbranch_execz .LBB270_192
; %bb.189:
	s_waitcnt vmcnt(0)
	v_lshlrev_b32_e32 v2, 16, v18
	s_mov_b32 s29, exec_lo
	s_delay_alu instid0(VALU_DEP_1)
	v_cmpx_o_f32_e32 v2, v2
; %bb.190:
	v_cmp_lt_f32_e64 s13, v2, v1
	s_delay_alu instid0(VALU_DEP_1)
	v_cndmask_b32_e64 v18, v11, v18, s13
; %bb.191:
	s_or_b32 exec_lo, exec_lo, s29
	s_delay_alu instid0(VALU_DEP_1)
	v_mov_b32_e32 v11, v18
.LBB270_192:
	s_or_b32 exec_lo, exec_lo, s28
	s_delay_alu instid0(SALU_CYCLE_1)
	s_or_b32 exec_lo, exec_lo, s14
	s_and_saveexec_b32 s13, s12
	s_cbranch_execz .LBB270_169
.LBB270_193:
	v_lshlrev_b32_e32 v1, 16, v11
	s_mov_b32 s14, exec_lo
	s_delay_alu instid0(VALU_DEP_1)
	v_cmpx_o_f32_e32 v1, v1
	s_cbranch_execz .LBB270_197
; %bb.194:
	s_waitcnt vmcnt(0)
	v_lshlrev_b32_e32 v2, 16, v17
	s_mov_b32 s28, exec_lo
	s_delay_alu instid0(VALU_DEP_1)
	v_cmpx_o_f32_e32 v2, v2
; %bb.195:
	v_cmp_lt_f32_e64 s12, v2, v1
	s_delay_alu instid0(VALU_DEP_1)
	v_cndmask_b32_e64 v17, v11, v17, s12
; %bb.196:
	s_or_b32 exec_lo, exec_lo, s28
	s_delay_alu instid0(VALU_DEP_1)
	v_mov_b32_e32 v11, v17
.LBB270_197:
	s_or_b32 exec_lo, exec_lo, s14
	s_delay_alu instid0(SALU_CYCLE_1)
	s_or_b32 exec_lo, exec_lo, s13
	s_and_saveexec_b32 s12, s11
	s_cbranch_execz .LBB270_170
.LBB270_198:
	v_lshlrev_b32_e32 v1, 16, v11
	s_mov_b32 s13, exec_lo
	s_delay_alu instid0(VALU_DEP_1)
	v_cmpx_o_f32_e32 v1, v1
	s_cbranch_execz .LBB270_202
; %bb.199:
	s_waitcnt vmcnt(0)
	v_lshlrev_b32_e32 v2, 16, v16
	s_mov_b32 s14, exec_lo
	s_delay_alu instid0(VALU_DEP_1)
	v_cmpx_o_f32_e32 v2, v2
; %bb.200:
	v_cmp_lt_f32_e64 s11, v2, v1
	s_delay_alu instid0(VALU_DEP_1)
	v_cndmask_b32_e64 v16, v11, v16, s11
; %bb.201:
	s_or_b32 exec_lo, exec_lo, s14
	s_delay_alu instid0(VALU_DEP_1)
	v_mov_b32_e32 v11, v16
.LBB270_202:
	s_or_b32 exec_lo, exec_lo, s13
	s_delay_alu instid0(SALU_CYCLE_1)
	s_or_b32 exec_lo, exec_lo, s12
	s_and_saveexec_b32 s11, s10
	s_cbranch_execz .LBB270_171
.LBB270_203:
	v_lshlrev_b32_e32 v1, 16, v11
	s_mov_b32 s12, exec_lo
	s_delay_alu instid0(VALU_DEP_1)
	v_cmpx_o_f32_e32 v1, v1
	s_cbranch_execz .LBB270_207
; %bb.204:
	s_waitcnt vmcnt(0)
	v_lshlrev_b32_e32 v2, 16, v15
	s_mov_b32 s13, exec_lo
	s_delay_alu instid0(VALU_DEP_1)
	v_cmpx_o_f32_e32 v2, v2
; %bb.205:
	v_cmp_lt_f32_e64 s10, v2, v1
	s_delay_alu instid0(VALU_DEP_1)
	v_cndmask_b32_e64 v15, v11, v15, s10
; %bb.206:
	s_or_b32 exec_lo, exec_lo, s13
	s_delay_alu instid0(VALU_DEP_1)
	v_mov_b32_e32 v11, v15
.LBB270_207:
	s_or_b32 exec_lo, exec_lo, s12
	s_delay_alu instid0(SALU_CYCLE_1)
	s_or_b32 exec_lo, exec_lo, s11
	s_and_saveexec_b32 s10, s9
	s_cbranch_execz .LBB270_172
.LBB270_208:
	v_lshlrev_b32_e32 v1, 16, v11
	s_mov_b32 s11, exec_lo
	s_delay_alu instid0(VALU_DEP_1)
	v_cmpx_o_f32_e32 v1, v1
	s_cbranch_execz .LBB270_212
; %bb.209:
	s_waitcnt vmcnt(0)
	v_lshlrev_b32_e32 v2, 16, v14
	s_mov_b32 s12, exec_lo
	s_delay_alu instid0(VALU_DEP_1)
	v_cmpx_o_f32_e32 v2, v2
; %bb.210:
	v_cmp_lt_f32_e64 s9, v2, v1
	s_delay_alu instid0(VALU_DEP_1)
	v_cndmask_b32_e64 v14, v11, v14, s9
; %bb.211:
	s_or_b32 exec_lo, exec_lo, s12
	s_delay_alu instid0(VALU_DEP_1)
	v_mov_b32_e32 v11, v14
.LBB270_212:
	s_or_b32 exec_lo, exec_lo, s11
	s_delay_alu instid0(SALU_CYCLE_1)
	s_or_b32 exec_lo, exec_lo, s10
	s_and_saveexec_b32 s9, s8
	s_cbranch_execz .LBB270_173
.LBB270_213:
	v_lshlrev_b32_e32 v1, 16, v11
	s_mov_b32 s10, exec_lo
	s_delay_alu instid0(VALU_DEP_1)
	v_cmpx_o_f32_e32 v1, v1
	s_cbranch_execz .LBB270_217
; %bb.214:
	s_waitcnt vmcnt(0)
	v_lshlrev_b32_e32 v2, 16, v13
	s_mov_b32 s11, exec_lo
	s_delay_alu instid0(VALU_DEP_1)
	v_cmpx_o_f32_e32 v2, v2
; %bb.215:
	v_cmp_lt_f32_e64 s8, v2, v1
	s_delay_alu instid0(VALU_DEP_1)
	v_cndmask_b32_e64 v13, v11, v13, s8
; %bb.216:
	s_or_b32 exec_lo, exec_lo, s11
	s_delay_alu instid0(VALU_DEP_1)
	v_mov_b32_e32 v11, v13
.LBB270_217:
	s_or_b32 exec_lo, exec_lo, s10
	s_delay_alu instid0(SALU_CYCLE_1)
	s_or_b32 exec_lo, exec_lo, s9
	s_and_saveexec_b32 s8, s7
	s_cbranch_execz .LBB270_174
.LBB270_218:
	v_lshlrev_b32_e32 v1, 16, v11
	s_mov_b32 s9, exec_lo
	s_delay_alu instid0(VALU_DEP_1)
	v_cmpx_o_f32_e32 v1, v1
	s_cbranch_execz .LBB270_222
; %bb.219:
	s_waitcnt vmcnt(0)
	v_lshlrev_b32_e32 v2, 16, v12
	s_mov_b32 s10, exec_lo
	s_delay_alu instid0(VALU_DEP_1)
	v_cmpx_o_f32_e32 v2, v2
; %bb.220:
	v_cmp_lt_f32_e64 s7, v2, v1
	s_delay_alu instid0(VALU_DEP_1)
	v_cndmask_b32_e64 v12, v11, v12, s7
; %bb.221:
	s_or_b32 exec_lo, exec_lo, s10
	s_delay_alu instid0(VALU_DEP_1)
	v_mov_b32_e32 v11, v12
.LBB270_222:
	s_or_b32 exec_lo, exec_lo, s9
	s_delay_alu instid0(SALU_CYCLE_1)
	s_or_b32 exec_lo, exec_lo, s8
	s_and_saveexec_b32 s7, s6
	s_cbranch_execz .LBB270_175
.LBB270_223:
	v_lshlrev_b32_e32 v1, 16, v11
	s_mov_b32 s8, exec_lo
	s_delay_alu instid0(VALU_DEP_1)
	v_cmpx_o_f32_e32 v1, v1
	s_cbranch_execz .LBB270_227
; %bb.224:
	s_waitcnt vmcnt(0)
	v_lshlrev_b32_e32 v2, 16, v10
	s_mov_b32 s9, exec_lo
	s_delay_alu instid0(VALU_DEP_1)
	v_cmpx_o_f32_e32 v2, v2
; %bb.225:
	v_cmp_lt_f32_e64 s6, v2, v1
	s_delay_alu instid0(VALU_DEP_1)
	v_cndmask_b32_e64 v10, v11, v10, s6
; %bb.226:
	s_or_b32 exec_lo, exec_lo, s9
	s_delay_alu instid0(VALU_DEP_1)
	v_mov_b32_e32 v11, v10
.LBB270_227:
	s_or_b32 exec_lo, exec_lo, s8
	s_delay_alu instid0(SALU_CYCLE_1)
	s_or_b32 exec_lo, exec_lo, s7
	s_and_saveexec_b32 s6, s5
	s_cbranch_execz .LBB270_176
.LBB270_228:
	v_lshlrev_b32_e32 v1, 16, v11
	s_mov_b32 s7, exec_lo
	s_delay_alu instid0(VALU_DEP_1)
	v_cmpx_o_f32_e32 v1, v1
	s_cbranch_execz .LBB270_232
; %bb.229:
	s_waitcnt vmcnt(0)
	v_lshlrev_b32_e32 v2, 16, v9
	s_mov_b32 s8, exec_lo
	s_delay_alu instid0(VALU_DEP_1)
	v_cmpx_o_f32_e32 v2, v2
; %bb.230:
	v_cmp_lt_f32_e64 s5, v2, v1
	s_delay_alu instid0(VALU_DEP_1)
	v_cndmask_b32_e64 v9, v11, v9, s5
; %bb.231:
	s_or_b32 exec_lo, exec_lo, s8
	s_delay_alu instid0(VALU_DEP_1)
	v_mov_b32_e32 v11, v9
.LBB270_232:
	s_or_b32 exec_lo, exec_lo, s7
	s_delay_alu instid0(SALU_CYCLE_1)
	s_or_b32 exec_lo, exec_lo, s6
	s_and_saveexec_b32 s5, s4
	s_cbranch_execz .LBB270_177
.LBB270_233:
	v_lshlrev_b32_e32 v1, 16, v11
	s_mov_b32 s6, exec_lo
	s_delay_alu instid0(VALU_DEP_1)
	v_cmpx_o_f32_e32 v1, v1
	s_cbranch_execz .LBB270_237
; %bb.234:
	s_waitcnt vmcnt(0)
	v_lshlrev_b32_e32 v2, 16, v8
	s_mov_b32 s7, exec_lo
	s_delay_alu instid0(VALU_DEP_1)
	v_cmpx_o_f32_e32 v2, v2
; %bb.235:
	v_cmp_lt_f32_e64 s4, v2, v1
	s_delay_alu instid0(VALU_DEP_1)
	v_cndmask_b32_e64 v8, v11, v8, s4
; %bb.236:
	s_or_b32 exec_lo, exec_lo, s7
	s_delay_alu instid0(VALU_DEP_1)
	v_mov_b32_e32 v11, v8
.LBB270_237:
	s_or_b32 exec_lo, exec_lo, s6
	s_delay_alu instid0(SALU_CYCLE_1)
	s_or_b32 exec_lo, exec_lo, s5
	s_and_saveexec_b32 s4, s3
	s_cbranch_execz .LBB270_178
.LBB270_238:
	v_lshlrev_b32_e32 v1, 16, v11
	s_mov_b32 s5, exec_lo
	s_delay_alu instid0(VALU_DEP_1)
	v_cmpx_o_f32_e32 v1, v1
	s_cbranch_execz .LBB270_242
; %bb.239:
	s_waitcnt vmcnt(0)
	v_lshlrev_b32_e32 v2, 16, v7
	s_mov_b32 s6, exec_lo
	s_delay_alu instid0(VALU_DEP_1)
	v_cmpx_o_f32_e32 v2, v2
; %bb.240:
	v_cmp_lt_f32_e64 s3, v2, v1
	s_delay_alu instid0(VALU_DEP_1)
	v_cndmask_b32_e64 v7, v11, v7, s3
; %bb.241:
	s_or_b32 exec_lo, exec_lo, s6
	s_delay_alu instid0(VALU_DEP_1)
	v_mov_b32_e32 v11, v7
.LBB270_242:
	s_or_b32 exec_lo, exec_lo, s5
	s_delay_alu instid0(SALU_CYCLE_1)
	s_or_b32 exec_lo, exec_lo, s4
	s_and_saveexec_b32 s3, s2
	s_cbranch_execz .LBB270_179
.LBB270_243:
	v_lshlrev_b32_e32 v1, 16, v11
	s_mov_b32 s4, exec_lo
	s_delay_alu instid0(VALU_DEP_1)
	v_cmpx_o_f32_e32 v1, v1
	s_cbranch_execz .LBB270_247
; %bb.244:
	s_waitcnt vmcnt(0)
	v_lshlrev_b32_e32 v2, 16, v6
	s_mov_b32 s5, exec_lo
	s_delay_alu instid0(VALU_DEP_1)
	v_cmpx_o_f32_e32 v2, v2
; %bb.245:
	v_cmp_lt_f32_e64 s2, v2, v1
	s_delay_alu instid0(VALU_DEP_1)
	v_cndmask_b32_e64 v6, v11, v6, s2
; %bb.246:
	s_or_b32 exec_lo, exec_lo, s5
	s_delay_alu instid0(VALU_DEP_1)
	v_mov_b32_e32 v11, v6
.LBB270_247:
	s_or_b32 exec_lo, exec_lo, s4
	s_delay_alu instid0(SALU_CYCLE_1)
	s_or_b32 exec_lo, exec_lo, s3
	s_and_saveexec_b32 s2, s1
	s_cbranch_execz .LBB270_180
.LBB270_248:
	v_lshlrev_b32_e32 v1, 16, v11
	s_mov_b32 s3, exec_lo
	s_delay_alu instid0(VALU_DEP_1)
	v_cmpx_o_f32_e32 v1, v1
	s_cbranch_execz .LBB270_252
; %bb.249:
	s_waitcnt vmcnt(0)
	v_lshlrev_b32_e32 v2, 16, v5
	s_mov_b32 s4, exec_lo
	s_delay_alu instid0(VALU_DEP_1)
	v_cmpx_o_f32_e32 v2, v2
; %bb.250:
	v_cmp_lt_f32_e64 s1, v2, v1
	s_delay_alu instid0(VALU_DEP_1)
	v_cndmask_b32_e64 v5, v11, v5, s1
; %bb.251:
	s_or_b32 exec_lo, exec_lo, s4
	s_delay_alu instid0(VALU_DEP_1)
	v_mov_b32_e32 v11, v5
.LBB270_252:
	s_or_b32 exec_lo, exec_lo, s3
	s_delay_alu instid0(SALU_CYCLE_1)
	s_or_b32 exec_lo, exec_lo, s2
	s_and_saveexec_b32 s1, s0
	s_cbranch_execz .LBB270_181
.LBB270_253:
	v_lshlrev_b32_e32 v1, 16, v11
	s_mov_b32 s2, exec_lo
	s_delay_alu instid0(VALU_DEP_1)
	v_cmpx_o_f32_e32 v1, v1
	s_cbranch_execz .LBB270_257
; %bb.254:
	s_waitcnt vmcnt(0)
	v_lshlrev_b32_e32 v2, 16, v4
	s_mov_b32 s3, exec_lo
	s_delay_alu instid0(VALU_DEP_1)
	v_cmpx_o_f32_e32 v2, v2
; %bb.255:
	v_cmp_lt_f32_e64 s0, v2, v1
	s_delay_alu instid0(VALU_DEP_1)
	v_cndmask_b32_e64 v4, v11, v4, s0
; %bb.256:
	s_or_b32 exec_lo, exec_lo, s3
	s_delay_alu instid0(VALU_DEP_1)
	v_mov_b32_e32 v11, v4
.LBB270_257:
	s_or_b32 exec_lo, exec_lo, s2
	s_delay_alu instid0(SALU_CYCLE_1)
	s_or_b32 exec_lo, exec_lo, s1
	s_and_saveexec_b32 s0, vcc_lo
	s_cbranch_execz .LBB270_263
.LBB270_258:
	v_lshlrev_b32_e32 v1, 16, v11
	s_mov_b32 s1, exec_lo
	s_delay_alu instid0(VALU_DEP_1)
	v_cmpx_o_f32_e32 v1, v1
	s_cbranch_execz .LBB270_262
; %bb.259:
	s_waitcnt vmcnt(0)
	v_lshlrev_b32_e32 v2, 16, v3
	s_mov_b32 s2, exec_lo
	s_delay_alu instid0(VALU_DEP_1)
	v_cmpx_o_f32_e32 v2, v2
; %bb.260:
	v_cmp_lt_f32_e32 vcc_lo, v2, v1
	v_cndmask_b32_e32 v3, v11, v3, vcc_lo
; %bb.261:
	s_or_b32 exec_lo, exec_lo, s2
	s_delay_alu instid0(VALU_DEP_1)
	v_mov_b32_e32 v11, v3
.LBB270_262:
	s_or_b32 exec_lo, exec_lo, s1
.LBB270_263:
	s_delay_alu instid0(SALU_CYCLE_1) | instskip(SKIP_1) | instid1(VALU_DEP_1)
	s_or_b32 exec_lo, exec_lo, s0
	s_waitcnt vmcnt(0)
	v_and_b32_e32 v3, 0xffff, v11
	s_mov_b32 s0, exec_lo
	s_delay_alu instid0(VALU_DEP_1) | instskip(NEXT) | instid1(VALU_DEP_1)
	v_mov_b32_dpp v1, v3 quad_perm:[1,0,3,2] row_mask:0xf bank_mask:0xf
	v_lshlrev_b32_e32 v2, 16, v1
	s_delay_alu instid0(VALU_DEP_1)
	v_cmpx_o_f32_e32 v2, v2
	s_xor_b32 s0, exec_lo, s0
	s_cbranch_execz .LBB270_267
; %bb.264:
	v_lshlrev_b32_e32 v3, 16, v3
	s_mov_b32 s1, exec_lo
	s_delay_alu instid0(VALU_DEP_1)
	v_cmpx_o_f32_e32 v3, v3
; %bb.265:
	v_cmp_lt_f32_e32 vcc_lo, v3, v2
	v_cndmask_b32_e32 v11, v1, v11, vcc_lo
; %bb.266:
	s_or_b32 exec_lo, exec_lo, s1
	s_delay_alu instid0(VALU_DEP_1)
	v_mov_b32_e32 v1, v11
.LBB270_267:
	s_or_b32 exec_lo, exec_lo, s0
	s_delay_alu instid0(VALU_DEP_1) | instskip(SKIP_1) | instid1(VALU_DEP_1)
	v_and_b32_e32 v4, 0xffff, v1
	s_mov_b32 s0, exec_lo
	v_mov_b32_dpp v2, v4 quad_perm:[2,3,0,1] row_mask:0xf bank_mask:0xf
	s_delay_alu instid0(VALU_DEP_1) | instskip(NEXT) | instid1(VALU_DEP_1)
	v_lshlrev_b32_e32 v3, 16, v2
	v_cmpx_o_f32_e32 v3, v3
	s_cbranch_execz .LBB270_271
; %bb.268:
	v_lshlrev_b32_e32 v4, 16, v4
	s_mov_b32 s1, exec_lo
	s_delay_alu instid0(VALU_DEP_1)
	v_cmpx_o_f32_e32 v4, v4
; %bb.269:
	v_cmp_lt_f32_e32 vcc_lo, v4, v3
	v_cndmask_b32_e32 v1, v2, v1, vcc_lo
; %bb.270:
	s_or_b32 exec_lo, exec_lo, s1
	s_delay_alu instid0(VALU_DEP_1)
	v_mov_b32_e32 v2, v1
.LBB270_271:
	s_or_b32 exec_lo, exec_lo, s0
	s_delay_alu instid0(VALU_DEP_1) | instskip(SKIP_1) | instid1(VALU_DEP_1)
	v_and_b32_e32 v4, 0xffff, v2
	s_mov_b32 s0, exec_lo
	v_mov_b32_dpp v1, v4 row_ror:4 row_mask:0xf bank_mask:0xf
	s_delay_alu instid0(VALU_DEP_1) | instskip(NEXT) | instid1(VALU_DEP_1)
	v_lshlrev_b32_e32 v3, 16, v1
	v_cmpx_o_f32_e32 v3, v3
	s_cbranch_execz .LBB270_275
; %bb.272:
	v_lshlrev_b32_e32 v4, 16, v4
	s_mov_b32 s1, exec_lo
	s_delay_alu instid0(VALU_DEP_1)
	v_cmpx_o_f32_e32 v4, v4
; %bb.273:
	v_cmp_lt_f32_e32 vcc_lo, v4, v3
	v_cndmask_b32_e32 v2, v1, v2, vcc_lo
; %bb.274:
	s_or_b32 exec_lo, exec_lo, s1
	s_delay_alu instid0(VALU_DEP_1)
	v_mov_b32_e32 v1, v2
.LBB270_275:
	s_or_b32 exec_lo, exec_lo, s0
	s_delay_alu instid0(VALU_DEP_1) | instskip(SKIP_1) | instid1(VALU_DEP_1)
	v_and_b32_e32 v4, 0xffff, v1
	s_mov_b32 s0, exec_lo
	v_mov_b32_dpp v2, v4 row_ror:8 row_mask:0xf bank_mask:0xf
	s_delay_alu instid0(VALU_DEP_1) | instskip(NEXT) | instid1(VALU_DEP_1)
	v_lshlrev_b32_e32 v3, 16, v2
	v_cmpx_o_f32_e32 v3, v3
	s_cbranch_execz .LBB270_279
; %bb.276:
	v_lshlrev_b32_e32 v4, 16, v4
	s_mov_b32 s1, exec_lo
	s_delay_alu instid0(VALU_DEP_1)
	v_cmpx_o_f32_e32 v4, v4
; %bb.277:
	v_cmp_lt_f32_e32 vcc_lo, v4, v3
	v_cndmask_b32_e32 v1, v2, v1, vcc_lo
; %bb.278:
	s_or_b32 exec_lo, exec_lo, s1
	s_delay_alu instid0(VALU_DEP_1)
	v_mov_b32_e32 v2, v1
.LBB270_279:
	s_or_b32 exec_lo, exec_lo, s0
	s_delay_alu instid0(VALU_DEP_1) | instskip(SKIP_4) | instid1(VALU_DEP_1)
	v_and_b32_e32 v4, 0xffff, v2
	s_mov_b32 s0, exec_lo
	ds_swizzle_b32 v1, v4 offset:swizzle(BROADCAST,32,15)
	s_waitcnt lgkmcnt(0)
	v_lshlrev_b32_e32 v3, 16, v1
	v_cmpx_o_f32_e32 v3, v3
	s_cbranch_execz .LBB270_283
; %bb.280:
	v_lshlrev_b32_e32 v4, 16, v4
	s_mov_b32 s1, exec_lo
	s_delay_alu instid0(VALU_DEP_1)
	v_cmpx_o_f32_e32 v4, v4
; %bb.281:
	v_cmp_lt_f32_e32 vcc_lo, v4, v3
	v_cndmask_b32_e32 v2, v1, v2, vcc_lo
; %bb.282:
	s_or_b32 exec_lo, exec_lo, s1
	s_delay_alu instid0(VALU_DEP_1)
	v_mov_b32_e32 v1, v2
.LBB270_283:
	s_or_b32 exec_lo, exec_lo, s0
	s_delay_alu instid0(VALU_DEP_1) | instskip(SKIP_3) | instid1(VALU_DEP_1)
	v_dual_mov_b32 v2, 0 :: v_dual_and_b32 v1, 0xffff, v1
	s_mov_b32 s0, exec_lo
	ds_bpermute_b32 v2, v2, v1 offset:124
	v_mbcnt_lo_u32_b32 v1, -1, 0
	v_cmpx_eq_u32_e32 0, v1
	s_cbranch_execz .LBB270_285
; %bb.284:
	v_lshrrev_b32_e32 v3, 4, v0
	s_delay_alu instid0(VALU_DEP_1)
	v_and_b32_e32 v3, 14, v3
	s_waitcnt lgkmcnt(0)
	ds_store_b16 v3, v2
.LBB270_285:
	s_or_b32 exec_lo, exec_lo, s0
	s_delay_alu instid0(SALU_CYCLE_1)
	s_mov_b32 s0, exec_lo
	s_waitcnt lgkmcnt(0)
	s_barrier
	buffer_gl0_inv
	v_cmpx_gt_u32_e32 32, v0
	s_cbranch_execz .LBB270_299
; %bb.286:
	v_and_b32_e32 v3, 7, v1
	s_mov_b32 s1, exec_lo
	s_delay_alu instid0(VALU_DEP_1) | instskip(SKIP_3) | instid1(VALU_DEP_1)
	v_lshlrev_b32_e32 v2, 1, v3
	v_cmp_ne_u32_e32 vcc_lo, 7, v3
	ds_load_u16 v2, v2
	v_add_co_ci_u32_e32 v4, vcc_lo, 0, v1, vcc_lo
	v_lshlrev_b32_e32 v4, 2, v4
	s_waitcnt lgkmcnt(0)
	v_and_b32_e32 v5, 0xffff, v2
	ds_bpermute_b32 v4, v4, v5
	v_lshlrev_b32_e32 v5, 16, v2
	s_delay_alu instid0(VALU_DEP_1)
	v_cmpx_o_f32_e32 v5, v5
	s_cbranch_execz .LBB270_290
; %bb.287:
	s_waitcnt lgkmcnt(0)
	v_lshlrev_b32_e32 v6, 16, v4
	s_mov_b32 s2, exec_lo
	s_delay_alu instid0(VALU_DEP_1)
	v_cmpx_o_f32_e32 v6, v6
; %bb.288:
	v_cmp_lt_f32_e32 vcc_lo, v6, v5
	v_cndmask_b32_e32 v4, v2, v4, vcc_lo
; %bb.289:
	s_or_b32 exec_lo, exec_lo, s2
	s_delay_alu instid0(VALU_DEP_1)
	v_mov_b32_e32 v2, v4
.LBB270_290:
	s_or_b32 exec_lo, exec_lo, s1
	v_cmp_gt_u32_e32 vcc_lo, 6, v3
	s_delay_alu instid0(VALU_DEP_2) | instskip(SKIP_3) | instid1(VALU_DEP_1)
	v_and_b32_e32 v5, 0xffff, v2
	s_mov_b32 s1, exec_lo
	s_waitcnt lgkmcnt(0)
	v_cndmask_b32_e64 v4, 0, 1, vcc_lo
	v_lshlrev_b32_e32 v4, 1, v4
	s_delay_alu instid0(VALU_DEP_1) | instskip(SKIP_2) | instid1(VALU_DEP_1)
	v_add_lshl_u32 v4, v4, v1, 2
	ds_bpermute_b32 v4, v4, v5
	v_lshlrev_b32_e32 v5, 16, v2
	v_cmpx_o_f32_e32 v5, v5
	s_cbranch_execz .LBB270_294
; %bb.291:
	s_waitcnt lgkmcnt(0)
	v_lshlrev_b32_e32 v6, 16, v4
	s_mov_b32 s2, exec_lo
	s_delay_alu instid0(VALU_DEP_1)
	v_cmpx_o_f32_e32 v6, v6
; %bb.292:
	v_cmp_lt_f32_e32 vcc_lo, v6, v5
	v_cndmask_b32_e32 v4, v2, v4, vcc_lo
; %bb.293:
	s_or_b32 exec_lo, exec_lo, s2
	s_delay_alu instid0(VALU_DEP_1)
	v_mov_b32_e32 v2, v4
.LBB270_294:
	s_or_b32 exec_lo, exec_lo, s1
	v_cmp_gt_u32_e32 vcc_lo, 4, v3
	s_waitcnt lgkmcnt(0)
	s_delay_alu instid0(VALU_DEP_2) | instskip(SKIP_2) | instid1(VALU_DEP_1)
	v_and_b32_e32 v4, 0xffff, v2
	s_mov_b32 s1, exec_lo
	v_cndmask_b32_e64 v3, 0, 1, vcc_lo
	v_lshlrev_b32_e32 v3, 2, v3
	s_delay_alu instid0(VALU_DEP_1)
	v_add_lshl_u32 v1, v3, v1, 2
	v_lshlrev_b32_e32 v3, 16, v2
	ds_bpermute_b32 v1, v1, v4
	v_cmpx_o_f32_e32 v3, v3
	s_cbranch_execz .LBB270_298
; %bb.295:
	s_waitcnt lgkmcnt(0)
	v_lshlrev_b32_e32 v4, 16, v1
	s_mov_b32 s2, exec_lo
	s_delay_alu instid0(VALU_DEP_1)
	v_cmpx_o_f32_e32 v4, v4
; %bb.296:
	v_cmp_lt_f32_e32 vcc_lo, v4, v3
	v_cndmask_b32_e32 v1, v2, v1, vcc_lo
; %bb.297:
	s_or_b32 exec_lo, exec_lo, s2
	s_delay_alu instid0(VALU_DEP_1)
	v_mov_b32_e32 v2, v1
.LBB270_298:
	s_or_b32 exec_lo, exec_lo, s1
.LBB270_299:
	s_delay_alu instid0(SALU_CYCLE_1)
	s_or_b32 exec_lo, exec_lo, s0
	s_branch .LBB270_402
.LBB270_300:
	s_sub_i32 s1, s22, s26
	s_mov_b32 s2, exec_lo
                                        ; implicit-def: $vgpr5
	v_cmpx_gt_u32_e64 s1, v0
	s_cbranch_execz .LBB270_310
; %bb.301:
	s_waitcnt lgkmcnt(0)
	v_add_co_u32 v1, s0, s26, v0
	s_delay_alu instid0(VALU_DEP_1) | instskip(SKIP_1) | instid1(VALU_DEP_1)
	v_add_co_ci_u32_e64 v2, null, s27, 0, s0
	s_mov_b32 s3, exec_lo
	v_lshlrev_b64 v[3:4], 1, v[1:2]
	s_delay_alu instid0(VALU_DEP_1) | instskip(NEXT) | instid1(VALU_DEP_2)
	v_add_co_u32 v3, vcc_lo, s16, v3
	v_add_co_ci_u32_e32 v4, vcc_lo, s17, v4, vcc_lo
	v_add_co_u32 v1, vcc_lo, 0x100, v1
	v_add_co_ci_u32_e32 v2, vcc_lo, 0, v2, vcc_lo
	global_load_u16 v5, v[3:4], off
	v_cmpx_gt_i64_e64 s[22:23], v[1:2]
	s_cbranch_execz .LBB270_309
; %bb.302:
	v_add_co_u32 v3, vcc_lo, 0x200, v3
	v_add_co_ci_u32_e32 v4, vcc_lo, 0, v4, vcc_lo
	s_mov_b32 s4, 0
	s_set_inst_prefetch_distance 0x1
	s_branch .LBB270_305
	.p2align	6
.LBB270_303:                            ;   in Loop: Header=BB270_305 Depth=1
	s_or_b32 exec_lo, exec_lo, s5
	s_delay_alu instid0(VALU_DEP_1)
	v_mov_b32_e32 v5, v7
.LBB270_304:                            ;   in Loop: Header=BB270_305 Depth=1
	s_or_b32 exec_lo, exec_lo, s0
	v_add_co_u32 v1, vcc_lo, 0x100, v1
	v_add_co_ci_u32_e32 v2, vcc_lo, 0, v2, vcc_lo
	v_add_co_u32 v3, s0, 0x200, v3
	s_delay_alu instid0(VALU_DEP_1) | instskip(NEXT) | instid1(VALU_DEP_3)
	v_add_co_ci_u32_e64 v4, s0, 0, v4, s0
	v_cmp_le_i64_e32 vcc_lo, s[22:23], v[1:2]
	s_or_b32 s4, vcc_lo, s4
	s_delay_alu instid0(SALU_CYCLE_1)
	s_and_not1_b32 exec_lo, exec_lo, s4
	s_cbranch_execz .LBB270_308
.LBB270_305:                            ; =>This Inner Loop Header: Depth=1
	s_waitcnt vmcnt(0)
	v_lshlrev_b32_e32 v6, 16, v5
	s_mov_b32 s0, exec_lo
	s_delay_alu instid0(VALU_DEP_1)
	v_cmpx_o_f32_e32 v6, v6
	s_cbranch_execz .LBB270_304
; %bb.306:                              ;   in Loop: Header=BB270_305 Depth=1
	global_load_u16 v7, v[3:4], off
	s_mov_b32 s5, exec_lo
	s_waitcnt vmcnt(0)
	v_lshlrev_b32_e32 v8, 16, v7
	s_delay_alu instid0(VALU_DEP_1)
	v_cmpx_o_f32_e32 v8, v8
	s_cbranch_execz .LBB270_303
; %bb.307:                              ;   in Loop: Header=BB270_305 Depth=1
	v_cmp_lt_f32_e32 vcc_lo, v8, v6
	v_cndmask_b32_e32 v7, v5, v7, vcc_lo
	s_branch .LBB270_303
.LBB270_308:
	s_set_inst_prefetch_distance 0x2
	s_or_b32 exec_lo, exec_lo, s4
.LBB270_309:
	s_delay_alu instid0(SALU_CYCLE_1)
	s_or_b32 exec_lo, exec_lo, s3
.LBB270_310:
	s_delay_alu instid0(SALU_CYCLE_1)
	s_or_b32 exec_lo, exec_lo, s2
	v_lshrrev_b32_e32 v3, 5, v0
	s_waitcnt lgkmcnt(0)
	v_mbcnt_lo_u32_b32 v1, -1, 0
	s_waitcnt vmcnt(0)
	v_and_b32_e32 v4, 0xffff, v5
	s_cmpk_lt_u32 s1, 0x100
	s_mov_b32 s0, -1
	s_cbranch_scc0 .LBB270_364
; %bb.311:
	v_cmp_ne_u32_e32 vcc_lo, 31, v1
	v_mov_b32_e32 v7, v4
	v_add_co_ci_u32_e32 v2, vcc_lo, 0, v1, vcc_lo
	s_delay_alu instid0(VALU_DEP_1) | instskip(SKIP_2) | instid1(VALU_DEP_1)
	v_lshlrev_b32_e32 v2, 2, v2
	ds_bpermute_b32 v8, v2, v4
	v_and_b32_e32 v2, 0xe0, v0
	v_sub_nc_u32_e64 v6, s1, v2 clamp
	v_add_nc_u32_e32 v2, 1, v1
	s_delay_alu instid0(VALU_DEP_1)
	v_cmp_lt_u32_e32 vcc_lo, v2, v6
	v_mov_b32_e32 v2, v5
	s_and_saveexec_b32 s0, vcc_lo
	s_cbranch_execz .LBB270_317
; %bb.312:
	v_dual_mov_b32 v2, v5 :: v_dual_lshlrev_b32 v7, 16, v4
	s_mov_b32 s2, exec_lo
	s_delay_alu instid0(VALU_DEP_1)
	v_cmpx_o_f32_e32 v7, v7
	s_cbranch_execz .LBB270_316
; %bb.313:
	s_waitcnt lgkmcnt(0)
	v_lshlrev_b32_e32 v2, 16, v8
	s_mov_b32 s3, exec_lo
	s_delay_alu instid0(VALU_DEP_1)
	v_cmpx_o_f32_e32 v2, v2
; %bb.314:
	v_cmp_lt_f32_e32 vcc_lo, v2, v7
	v_cndmask_b32_e32 v8, v5, v8, vcc_lo
; %bb.315:
	s_or_b32 exec_lo, exec_lo, s3
	s_delay_alu instid0(VALU_DEP_1)
	v_mov_b32_e32 v2, v8
.LBB270_316:
	s_or_b32 exec_lo, exec_lo, s2
	s_delay_alu instid0(VALU_DEP_1)
	v_and_b32_e32 v7, 0xffff, v2
.LBB270_317:
	s_or_b32 exec_lo, exec_lo, s0
	v_cmp_gt_u32_e32 vcc_lo, 30, v1
	v_add_nc_u32_e32 v9, 2, v1
	s_mov_b32 s0, exec_lo
	s_waitcnt lgkmcnt(0)
	v_cndmask_b32_e64 v8, 0, 1, vcc_lo
	s_delay_alu instid0(VALU_DEP_1) | instskip(NEXT) | instid1(VALU_DEP_1)
	v_lshlrev_b32_e32 v8, 1, v8
	v_add_lshl_u32 v8, v8, v1, 2
	ds_bpermute_b32 v8, v8, v7
	v_cmpx_lt_u32_e64 v9, v6
	s_cbranch_execz .LBB270_323
; %bb.318:
	v_lshlrev_b32_e32 v7, 16, v7
	s_mov_b32 s2, exec_lo
	s_delay_alu instid0(VALU_DEP_1)
	v_cmpx_o_f32_e32 v7, v7
	s_cbranch_execz .LBB270_322
; %bb.319:
	s_waitcnt lgkmcnt(0)
	v_lshlrev_b32_e32 v9, 16, v8
	s_mov_b32 s3, exec_lo
	s_delay_alu instid0(VALU_DEP_1)
	v_cmpx_o_f32_e32 v9, v9
; %bb.320:
	v_cmp_lt_f32_e32 vcc_lo, v9, v7
	v_cndmask_b32_e32 v8, v2, v8, vcc_lo
; %bb.321:
	s_or_b32 exec_lo, exec_lo, s3
	s_delay_alu instid0(VALU_DEP_1)
	v_mov_b32_e32 v2, v8
.LBB270_322:
	s_or_b32 exec_lo, exec_lo, s2
	s_delay_alu instid0(VALU_DEP_1)
	v_and_b32_e32 v7, 0xffff, v2
.LBB270_323:
	s_or_b32 exec_lo, exec_lo, s0
	v_cmp_gt_u32_e32 vcc_lo, 28, v1
	v_add_nc_u32_e32 v9, 4, v1
	s_mov_b32 s0, exec_lo
	s_waitcnt lgkmcnt(0)
	v_cndmask_b32_e64 v8, 0, 1, vcc_lo
	s_delay_alu instid0(VALU_DEP_1) | instskip(NEXT) | instid1(VALU_DEP_1)
	v_lshlrev_b32_e32 v8, 2, v8
	v_add_lshl_u32 v8, v8, v1, 2
	ds_bpermute_b32 v8, v8, v7
	v_cmpx_lt_u32_e64 v9, v6
	s_cbranch_execz .LBB270_329
; %bb.324:
	v_lshlrev_b32_e32 v7, 16, v7
	s_mov_b32 s2, exec_lo
	s_delay_alu instid0(VALU_DEP_1)
	v_cmpx_o_f32_e32 v7, v7
	s_cbranch_execz .LBB270_328
; %bb.325:
	s_waitcnt lgkmcnt(0)
	v_lshlrev_b32_e32 v9, 16, v8
	s_mov_b32 s3, exec_lo
	s_delay_alu instid0(VALU_DEP_1)
	v_cmpx_o_f32_e32 v9, v9
; %bb.326:
	v_cmp_lt_f32_e32 vcc_lo, v9, v7
	v_cndmask_b32_e32 v8, v2, v8, vcc_lo
; %bb.327:
	s_or_b32 exec_lo, exec_lo, s3
	s_delay_alu instid0(VALU_DEP_1)
	v_mov_b32_e32 v2, v8
.LBB270_328:
	s_or_b32 exec_lo, exec_lo, s2
	s_delay_alu instid0(VALU_DEP_1)
	v_and_b32_e32 v7, 0xffff, v2
.LBB270_329:
	;; [unrolled: 36-line block ×3, first 2 shown]
	s_or_b32 exec_lo, exec_lo, s0
	v_cmp_gt_u32_e32 vcc_lo, 16, v1
	v_add_nc_u32_e32 v9, 16, v1
	s_mov_b32 s0, exec_lo
	s_waitcnt lgkmcnt(0)
	v_cndmask_b32_e64 v8, 0, 1, vcc_lo
	s_delay_alu instid0(VALU_DEP_1) | instskip(NEXT) | instid1(VALU_DEP_1)
	v_lshlrev_b32_e32 v8, 4, v8
	v_add_lshl_u32 v8, v8, v1, 2
	ds_bpermute_b32 v8, v8, v7
	v_cmpx_lt_u32_e64 v9, v6
	s_cbranch_execz .LBB270_341
; %bb.336:
	v_lshlrev_b32_e32 v6, 16, v7
	s_mov_b32 s2, exec_lo
	s_delay_alu instid0(VALU_DEP_1)
	v_cmpx_o_f32_e32 v6, v6
	s_cbranch_execz .LBB270_340
; %bb.337:
	s_waitcnt lgkmcnt(0)
	v_lshlrev_b32_e32 v7, 16, v8
	s_mov_b32 s3, exec_lo
	s_delay_alu instid0(VALU_DEP_1)
	v_cmpx_o_f32_e32 v7, v7
; %bb.338:
	v_cmp_lt_f32_e32 vcc_lo, v7, v6
	v_cndmask_b32_e32 v8, v2, v8, vcc_lo
; %bb.339:
	s_or_b32 exec_lo, exec_lo, s3
	s_delay_alu instid0(VALU_DEP_1)
	v_mov_b32_e32 v2, v8
.LBB270_340:
	s_or_b32 exec_lo, exec_lo, s2
.LBB270_341:
	s_delay_alu instid0(SALU_CYCLE_1) | instskip(NEXT) | instid1(SALU_CYCLE_1)
	s_or_b32 exec_lo, exec_lo, s0
	s_mov_b32 s0, exec_lo
	v_cmpx_eq_u32_e32 0, v1
	s_cbranch_execz .LBB270_343
; %bb.342:
	v_lshlrev_b32_e32 v6, 1, v3
	ds_store_b16 v6, v2
.LBB270_343:
	s_or_b32 exec_lo, exec_lo, s0
	s_delay_alu instid0(SALU_CYCLE_1)
	s_mov_b32 s0, exec_lo
	s_waitcnt lgkmcnt(0)
	s_barrier
	buffer_gl0_inv
	v_cmpx_gt_u32_e32 8, v0
	s_cbranch_execz .LBB270_363
; %bb.344:
	v_lshlrev_b32_e32 v2, 1, v1
	v_and_b32_e32 v6, 7, v1
	s_add_i32 s1, s1, 31
	s_mov_b32 s2, exec_lo
	s_lshr_b32 s1, s1, 5
	ds_load_u16 v2, v2
	v_cmp_ne_u32_e32 vcc_lo, 7, v6
	v_add_nc_u32_e32 v9, 1, v6
	v_add_co_ci_u32_e32 v8, vcc_lo, 0, v1, vcc_lo
	s_delay_alu instid0(VALU_DEP_1)
	v_lshlrev_b32_e32 v8, 2, v8
	s_waitcnt lgkmcnt(0)
	v_and_b32_e32 v7, 0xffff, v2
	ds_bpermute_b32 v8, v8, v7
	v_cmpx_gt_u32_e64 s1, v9
	s_cbranch_execz .LBB270_350
; %bb.345:
	v_lshlrev_b32_e32 v7, 16, v7
	s_mov_b32 s3, exec_lo
	s_delay_alu instid0(VALU_DEP_1)
	v_cmpx_o_f32_e32 v7, v7
	s_cbranch_execz .LBB270_349
; %bb.346:
	s_waitcnt lgkmcnt(0)
	v_lshlrev_b32_e32 v9, 16, v8
	s_mov_b32 s4, exec_lo
	s_delay_alu instid0(VALU_DEP_1)
	v_cmpx_o_f32_e32 v9, v9
; %bb.347:
	v_cmp_lt_f32_e32 vcc_lo, v9, v7
	v_cndmask_b32_e32 v8, v2, v8, vcc_lo
; %bb.348:
	s_or_b32 exec_lo, exec_lo, s4
	s_delay_alu instid0(VALU_DEP_1)
	v_mov_b32_e32 v2, v8
.LBB270_349:
	s_or_b32 exec_lo, exec_lo, s3
	s_delay_alu instid0(VALU_DEP_1)
	v_and_b32_e32 v7, 0xffff, v2
.LBB270_350:
	s_or_b32 exec_lo, exec_lo, s2
	v_cmp_gt_u32_e32 vcc_lo, 6, v6
	v_add_nc_u32_e32 v9, 2, v6
	s_mov_b32 s2, exec_lo
	s_waitcnt lgkmcnt(0)
	v_cndmask_b32_e64 v8, 0, 1, vcc_lo
	s_delay_alu instid0(VALU_DEP_1) | instskip(NEXT) | instid1(VALU_DEP_1)
	v_lshlrev_b32_e32 v8, 1, v8
	v_add_lshl_u32 v8, v8, v1, 2
	ds_bpermute_b32 v8, v8, v7
	v_cmpx_gt_u32_e64 s1, v9
	s_cbranch_execz .LBB270_356
; %bb.351:
	v_lshlrev_b32_e32 v7, 16, v7
	s_mov_b32 s3, exec_lo
	s_delay_alu instid0(VALU_DEP_1)
	v_cmpx_o_f32_e32 v7, v7
	s_cbranch_execz .LBB270_355
; %bb.352:
	s_waitcnt lgkmcnt(0)
	v_lshlrev_b32_e32 v9, 16, v8
	s_mov_b32 s4, exec_lo
	s_delay_alu instid0(VALU_DEP_1)
	v_cmpx_o_f32_e32 v9, v9
; %bb.353:
	v_cmp_lt_f32_e32 vcc_lo, v9, v7
	v_cndmask_b32_e32 v8, v2, v8, vcc_lo
; %bb.354:
	s_or_b32 exec_lo, exec_lo, s4
	s_delay_alu instid0(VALU_DEP_1)
	v_mov_b32_e32 v2, v8
.LBB270_355:
	s_or_b32 exec_lo, exec_lo, s3
	s_delay_alu instid0(VALU_DEP_1)
	v_and_b32_e32 v7, 0xffff, v2
.LBB270_356:
	s_or_b32 exec_lo, exec_lo, s2
	v_cmp_gt_u32_e32 vcc_lo, 4, v6
	v_add_nc_u32_e32 v6, 4, v6
	s_waitcnt lgkmcnt(0)
	v_cndmask_b32_e64 v8, 0, 1, vcc_lo
	s_delay_alu instid0(VALU_DEP_2) | instskip(NEXT) | instid1(VALU_DEP_2)
	v_cmp_gt_u32_e32 vcc_lo, s1, v6
	v_lshlrev_b32_e32 v8, 2, v8
	s_delay_alu instid0(VALU_DEP_1)
	v_add_lshl_u32 v8, v8, v1, 2
	ds_bpermute_b32 v8, v8, v7
	s_and_saveexec_b32 s1, vcc_lo
	s_cbranch_execz .LBB270_362
; %bb.357:
	v_lshlrev_b32_e32 v6, 16, v7
	s_mov_b32 s2, exec_lo
	s_delay_alu instid0(VALU_DEP_1)
	v_cmpx_o_f32_e32 v6, v6
	s_cbranch_execz .LBB270_361
; %bb.358:
	s_waitcnt lgkmcnt(0)
	v_lshlrev_b32_e32 v7, 16, v8
	s_mov_b32 s3, exec_lo
	s_delay_alu instid0(VALU_DEP_1)
	v_cmpx_o_f32_e32 v7, v7
; %bb.359:
	v_cmp_lt_f32_e32 vcc_lo, v7, v6
	v_cndmask_b32_e32 v8, v2, v8, vcc_lo
; %bb.360:
	s_or_b32 exec_lo, exec_lo, s3
	s_delay_alu instid0(VALU_DEP_1)
	v_mov_b32_e32 v2, v8
.LBB270_361:
	s_or_b32 exec_lo, exec_lo, s2
.LBB270_362:
	s_delay_alu instid0(SALU_CYCLE_1)
	s_or_b32 exec_lo, exec_lo, s1
.LBB270_363:
	s_delay_alu instid0(SALU_CYCLE_1)
	s_or_b32 exec_lo, exec_lo, s0
	s_branch .LBB270_402
.LBB270_364:
                                        ; implicit-def: $vgpr2
	s_and_b32 vcc_lo, exec_lo, s0
	s_cbranch_vccz .LBB270_402
; %bb.365:
	v_mov_b32_dpp v2, v4 quad_perm:[1,0,3,2] row_mask:0xf bank_mask:0xf
	s_mov_b32 s0, exec_lo
	s_delay_alu instid0(VALU_DEP_1) | instskip(NEXT) | instid1(VALU_DEP_1)
	v_lshlrev_b32_e32 v6, 16, v2
	v_cmpx_o_f32_e32 v6, v6
	s_cbranch_execz .LBB270_369
; %bb.366:
	v_lshlrev_b32_e32 v4, 16, v4
	s_mov_b32 s1, exec_lo
	s_delay_alu instid0(VALU_DEP_1)
	v_cmpx_o_f32_e32 v4, v4
; %bb.367:
	v_cmp_lt_f32_e32 vcc_lo, v4, v6
	v_cndmask_b32_e32 v5, v2, v5, vcc_lo
; %bb.368:
	s_or_b32 exec_lo, exec_lo, s1
	s_delay_alu instid0(VALU_DEP_1)
	v_mov_b32_e32 v2, v5
.LBB270_369:
	s_or_b32 exec_lo, exec_lo, s0
	s_delay_alu instid0(VALU_DEP_1) | instskip(SKIP_1) | instid1(VALU_DEP_1)
	v_and_b32_e32 v6, 0xffff, v2
	s_mov_b32 s0, exec_lo
	v_mov_b32_dpp v4, v6 quad_perm:[2,3,0,1] row_mask:0xf bank_mask:0xf
	s_delay_alu instid0(VALU_DEP_1) | instskip(NEXT) | instid1(VALU_DEP_1)
	v_lshlrev_b32_e32 v5, 16, v4
	v_cmpx_o_f32_e32 v5, v5
	s_cbranch_execz .LBB270_373
; %bb.370:
	v_lshlrev_b32_e32 v6, 16, v6
	s_mov_b32 s1, exec_lo
	s_delay_alu instid0(VALU_DEP_1)
	v_cmpx_o_f32_e32 v6, v6
; %bb.371:
	v_cmp_lt_f32_e32 vcc_lo, v6, v5
	v_cndmask_b32_e32 v2, v4, v2, vcc_lo
; %bb.372:
	s_or_b32 exec_lo, exec_lo, s1
	s_delay_alu instid0(VALU_DEP_1)
	v_mov_b32_e32 v4, v2
.LBB270_373:
	s_or_b32 exec_lo, exec_lo, s0
	s_delay_alu instid0(VALU_DEP_1) | instskip(SKIP_1) | instid1(VALU_DEP_1)
	v_and_b32_e32 v6, 0xffff, v4
	s_mov_b32 s0, exec_lo
	v_mov_b32_dpp v2, v6 row_ror:4 row_mask:0xf bank_mask:0xf
	s_delay_alu instid0(VALU_DEP_1) | instskip(NEXT) | instid1(VALU_DEP_1)
	v_lshlrev_b32_e32 v5, 16, v2
	v_cmpx_o_f32_e32 v5, v5
	s_cbranch_execz .LBB270_377
; %bb.374:
	v_lshlrev_b32_e32 v6, 16, v6
	s_mov_b32 s1, exec_lo
	s_delay_alu instid0(VALU_DEP_1)
	v_cmpx_o_f32_e32 v6, v6
; %bb.375:
	v_cmp_lt_f32_e32 vcc_lo, v6, v5
	v_cndmask_b32_e32 v4, v2, v4, vcc_lo
; %bb.376:
	s_or_b32 exec_lo, exec_lo, s1
	s_delay_alu instid0(VALU_DEP_1)
	v_mov_b32_e32 v2, v4
.LBB270_377:
	s_or_b32 exec_lo, exec_lo, s0
	s_delay_alu instid0(VALU_DEP_1) | instskip(SKIP_1) | instid1(VALU_DEP_1)
	v_and_b32_e32 v6, 0xffff, v2
	s_mov_b32 s0, exec_lo
	v_mov_b32_dpp v4, v6 row_ror:8 row_mask:0xf bank_mask:0xf
	s_delay_alu instid0(VALU_DEP_1) | instskip(NEXT) | instid1(VALU_DEP_1)
	v_lshlrev_b32_e32 v5, 16, v4
	v_cmpx_o_f32_e32 v5, v5
	s_cbranch_execz .LBB270_381
; %bb.378:
	v_lshlrev_b32_e32 v6, 16, v6
	s_mov_b32 s1, exec_lo
	s_delay_alu instid0(VALU_DEP_1)
	v_cmpx_o_f32_e32 v6, v6
; %bb.379:
	v_cmp_lt_f32_e32 vcc_lo, v6, v5
	v_cndmask_b32_e32 v2, v4, v2, vcc_lo
; %bb.380:
	s_or_b32 exec_lo, exec_lo, s1
	s_delay_alu instid0(VALU_DEP_1)
	v_mov_b32_e32 v4, v2
.LBB270_381:
	s_or_b32 exec_lo, exec_lo, s0
	s_delay_alu instid0(VALU_DEP_1) | instskip(SKIP_4) | instid1(VALU_DEP_1)
	v_and_b32_e32 v6, 0xffff, v4
	s_mov_b32 s0, exec_lo
	ds_swizzle_b32 v2, v6 offset:swizzle(BROADCAST,32,15)
	s_waitcnt lgkmcnt(0)
	v_lshlrev_b32_e32 v5, 16, v2
	v_cmpx_o_f32_e32 v5, v5
	s_cbranch_execz .LBB270_385
; %bb.382:
	v_lshlrev_b32_e32 v6, 16, v6
	s_mov_b32 s1, exec_lo
	s_delay_alu instid0(VALU_DEP_1)
	v_cmpx_o_f32_e32 v6, v6
; %bb.383:
	v_cmp_lt_f32_e32 vcc_lo, v6, v5
	v_cndmask_b32_e32 v4, v2, v4, vcc_lo
; %bb.384:
	s_or_b32 exec_lo, exec_lo, s1
	s_delay_alu instid0(VALU_DEP_1)
	v_mov_b32_e32 v2, v4
.LBB270_385:
	s_or_b32 exec_lo, exec_lo, s0
	s_delay_alu instid0(VALU_DEP_1)
	v_and_b32_e32 v2, 0xffff, v2
	v_mov_b32_e32 v4, 0
	s_mov_b32 s0, exec_lo
	ds_bpermute_b32 v2, v4, v2 offset:124
	v_cmpx_eq_u32_e32 0, v1
	s_cbranch_execz .LBB270_387
; %bb.386:
	v_lshlrev_b32_e32 v3, 1, v3
	s_waitcnt lgkmcnt(0)
	ds_store_b16 v3, v2
.LBB270_387:
	s_or_b32 exec_lo, exec_lo, s0
	s_delay_alu instid0(SALU_CYCLE_1)
	s_mov_b32 s0, exec_lo
	s_waitcnt lgkmcnt(0)
	s_barrier
	buffer_gl0_inv
	v_cmpx_gt_u32_e32 32, v0
	s_cbranch_execz .LBB270_401
; %bb.388:
	v_and_b32_e32 v3, 7, v1
	s_mov_b32 s1, exec_lo
	s_delay_alu instid0(VALU_DEP_1) | instskip(SKIP_3) | instid1(VALU_DEP_1)
	v_lshlrev_b32_e32 v2, 1, v3
	v_cmp_ne_u32_e32 vcc_lo, 7, v3
	ds_load_u16 v2, v2
	v_add_co_ci_u32_e32 v4, vcc_lo, 0, v1, vcc_lo
	v_lshlrev_b32_e32 v4, 2, v4
	s_waitcnt lgkmcnt(0)
	v_and_b32_e32 v5, 0xffff, v2
	ds_bpermute_b32 v4, v4, v5
	v_lshlrev_b32_e32 v5, 16, v2
	s_delay_alu instid0(VALU_DEP_1)
	v_cmpx_o_f32_e32 v5, v5
	s_cbranch_execz .LBB270_392
; %bb.389:
	s_waitcnt lgkmcnt(0)
	v_lshlrev_b32_e32 v6, 16, v4
	s_mov_b32 s2, exec_lo
	s_delay_alu instid0(VALU_DEP_1)
	v_cmpx_o_f32_e32 v6, v6
; %bb.390:
	v_cmp_lt_f32_e32 vcc_lo, v6, v5
	v_cndmask_b32_e32 v4, v2, v4, vcc_lo
; %bb.391:
	s_or_b32 exec_lo, exec_lo, s2
	s_delay_alu instid0(VALU_DEP_1)
	v_mov_b32_e32 v2, v4
.LBB270_392:
	s_or_b32 exec_lo, exec_lo, s1
	v_cmp_gt_u32_e32 vcc_lo, 6, v3
	s_delay_alu instid0(VALU_DEP_2) | instskip(SKIP_3) | instid1(VALU_DEP_1)
	v_and_b32_e32 v5, 0xffff, v2
	s_mov_b32 s1, exec_lo
	s_waitcnt lgkmcnt(0)
	v_cndmask_b32_e64 v4, 0, 1, vcc_lo
	v_lshlrev_b32_e32 v4, 1, v4
	s_delay_alu instid0(VALU_DEP_1) | instskip(SKIP_2) | instid1(VALU_DEP_1)
	v_add_lshl_u32 v4, v4, v1, 2
	ds_bpermute_b32 v4, v4, v5
	v_lshlrev_b32_e32 v5, 16, v2
	v_cmpx_o_f32_e32 v5, v5
	s_cbranch_execz .LBB270_396
; %bb.393:
	s_waitcnt lgkmcnt(0)
	v_lshlrev_b32_e32 v6, 16, v4
	s_mov_b32 s2, exec_lo
	s_delay_alu instid0(VALU_DEP_1)
	v_cmpx_o_f32_e32 v6, v6
; %bb.394:
	v_cmp_lt_f32_e32 vcc_lo, v6, v5
	v_cndmask_b32_e32 v4, v2, v4, vcc_lo
; %bb.395:
	s_or_b32 exec_lo, exec_lo, s2
	s_delay_alu instid0(VALU_DEP_1)
	v_mov_b32_e32 v2, v4
.LBB270_396:
	s_or_b32 exec_lo, exec_lo, s1
	v_cmp_gt_u32_e32 vcc_lo, 4, v3
	s_waitcnt lgkmcnt(0)
	s_delay_alu instid0(VALU_DEP_2) | instskip(SKIP_2) | instid1(VALU_DEP_1)
	v_and_b32_e32 v4, 0xffff, v2
	s_mov_b32 s1, exec_lo
	v_cndmask_b32_e64 v3, 0, 1, vcc_lo
	v_lshlrev_b32_e32 v3, 2, v3
	s_delay_alu instid0(VALU_DEP_1)
	v_add_lshl_u32 v1, v3, v1, 2
	v_lshlrev_b32_e32 v3, 16, v2
	ds_bpermute_b32 v1, v1, v4
	v_cmpx_o_f32_e32 v3, v3
	s_cbranch_execz .LBB270_400
; %bb.397:
	s_waitcnt lgkmcnt(0)
	v_lshlrev_b32_e32 v4, 16, v1
	s_mov_b32 s2, exec_lo
	s_delay_alu instid0(VALU_DEP_1)
	v_cmpx_o_f32_e32 v4, v4
; %bb.398:
	v_cmp_lt_f32_e32 vcc_lo, v4, v3
	v_cndmask_b32_e32 v1, v2, v1, vcc_lo
; %bb.399:
	s_or_b32 exec_lo, exec_lo, s2
	s_delay_alu instid0(VALU_DEP_1)
	v_mov_b32_e32 v2, v1
.LBB270_400:
	s_or_b32 exec_lo, exec_lo, s1
.LBB270_401:
	s_delay_alu instid0(SALU_CYCLE_1)
	s_or_b32 exec_lo, exec_lo, s0
.LBB270_402:
	s_delay_alu instid0(SALU_CYCLE_1)
	s_mov_b32 s0, exec_lo
                                        ; implicit-def: $vgpr1
	v_cmpx_eq_u32_e32 0, v0
	s_cbranch_execz .LBB270_408
; %bb.403:
	s_lshl_b32 s1, s15, 16
	s_waitcnt lgkmcnt(0)
	v_mov_b32_e32 v1, s15
	v_cmp_u_f32_e64 s2, s1, s1
	s_delay_alu instid0(VALU_DEP_1)
	s_and_b32 vcc_lo, exec_lo, s2
	s_cbranch_vccnz .LBB270_407
; %bb.404:
	v_lshlrev_b32_e32 v0, 16, v2
	s_mov_b32 s2, exec_lo
	s_delay_alu instid0(VALU_DEP_1)
	v_cmpx_o_f32_e32 v0, v0
; %bb.405:
	v_cmp_gt_f32_e32 vcc_lo, s1, v0
	v_cndmask_b32_e32 v2, s15, v2, vcc_lo
; %bb.406:
	s_or_b32 exec_lo, exec_lo, s2
	s_delay_alu instid0(VALU_DEP_1)
	v_mov_b32_e32 v1, v2
.LBB270_407:
	s_or_b32 s30, s30, exec_lo
.LBB270_408:
	s_or_b32 exec_lo, exec_lo, s0
	s_and_saveexec_b32 s0, s30
	s_cbranch_execz .LBB270_410
.LBB270_409:
	s_lshl_b64 s[0:1], s[20:21], 1
	v_mov_b32_e32 v0, 0
	s_add_u32 s2, s18, s0
	s_addc_u32 s3, s19, s1
	s_lshl_b64 s[0:1], s[24:25], 1
	s_delay_alu instid0(SALU_CYCLE_1)
	s_add_u32 s0, s2, s0
	s_addc_u32 s1, s3, s1
	s_waitcnt lgkmcnt(0)
	global_store_b16 v0, v1, s[0:1]
.LBB270_410:
	s_nop 0
	s_sendmsg sendmsg(MSG_DEALLOC_VGPRS)
	s_endpgm
	.section	.rodata,"a",@progbits
	.p2align	6, 0x0
	.amdhsa_kernel _ZN7rocprim17ROCPRIM_400000_NS6detail17trampoline_kernelINS0_14default_configENS1_32segmented_reduce_config_selectorIN3c108BFloat16EEEZNS1_21segmented_reduce_implIS3_PKS6_PS6_PKlS6_N6hipcub16HIPCUB_304000_NS6detail27convert_result_type_wrapperISA_SB_N2at6native12_GLOBAL__N_19CustomMinEEEEE10hipError_tPvRmT0_T1_jT2_SS_T4_T3_P12ihipStream_tbEUlT_E_NS1_11comp_targetILNS1_3genE9ELNS1_11target_archE1100ELNS1_3gpuE3ELNS1_3repE0EEENS1_30default_config_static_selectorELNS0_4arch9wavefront6targetE0EEEvSR_
		.amdhsa_group_segment_fixed_size 16
		.amdhsa_private_segment_fixed_size 0
		.amdhsa_kernarg_size 48
		.amdhsa_user_sgpr_count 15
		.amdhsa_user_sgpr_dispatch_ptr 0
		.amdhsa_user_sgpr_queue_ptr 0
		.amdhsa_user_sgpr_kernarg_segment_ptr 1
		.amdhsa_user_sgpr_dispatch_id 0
		.amdhsa_user_sgpr_private_segment_size 0
		.amdhsa_wavefront_size32 1
		.amdhsa_uses_dynamic_stack 0
		.amdhsa_enable_private_segment 0
		.amdhsa_system_sgpr_workgroup_id_x 1
		.amdhsa_system_sgpr_workgroup_id_y 0
		.amdhsa_system_sgpr_workgroup_id_z 0
		.amdhsa_system_sgpr_workgroup_info 0
		.amdhsa_system_vgpr_workitem_id 0
		.amdhsa_next_free_vgpr 24
		.amdhsa_next_free_sgpr 34
		.amdhsa_reserve_vcc 1
		.amdhsa_float_round_mode_32 0
		.amdhsa_float_round_mode_16_64 0
		.amdhsa_float_denorm_mode_32 3
		.amdhsa_float_denorm_mode_16_64 3
		.amdhsa_dx10_clamp 1
		.amdhsa_ieee_mode 1
		.amdhsa_fp16_overflow 0
		.amdhsa_workgroup_processor_mode 1
		.amdhsa_memory_ordered 1
		.amdhsa_forward_progress 0
		.amdhsa_shared_vgpr_count 0
		.amdhsa_exception_fp_ieee_invalid_op 0
		.amdhsa_exception_fp_denorm_src 0
		.amdhsa_exception_fp_ieee_div_zero 0
		.amdhsa_exception_fp_ieee_overflow 0
		.amdhsa_exception_fp_ieee_underflow 0
		.amdhsa_exception_fp_ieee_inexact 0
		.amdhsa_exception_int_div_zero 0
	.end_amdhsa_kernel
	.section	.text._ZN7rocprim17ROCPRIM_400000_NS6detail17trampoline_kernelINS0_14default_configENS1_32segmented_reduce_config_selectorIN3c108BFloat16EEEZNS1_21segmented_reduce_implIS3_PKS6_PS6_PKlS6_N6hipcub16HIPCUB_304000_NS6detail27convert_result_type_wrapperISA_SB_N2at6native12_GLOBAL__N_19CustomMinEEEEE10hipError_tPvRmT0_T1_jT2_SS_T4_T3_P12ihipStream_tbEUlT_E_NS1_11comp_targetILNS1_3genE9ELNS1_11target_archE1100ELNS1_3gpuE3ELNS1_3repE0EEENS1_30default_config_static_selectorELNS0_4arch9wavefront6targetE0EEEvSR_,"axG",@progbits,_ZN7rocprim17ROCPRIM_400000_NS6detail17trampoline_kernelINS0_14default_configENS1_32segmented_reduce_config_selectorIN3c108BFloat16EEEZNS1_21segmented_reduce_implIS3_PKS6_PS6_PKlS6_N6hipcub16HIPCUB_304000_NS6detail27convert_result_type_wrapperISA_SB_N2at6native12_GLOBAL__N_19CustomMinEEEEE10hipError_tPvRmT0_T1_jT2_SS_T4_T3_P12ihipStream_tbEUlT_E_NS1_11comp_targetILNS1_3genE9ELNS1_11target_archE1100ELNS1_3gpuE3ELNS1_3repE0EEENS1_30default_config_static_selectorELNS0_4arch9wavefront6targetE0EEEvSR_,comdat
.Lfunc_end270:
	.size	_ZN7rocprim17ROCPRIM_400000_NS6detail17trampoline_kernelINS0_14default_configENS1_32segmented_reduce_config_selectorIN3c108BFloat16EEEZNS1_21segmented_reduce_implIS3_PKS6_PS6_PKlS6_N6hipcub16HIPCUB_304000_NS6detail27convert_result_type_wrapperISA_SB_N2at6native12_GLOBAL__N_19CustomMinEEEEE10hipError_tPvRmT0_T1_jT2_SS_T4_T3_P12ihipStream_tbEUlT_E_NS1_11comp_targetILNS1_3genE9ELNS1_11target_archE1100ELNS1_3gpuE3ELNS1_3repE0EEENS1_30default_config_static_selectorELNS0_4arch9wavefront6targetE0EEEvSR_, .Lfunc_end270-_ZN7rocprim17ROCPRIM_400000_NS6detail17trampoline_kernelINS0_14default_configENS1_32segmented_reduce_config_selectorIN3c108BFloat16EEEZNS1_21segmented_reduce_implIS3_PKS6_PS6_PKlS6_N6hipcub16HIPCUB_304000_NS6detail27convert_result_type_wrapperISA_SB_N2at6native12_GLOBAL__N_19CustomMinEEEEE10hipError_tPvRmT0_T1_jT2_SS_T4_T3_P12ihipStream_tbEUlT_E_NS1_11comp_targetILNS1_3genE9ELNS1_11target_archE1100ELNS1_3gpuE3ELNS1_3repE0EEENS1_30default_config_static_selectorELNS0_4arch9wavefront6targetE0EEEvSR_
                                        ; -- End function
	.section	.AMDGPU.csdata,"",@progbits
; Kernel info:
; codeLenInByte = 8784
; NumSgprs: 36
; NumVgprs: 24
; ScratchSize: 0
; MemoryBound: 0
; FloatMode: 240
; IeeeMode: 1
; LDSByteSize: 16 bytes/workgroup (compile time only)
; SGPRBlocks: 4
; VGPRBlocks: 2
; NumSGPRsForWavesPerEU: 36
; NumVGPRsForWavesPerEU: 24
; Occupancy: 16
; WaveLimiterHint : 1
; COMPUTE_PGM_RSRC2:SCRATCH_EN: 0
; COMPUTE_PGM_RSRC2:USER_SGPR: 15
; COMPUTE_PGM_RSRC2:TRAP_HANDLER: 0
; COMPUTE_PGM_RSRC2:TGID_X_EN: 1
; COMPUTE_PGM_RSRC2:TGID_Y_EN: 0
; COMPUTE_PGM_RSRC2:TGID_Z_EN: 0
; COMPUTE_PGM_RSRC2:TIDIG_COMP_CNT: 0
	.section	.text._ZN7rocprim17ROCPRIM_400000_NS6detail17trampoline_kernelINS0_14default_configENS1_32segmented_reduce_config_selectorIN3c108BFloat16EEEZNS1_21segmented_reduce_implIS3_PKS6_PS6_PKlS6_N6hipcub16HIPCUB_304000_NS6detail27convert_result_type_wrapperISA_SB_N2at6native12_GLOBAL__N_19CustomMinEEEEE10hipError_tPvRmT0_T1_jT2_SS_T4_T3_P12ihipStream_tbEUlT_E_NS1_11comp_targetILNS1_3genE8ELNS1_11target_archE1030ELNS1_3gpuE2ELNS1_3repE0EEENS1_30default_config_static_selectorELNS0_4arch9wavefront6targetE0EEEvSR_,"axG",@progbits,_ZN7rocprim17ROCPRIM_400000_NS6detail17trampoline_kernelINS0_14default_configENS1_32segmented_reduce_config_selectorIN3c108BFloat16EEEZNS1_21segmented_reduce_implIS3_PKS6_PS6_PKlS6_N6hipcub16HIPCUB_304000_NS6detail27convert_result_type_wrapperISA_SB_N2at6native12_GLOBAL__N_19CustomMinEEEEE10hipError_tPvRmT0_T1_jT2_SS_T4_T3_P12ihipStream_tbEUlT_E_NS1_11comp_targetILNS1_3genE8ELNS1_11target_archE1030ELNS1_3gpuE2ELNS1_3repE0EEENS1_30default_config_static_selectorELNS0_4arch9wavefront6targetE0EEEvSR_,comdat
	.globl	_ZN7rocprim17ROCPRIM_400000_NS6detail17trampoline_kernelINS0_14default_configENS1_32segmented_reduce_config_selectorIN3c108BFloat16EEEZNS1_21segmented_reduce_implIS3_PKS6_PS6_PKlS6_N6hipcub16HIPCUB_304000_NS6detail27convert_result_type_wrapperISA_SB_N2at6native12_GLOBAL__N_19CustomMinEEEEE10hipError_tPvRmT0_T1_jT2_SS_T4_T3_P12ihipStream_tbEUlT_E_NS1_11comp_targetILNS1_3genE8ELNS1_11target_archE1030ELNS1_3gpuE2ELNS1_3repE0EEENS1_30default_config_static_selectorELNS0_4arch9wavefront6targetE0EEEvSR_ ; -- Begin function _ZN7rocprim17ROCPRIM_400000_NS6detail17trampoline_kernelINS0_14default_configENS1_32segmented_reduce_config_selectorIN3c108BFloat16EEEZNS1_21segmented_reduce_implIS3_PKS6_PS6_PKlS6_N6hipcub16HIPCUB_304000_NS6detail27convert_result_type_wrapperISA_SB_N2at6native12_GLOBAL__N_19CustomMinEEEEE10hipError_tPvRmT0_T1_jT2_SS_T4_T3_P12ihipStream_tbEUlT_E_NS1_11comp_targetILNS1_3genE8ELNS1_11target_archE1030ELNS1_3gpuE2ELNS1_3repE0EEENS1_30default_config_static_selectorELNS0_4arch9wavefront6targetE0EEEvSR_
	.p2align	8
	.type	_ZN7rocprim17ROCPRIM_400000_NS6detail17trampoline_kernelINS0_14default_configENS1_32segmented_reduce_config_selectorIN3c108BFloat16EEEZNS1_21segmented_reduce_implIS3_PKS6_PS6_PKlS6_N6hipcub16HIPCUB_304000_NS6detail27convert_result_type_wrapperISA_SB_N2at6native12_GLOBAL__N_19CustomMinEEEEE10hipError_tPvRmT0_T1_jT2_SS_T4_T3_P12ihipStream_tbEUlT_E_NS1_11comp_targetILNS1_3genE8ELNS1_11target_archE1030ELNS1_3gpuE2ELNS1_3repE0EEENS1_30default_config_static_selectorELNS0_4arch9wavefront6targetE0EEEvSR_,@function
_ZN7rocprim17ROCPRIM_400000_NS6detail17trampoline_kernelINS0_14default_configENS1_32segmented_reduce_config_selectorIN3c108BFloat16EEEZNS1_21segmented_reduce_implIS3_PKS6_PS6_PKlS6_N6hipcub16HIPCUB_304000_NS6detail27convert_result_type_wrapperISA_SB_N2at6native12_GLOBAL__N_19CustomMinEEEEE10hipError_tPvRmT0_T1_jT2_SS_T4_T3_P12ihipStream_tbEUlT_E_NS1_11comp_targetILNS1_3genE8ELNS1_11target_archE1030ELNS1_3gpuE2ELNS1_3repE0EEENS1_30default_config_static_selectorELNS0_4arch9wavefront6targetE0EEEvSR_: ; @_ZN7rocprim17ROCPRIM_400000_NS6detail17trampoline_kernelINS0_14default_configENS1_32segmented_reduce_config_selectorIN3c108BFloat16EEEZNS1_21segmented_reduce_implIS3_PKS6_PS6_PKlS6_N6hipcub16HIPCUB_304000_NS6detail27convert_result_type_wrapperISA_SB_N2at6native12_GLOBAL__N_19CustomMinEEEEE10hipError_tPvRmT0_T1_jT2_SS_T4_T3_P12ihipStream_tbEUlT_E_NS1_11comp_targetILNS1_3genE8ELNS1_11target_archE1030ELNS1_3gpuE2ELNS1_3repE0EEENS1_30default_config_static_selectorELNS0_4arch9wavefront6targetE0EEEvSR_
; %bb.0:
	.section	.rodata,"a",@progbits
	.p2align	6, 0x0
	.amdhsa_kernel _ZN7rocprim17ROCPRIM_400000_NS6detail17trampoline_kernelINS0_14default_configENS1_32segmented_reduce_config_selectorIN3c108BFloat16EEEZNS1_21segmented_reduce_implIS3_PKS6_PS6_PKlS6_N6hipcub16HIPCUB_304000_NS6detail27convert_result_type_wrapperISA_SB_N2at6native12_GLOBAL__N_19CustomMinEEEEE10hipError_tPvRmT0_T1_jT2_SS_T4_T3_P12ihipStream_tbEUlT_E_NS1_11comp_targetILNS1_3genE8ELNS1_11target_archE1030ELNS1_3gpuE2ELNS1_3repE0EEENS1_30default_config_static_selectorELNS0_4arch9wavefront6targetE0EEEvSR_
		.amdhsa_group_segment_fixed_size 0
		.amdhsa_private_segment_fixed_size 0
		.amdhsa_kernarg_size 48
		.amdhsa_user_sgpr_count 15
		.amdhsa_user_sgpr_dispatch_ptr 0
		.amdhsa_user_sgpr_queue_ptr 0
		.amdhsa_user_sgpr_kernarg_segment_ptr 1
		.amdhsa_user_sgpr_dispatch_id 0
		.amdhsa_user_sgpr_private_segment_size 0
		.amdhsa_wavefront_size32 1
		.amdhsa_uses_dynamic_stack 0
		.amdhsa_enable_private_segment 0
		.amdhsa_system_sgpr_workgroup_id_x 1
		.amdhsa_system_sgpr_workgroup_id_y 0
		.amdhsa_system_sgpr_workgroup_id_z 0
		.amdhsa_system_sgpr_workgroup_info 0
		.amdhsa_system_vgpr_workitem_id 0
		.amdhsa_next_free_vgpr 1
		.amdhsa_next_free_sgpr 1
		.amdhsa_reserve_vcc 0
		.amdhsa_float_round_mode_32 0
		.amdhsa_float_round_mode_16_64 0
		.amdhsa_float_denorm_mode_32 3
		.amdhsa_float_denorm_mode_16_64 3
		.amdhsa_dx10_clamp 1
		.amdhsa_ieee_mode 1
		.amdhsa_fp16_overflow 0
		.amdhsa_workgroup_processor_mode 1
		.amdhsa_memory_ordered 1
		.amdhsa_forward_progress 0
		.amdhsa_shared_vgpr_count 0
		.amdhsa_exception_fp_ieee_invalid_op 0
		.amdhsa_exception_fp_denorm_src 0
		.amdhsa_exception_fp_ieee_div_zero 0
		.amdhsa_exception_fp_ieee_overflow 0
		.amdhsa_exception_fp_ieee_underflow 0
		.amdhsa_exception_fp_ieee_inexact 0
		.amdhsa_exception_int_div_zero 0
	.end_amdhsa_kernel
	.section	.text._ZN7rocprim17ROCPRIM_400000_NS6detail17trampoline_kernelINS0_14default_configENS1_32segmented_reduce_config_selectorIN3c108BFloat16EEEZNS1_21segmented_reduce_implIS3_PKS6_PS6_PKlS6_N6hipcub16HIPCUB_304000_NS6detail27convert_result_type_wrapperISA_SB_N2at6native12_GLOBAL__N_19CustomMinEEEEE10hipError_tPvRmT0_T1_jT2_SS_T4_T3_P12ihipStream_tbEUlT_E_NS1_11comp_targetILNS1_3genE8ELNS1_11target_archE1030ELNS1_3gpuE2ELNS1_3repE0EEENS1_30default_config_static_selectorELNS0_4arch9wavefront6targetE0EEEvSR_,"axG",@progbits,_ZN7rocprim17ROCPRIM_400000_NS6detail17trampoline_kernelINS0_14default_configENS1_32segmented_reduce_config_selectorIN3c108BFloat16EEEZNS1_21segmented_reduce_implIS3_PKS6_PS6_PKlS6_N6hipcub16HIPCUB_304000_NS6detail27convert_result_type_wrapperISA_SB_N2at6native12_GLOBAL__N_19CustomMinEEEEE10hipError_tPvRmT0_T1_jT2_SS_T4_T3_P12ihipStream_tbEUlT_E_NS1_11comp_targetILNS1_3genE8ELNS1_11target_archE1030ELNS1_3gpuE2ELNS1_3repE0EEENS1_30default_config_static_selectorELNS0_4arch9wavefront6targetE0EEEvSR_,comdat
.Lfunc_end271:
	.size	_ZN7rocprim17ROCPRIM_400000_NS6detail17trampoline_kernelINS0_14default_configENS1_32segmented_reduce_config_selectorIN3c108BFloat16EEEZNS1_21segmented_reduce_implIS3_PKS6_PS6_PKlS6_N6hipcub16HIPCUB_304000_NS6detail27convert_result_type_wrapperISA_SB_N2at6native12_GLOBAL__N_19CustomMinEEEEE10hipError_tPvRmT0_T1_jT2_SS_T4_T3_P12ihipStream_tbEUlT_E_NS1_11comp_targetILNS1_3genE8ELNS1_11target_archE1030ELNS1_3gpuE2ELNS1_3repE0EEENS1_30default_config_static_selectorELNS0_4arch9wavefront6targetE0EEEvSR_, .Lfunc_end271-_ZN7rocprim17ROCPRIM_400000_NS6detail17trampoline_kernelINS0_14default_configENS1_32segmented_reduce_config_selectorIN3c108BFloat16EEEZNS1_21segmented_reduce_implIS3_PKS6_PS6_PKlS6_N6hipcub16HIPCUB_304000_NS6detail27convert_result_type_wrapperISA_SB_N2at6native12_GLOBAL__N_19CustomMinEEEEE10hipError_tPvRmT0_T1_jT2_SS_T4_T3_P12ihipStream_tbEUlT_E_NS1_11comp_targetILNS1_3genE8ELNS1_11target_archE1030ELNS1_3gpuE2ELNS1_3repE0EEENS1_30default_config_static_selectorELNS0_4arch9wavefront6targetE0EEEvSR_
                                        ; -- End function
	.section	.AMDGPU.csdata,"",@progbits
; Kernel info:
; codeLenInByte = 0
; NumSgprs: 0
; NumVgprs: 0
; ScratchSize: 0
; MemoryBound: 0
; FloatMode: 240
; IeeeMode: 1
; LDSByteSize: 0 bytes/workgroup (compile time only)
; SGPRBlocks: 0
; VGPRBlocks: 0
; NumSGPRsForWavesPerEU: 1
; NumVGPRsForWavesPerEU: 1
; Occupancy: 16
; WaveLimiterHint : 0
; COMPUTE_PGM_RSRC2:SCRATCH_EN: 0
; COMPUTE_PGM_RSRC2:USER_SGPR: 15
; COMPUTE_PGM_RSRC2:TRAP_HANDLER: 0
; COMPUTE_PGM_RSRC2:TGID_X_EN: 1
; COMPUTE_PGM_RSRC2:TGID_Y_EN: 0
; COMPUTE_PGM_RSRC2:TGID_Z_EN: 0
; COMPUTE_PGM_RSRC2:TIDIG_COMP_CNT: 0
	.section	.text._ZN7rocprim17ROCPRIM_400000_NS6detail17trampoline_kernelINS0_14default_configENS1_32segmented_reduce_config_selectorIN3c108BFloat16EEEZNS1_21segmented_reduce_implIS3_PKS6_PS6_PKlS6_N6hipcub16HIPCUB_304000_NS6detail27convert_result_type_wrapperISA_SB_N2at6native12_GLOBAL__N_110CustomProdEEEEE10hipError_tPvRmT0_T1_jT2_SS_T4_T3_P12ihipStream_tbEUlT_E_NS1_11comp_targetILNS1_3genE0ELNS1_11target_archE4294967295ELNS1_3gpuE0ELNS1_3repE0EEENS1_30default_config_static_selectorELNS0_4arch9wavefront6targetE0EEEvSR_,"axG",@progbits,_ZN7rocprim17ROCPRIM_400000_NS6detail17trampoline_kernelINS0_14default_configENS1_32segmented_reduce_config_selectorIN3c108BFloat16EEEZNS1_21segmented_reduce_implIS3_PKS6_PS6_PKlS6_N6hipcub16HIPCUB_304000_NS6detail27convert_result_type_wrapperISA_SB_N2at6native12_GLOBAL__N_110CustomProdEEEEE10hipError_tPvRmT0_T1_jT2_SS_T4_T3_P12ihipStream_tbEUlT_E_NS1_11comp_targetILNS1_3genE0ELNS1_11target_archE4294967295ELNS1_3gpuE0ELNS1_3repE0EEENS1_30default_config_static_selectorELNS0_4arch9wavefront6targetE0EEEvSR_,comdat
	.globl	_ZN7rocprim17ROCPRIM_400000_NS6detail17trampoline_kernelINS0_14default_configENS1_32segmented_reduce_config_selectorIN3c108BFloat16EEEZNS1_21segmented_reduce_implIS3_PKS6_PS6_PKlS6_N6hipcub16HIPCUB_304000_NS6detail27convert_result_type_wrapperISA_SB_N2at6native12_GLOBAL__N_110CustomProdEEEEE10hipError_tPvRmT0_T1_jT2_SS_T4_T3_P12ihipStream_tbEUlT_E_NS1_11comp_targetILNS1_3genE0ELNS1_11target_archE4294967295ELNS1_3gpuE0ELNS1_3repE0EEENS1_30default_config_static_selectorELNS0_4arch9wavefront6targetE0EEEvSR_ ; -- Begin function _ZN7rocprim17ROCPRIM_400000_NS6detail17trampoline_kernelINS0_14default_configENS1_32segmented_reduce_config_selectorIN3c108BFloat16EEEZNS1_21segmented_reduce_implIS3_PKS6_PS6_PKlS6_N6hipcub16HIPCUB_304000_NS6detail27convert_result_type_wrapperISA_SB_N2at6native12_GLOBAL__N_110CustomProdEEEEE10hipError_tPvRmT0_T1_jT2_SS_T4_T3_P12ihipStream_tbEUlT_E_NS1_11comp_targetILNS1_3genE0ELNS1_11target_archE4294967295ELNS1_3gpuE0ELNS1_3repE0EEENS1_30default_config_static_selectorELNS0_4arch9wavefront6targetE0EEEvSR_
	.p2align	8
	.type	_ZN7rocprim17ROCPRIM_400000_NS6detail17trampoline_kernelINS0_14default_configENS1_32segmented_reduce_config_selectorIN3c108BFloat16EEEZNS1_21segmented_reduce_implIS3_PKS6_PS6_PKlS6_N6hipcub16HIPCUB_304000_NS6detail27convert_result_type_wrapperISA_SB_N2at6native12_GLOBAL__N_110CustomProdEEEEE10hipError_tPvRmT0_T1_jT2_SS_T4_T3_P12ihipStream_tbEUlT_E_NS1_11comp_targetILNS1_3genE0ELNS1_11target_archE4294967295ELNS1_3gpuE0ELNS1_3repE0EEENS1_30default_config_static_selectorELNS0_4arch9wavefront6targetE0EEEvSR_,@function
_ZN7rocprim17ROCPRIM_400000_NS6detail17trampoline_kernelINS0_14default_configENS1_32segmented_reduce_config_selectorIN3c108BFloat16EEEZNS1_21segmented_reduce_implIS3_PKS6_PS6_PKlS6_N6hipcub16HIPCUB_304000_NS6detail27convert_result_type_wrapperISA_SB_N2at6native12_GLOBAL__N_110CustomProdEEEEE10hipError_tPvRmT0_T1_jT2_SS_T4_T3_P12ihipStream_tbEUlT_E_NS1_11comp_targetILNS1_3genE0ELNS1_11target_archE4294967295ELNS1_3gpuE0ELNS1_3repE0EEENS1_30default_config_static_selectorELNS0_4arch9wavefront6targetE0EEEvSR_: ; @_ZN7rocprim17ROCPRIM_400000_NS6detail17trampoline_kernelINS0_14default_configENS1_32segmented_reduce_config_selectorIN3c108BFloat16EEEZNS1_21segmented_reduce_implIS3_PKS6_PS6_PKlS6_N6hipcub16HIPCUB_304000_NS6detail27convert_result_type_wrapperISA_SB_N2at6native12_GLOBAL__N_110CustomProdEEEEE10hipError_tPvRmT0_T1_jT2_SS_T4_T3_P12ihipStream_tbEUlT_E_NS1_11comp_targetILNS1_3genE0ELNS1_11target_archE4294967295ELNS1_3gpuE0ELNS1_3repE0EEENS1_30default_config_static_selectorELNS0_4arch9wavefront6targetE0EEEvSR_
; %bb.0:
	.section	.rodata,"a",@progbits
	.p2align	6, 0x0
	.amdhsa_kernel _ZN7rocprim17ROCPRIM_400000_NS6detail17trampoline_kernelINS0_14default_configENS1_32segmented_reduce_config_selectorIN3c108BFloat16EEEZNS1_21segmented_reduce_implIS3_PKS6_PS6_PKlS6_N6hipcub16HIPCUB_304000_NS6detail27convert_result_type_wrapperISA_SB_N2at6native12_GLOBAL__N_110CustomProdEEEEE10hipError_tPvRmT0_T1_jT2_SS_T4_T3_P12ihipStream_tbEUlT_E_NS1_11comp_targetILNS1_3genE0ELNS1_11target_archE4294967295ELNS1_3gpuE0ELNS1_3repE0EEENS1_30default_config_static_selectorELNS0_4arch9wavefront6targetE0EEEvSR_
		.amdhsa_group_segment_fixed_size 0
		.amdhsa_private_segment_fixed_size 0
		.amdhsa_kernarg_size 48
		.amdhsa_user_sgpr_count 15
		.amdhsa_user_sgpr_dispatch_ptr 0
		.amdhsa_user_sgpr_queue_ptr 0
		.amdhsa_user_sgpr_kernarg_segment_ptr 1
		.amdhsa_user_sgpr_dispatch_id 0
		.amdhsa_user_sgpr_private_segment_size 0
		.amdhsa_wavefront_size32 1
		.amdhsa_uses_dynamic_stack 0
		.amdhsa_enable_private_segment 0
		.amdhsa_system_sgpr_workgroup_id_x 1
		.amdhsa_system_sgpr_workgroup_id_y 0
		.amdhsa_system_sgpr_workgroup_id_z 0
		.amdhsa_system_sgpr_workgroup_info 0
		.amdhsa_system_vgpr_workitem_id 0
		.amdhsa_next_free_vgpr 1
		.amdhsa_next_free_sgpr 1
		.amdhsa_reserve_vcc 0
		.amdhsa_float_round_mode_32 0
		.amdhsa_float_round_mode_16_64 0
		.amdhsa_float_denorm_mode_32 3
		.amdhsa_float_denorm_mode_16_64 3
		.amdhsa_dx10_clamp 1
		.amdhsa_ieee_mode 1
		.amdhsa_fp16_overflow 0
		.amdhsa_workgroup_processor_mode 1
		.amdhsa_memory_ordered 1
		.amdhsa_forward_progress 0
		.amdhsa_shared_vgpr_count 0
		.amdhsa_exception_fp_ieee_invalid_op 0
		.amdhsa_exception_fp_denorm_src 0
		.amdhsa_exception_fp_ieee_div_zero 0
		.amdhsa_exception_fp_ieee_overflow 0
		.amdhsa_exception_fp_ieee_underflow 0
		.amdhsa_exception_fp_ieee_inexact 0
		.amdhsa_exception_int_div_zero 0
	.end_amdhsa_kernel
	.section	.text._ZN7rocprim17ROCPRIM_400000_NS6detail17trampoline_kernelINS0_14default_configENS1_32segmented_reduce_config_selectorIN3c108BFloat16EEEZNS1_21segmented_reduce_implIS3_PKS6_PS6_PKlS6_N6hipcub16HIPCUB_304000_NS6detail27convert_result_type_wrapperISA_SB_N2at6native12_GLOBAL__N_110CustomProdEEEEE10hipError_tPvRmT0_T1_jT2_SS_T4_T3_P12ihipStream_tbEUlT_E_NS1_11comp_targetILNS1_3genE0ELNS1_11target_archE4294967295ELNS1_3gpuE0ELNS1_3repE0EEENS1_30default_config_static_selectorELNS0_4arch9wavefront6targetE0EEEvSR_,"axG",@progbits,_ZN7rocprim17ROCPRIM_400000_NS6detail17trampoline_kernelINS0_14default_configENS1_32segmented_reduce_config_selectorIN3c108BFloat16EEEZNS1_21segmented_reduce_implIS3_PKS6_PS6_PKlS6_N6hipcub16HIPCUB_304000_NS6detail27convert_result_type_wrapperISA_SB_N2at6native12_GLOBAL__N_110CustomProdEEEEE10hipError_tPvRmT0_T1_jT2_SS_T4_T3_P12ihipStream_tbEUlT_E_NS1_11comp_targetILNS1_3genE0ELNS1_11target_archE4294967295ELNS1_3gpuE0ELNS1_3repE0EEENS1_30default_config_static_selectorELNS0_4arch9wavefront6targetE0EEEvSR_,comdat
.Lfunc_end272:
	.size	_ZN7rocprim17ROCPRIM_400000_NS6detail17trampoline_kernelINS0_14default_configENS1_32segmented_reduce_config_selectorIN3c108BFloat16EEEZNS1_21segmented_reduce_implIS3_PKS6_PS6_PKlS6_N6hipcub16HIPCUB_304000_NS6detail27convert_result_type_wrapperISA_SB_N2at6native12_GLOBAL__N_110CustomProdEEEEE10hipError_tPvRmT0_T1_jT2_SS_T4_T3_P12ihipStream_tbEUlT_E_NS1_11comp_targetILNS1_3genE0ELNS1_11target_archE4294967295ELNS1_3gpuE0ELNS1_3repE0EEENS1_30default_config_static_selectorELNS0_4arch9wavefront6targetE0EEEvSR_, .Lfunc_end272-_ZN7rocprim17ROCPRIM_400000_NS6detail17trampoline_kernelINS0_14default_configENS1_32segmented_reduce_config_selectorIN3c108BFloat16EEEZNS1_21segmented_reduce_implIS3_PKS6_PS6_PKlS6_N6hipcub16HIPCUB_304000_NS6detail27convert_result_type_wrapperISA_SB_N2at6native12_GLOBAL__N_110CustomProdEEEEE10hipError_tPvRmT0_T1_jT2_SS_T4_T3_P12ihipStream_tbEUlT_E_NS1_11comp_targetILNS1_3genE0ELNS1_11target_archE4294967295ELNS1_3gpuE0ELNS1_3repE0EEENS1_30default_config_static_selectorELNS0_4arch9wavefront6targetE0EEEvSR_
                                        ; -- End function
	.section	.AMDGPU.csdata,"",@progbits
; Kernel info:
; codeLenInByte = 0
; NumSgprs: 0
; NumVgprs: 0
; ScratchSize: 0
; MemoryBound: 0
; FloatMode: 240
; IeeeMode: 1
; LDSByteSize: 0 bytes/workgroup (compile time only)
; SGPRBlocks: 0
; VGPRBlocks: 0
; NumSGPRsForWavesPerEU: 1
; NumVGPRsForWavesPerEU: 1
; Occupancy: 16
; WaveLimiterHint : 0
; COMPUTE_PGM_RSRC2:SCRATCH_EN: 0
; COMPUTE_PGM_RSRC2:USER_SGPR: 15
; COMPUTE_PGM_RSRC2:TRAP_HANDLER: 0
; COMPUTE_PGM_RSRC2:TGID_X_EN: 1
; COMPUTE_PGM_RSRC2:TGID_Y_EN: 0
; COMPUTE_PGM_RSRC2:TGID_Z_EN: 0
; COMPUTE_PGM_RSRC2:TIDIG_COMP_CNT: 0
	.section	.text._ZN7rocprim17ROCPRIM_400000_NS6detail17trampoline_kernelINS0_14default_configENS1_32segmented_reduce_config_selectorIN3c108BFloat16EEEZNS1_21segmented_reduce_implIS3_PKS6_PS6_PKlS6_N6hipcub16HIPCUB_304000_NS6detail27convert_result_type_wrapperISA_SB_N2at6native12_GLOBAL__N_110CustomProdEEEEE10hipError_tPvRmT0_T1_jT2_SS_T4_T3_P12ihipStream_tbEUlT_E_NS1_11comp_targetILNS1_3genE5ELNS1_11target_archE942ELNS1_3gpuE9ELNS1_3repE0EEENS1_30default_config_static_selectorELNS0_4arch9wavefront6targetE0EEEvSR_,"axG",@progbits,_ZN7rocprim17ROCPRIM_400000_NS6detail17trampoline_kernelINS0_14default_configENS1_32segmented_reduce_config_selectorIN3c108BFloat16EEEZNS1_21segmented_reduce_implIS3_PKS6_PS6_PKlS6_N6hipcub16HIPCUB_304000_NS6detail27convert_result_type_wrapperISA_SB_N2at6native12_GLOBAL__N_110CustomProdEEEEE10hipError_tPvRmT0_T1_jT2_SS_T4_T3_P12ihipStream_tbEUlT_E_NS1_11comp_targetILNS1_3genE5ELNS1_11target_archE942ELNS1_3gpuE9ELNS1_3repE0EEENS1_30default_config_static_selectorELNS0_4arch9wavefront6targetE0EEEvSR_,comdat
	.globl	_ZN7rocprim17ROCPRIM_400000_NS6detail17trampoline_kernelINS0_14default_configENS1_32segmented_reduce_config_selectorIN3c108BFloat16EEEZNS1_21segmented_reduce_implIS3_PKS6_PS6_PKlS6_N6hipcub16HIPCUB_304000_NS6detail27convert_result_type_wrapperISA_SB_N2at6native12_GLOBAL__N_110CustomProdEEEEE10hipError_tPvRmT0_T1_jT2_SS_T4_T3_P12ihipStream_tbEUlT_E_NS1_11comp_targetILNS1_3genE5ELNS1_11target_archE942ELNS1_3gpuE9ELNS1_3repE0EEENS1_30default_config_static_selectorELNS0_4arch9wavefront6targetE0EEEvSR_ ; -- Begin function _ZN7rocprim17ROCPRIM_400000_NS6detail17trampoline_kernelINS0_14default_configENS1_32segmented_reduce_config_selectorIN3c108BFloat16EEEZNS1_21segmented_reduce_implIS3_PKS6_PS6_PKlS6_N6hipcub16HIPCUB_304000_NS6detail27convert_result_type_wrapperISA_SB_N2at6native12_GLOBAL__N_110CustomProdEEEEE10hipError_tPvRmT0_T1_jT2_SS_T4_T3_P12ihipStream_tbEUlT_E_NS1_11comp_targetILNS1_3genE5ELNS1_11target_archE942ELNS1_3gpuE9ELNS1_3repE0EEENS1_30default_config_static_selectorELNS0_4arch9wavefront6targetE0EEEvSR_
	.p2align	8
	.type	_ZN7rocprim17ROCPRIM_400000_NS6detail17trampoline_kernelINS0_14default_configENS1_32segmented_reduce_config_selectorIN3c108BFloat16EEEZNS1_21segmented_reduce_implIS3_PKS6_PS6_PKlS6_N6hipcub16HIPCUB_304000_NS6detail27convert_result_type_wrapperISA_SB_N2at6native12_GLOBAL__N_110CustomProdEEEEE10hipError_tPvRmT0_T1_jT2_SS_T4_T3_P12ihipStream_tbEUlT_E_NS1_11comp_targetILNS1_3genE5ELNS1_11target_archE942ELNS1_3gpuE9ELNS1_3repE0EEENS1_30default_config_static_selectorELNS0_4arch9wavefront6targetE0EEEvSR_,@function
_ZN7rocprim17ROCPRIM_400000_NS6detail17trampoline_kernelINS0_14default_configENS1_32segmented_reduce_config_selectorIN3c108BFloat16EEEZNS1_21segmented_reduce_implIS3_PKS6_PS6_PKlS6_N6hipcub16HIPCUB_304000_NS6detail27convert_result_type_wrapperISA_SB_N2at6native12_GLOBAL__N_110CustomProdEEEEE10hipError_tPvRmT0_T1_jT2_SS_T4_T3_P12ihipStream_tbEUlT_E_NS1_11comp_targetILNS1_3genE5ELNS1_11target_archE942ELNS1_3gpuE9ELNS1_3repE0EEENS1_30default_config_static_selectorELNS0_4arch9wavefront6targetE0EEEvSR_: ; @_ZN7rocprim17ROCPRIM_400000_NS6detail17trampoline_kernelINS0_14default_configENS1_32segmented_reduce_config_selectorIN3c108BFloat16EEEZNS1_21segmented_reduce_implIS3_PKS6_PS6_PKlS6_N6hipcub16HIPCUB_304000_NS6detail27convert_result_type_wrapperISA_SB_N2at6native12_GLOBAL__N_110CustomProdEEEEE10hipError_tPvRmT0_T1_jT2_SS_T4_T3_P12ihipStream_tbEUlT_E_NS1_11comp_targetILNS1_3genE5ELNS1_11target_archE942ELNS1_3gpuE9ELNS1_3repE0EEENS1_30default_config_static_selectorELNS0_4arch9wavefront6targetE0EEEvSR_
; %bb.0:
	.section	.rodata,"a",@progbits
	.p2align	6, 0x0
	.amdhsa_kernel _ZN7rocprim17ROCPRIM_400000_NS6detail17trampoline_kernelINS0_14default_configENS1_32segmented_reduce_config_selectorIN3c108BFloat16EEEZNS1_21segmented_reduce_implIS3_PKS6_PS6_PKlS6_N6hipcub16HIPCUB_304000_NS6detail27convert_result_type_wrapperISA_SB_N2at6native12_GLOBAL__N_110CustomProdEEEEE10hipError_tPvRmT0_T1_jT2_SS_T4_T3_P12ihipStream_tbEUlT_E_NS1_11comp_targetILNS1_3genE5ELNS1_11target_archE942ELNS1_3gpuE9ELNS1_3repE0EEENS1_30default_config_static_selectorELNS0_4arch9wavefront6targetE0EEEvSR_
		.amdhsa_group_segment_fixed_size 0
		.amdhsa_private_segment_fixed_size 0
		.amdhsa_kernarg_size 48
		.amdhsa_user_sgpr_count 15
		.amdhsa_user_sgpr_dispatch_ptr 0
		.amdhsa_user_sgpr_queue_ptr 0
		.amdhsa_user_sgpr_kernarg_segment_ptr 1
		.amdhsa_user_sgpr_dispatch_id 0
		.amdhsa_user_sgpr_private_segment_size 0
		.amdhsa_wavefront_size32 1
		.amdhsa_uses_dynamic_stack 0
		.amdhsa_enable_private_segment 0
		.amdhsa_system_sgpr_workgroup_id_x 1
		.amdhsa_system_sgpr_workgroup_id_y 0
		.amdhsa_system_sgpr_workgroup_id_z 0
		.amdhsa_system_sgpr_workgroup_info 0
		.amdhsa_system_vgpr_workitem_id 0
		.amdhsa_next_free_vgpr 1
		.amdhsa_next_free_sgpr 1
		.amdhsa_reserve_vcc 0
		.amdhsa_float_round_mode_32 0
		.amdhsa_float_round_mode_16_64 0
		.amdhsa_float_denorm_mode_32 3
		.amdhsa_float_denorm_mode_16_64 3
		.amdhsa_dx10_clamp 1
		.amdhsa_ieee_mode 1
		.amdhsa_fp16_overflow 0
		.amdhsa_workgroup_processor_mode 1
		.amdhsa_memory_ordered 1
		.amdhsa_forward_progress 0
		.amdhsa_shared_vgpr_count 0
		.amdhsa_exception_fp_ieee_invalid_op 0
		.amdhsa_exception_fp_denorm_src 0
		.amdhsa_exception_fp_ieee_div_zero 0
		.amdhsa_exception_fp_ieee_overflow 0
		.amdhsa_exception_fp_ieee_underflow 0
		.amdhsa_exception_fp_ieee_inexact 0
		.amdhsa_exception_int_div_zero 0
	.end_amdhsa_kernel
	.section	.text._ZN7rocprim17ROCPRIM_400000_NS6detail17trampoline_kernelINS0_14default_configENS1_32segmented_reduce_config_selectorIN3c108BFloat16EEEZNS1_21segmented_reduce_implIS3_PKS6_PS6_PKlS6_N6hipcub16HIPCUB_304000_NS6detail27convert_result_type_wrapperISA_SB_N2at6native12_GLOBAL__N_110CustomProdEEEEE10hipError_tPvRmT0_T1_jT2_SS_T4_T3_P12ihipStream_tbEUlT_E_NS1_11comp_targetILNS1_3genE5ELNS1_11target_archE942ELNS1_3gpuE9ELNS1_3repE0EEENS1_30default_config_static_selectorELNS0_4arch9wavefront6targetE0EEEvSR_,"axG",@progbits,_ZN7rocprim17ROCPRIM_400000_NS6detail17trampoline_kernelINS0_14default_configENS1_32segmented_reduce_config_selectorIN3c108BFloat16EEEZNS1_21segmented_reduce_implIS3_PKS6_PS6_PKlS6_N6hipcub16HIPCUB_304000_NS6detail27convert_result_type_wrapperISA_SB_N2at6native12_GLOBAL__N_110CustomProdEEEEE10hipError_tPvRmT0_T1_jT2_SS_T4_T3_P12ihipStream_tbEUlT_E_NS1_11comp_targetILNS1_3genE5ELNS1_11target_archE942ELNS1_3gpuE9ELNS1_3repE0EEENS1_30default_config_static_selectorELNS0_4arch9wavefront6targetE0EEEvSR_,comdat
.Lfunc_end273:
	.size	_ZN7rocprim17ROCPRIM_400000_NS6detail17trampoline_kernelINS0_14default_configENS1_32segmented_reduce_config_selectorIN3c108BFloat16EEEZNS1_21segmented_reduce_implIS3_PKS6_PS6_PKlS6_N6hipcub16HIPCUB_304000_NS6detail27convert_result_type_wrapperISA_SB_N2at6native12_GLOBAL__N_110CustomProdEEEEE10hipError_tPvRmT0_T1_jT2_SS_T4_T3_P12ihipStream_tbEUlT_E_NS1_11comp_targetILNS1_3genE5ELNS1_11target_archE942ELNS1_3gpuE9ELNS1_3repE0EEENS1_30default_config_static_selectorELNS0_4arch9wavefront6targetE0EEEvSR_, .Lfunc_end273-_ZN7rocprim17ROCPRIM_400000_NS6detail17trampoline_kernelINS0_14default_configENS1_32segmented_reduce_config_selectorIN3c108BFloat16EEEZNS1_21segmented_reduce_implIS3_PKS6_PS6_PKlS6_N6hipcub16HIPCUB_304000_NS6detail27convert_result_type_wrapperISA_SB_N2at6native12_GLOBAL__N_110CustomProdEEEEE10hipError_tPvRmT0_T1_jT2_SS_T4_T3_P12ihipStream_tbEUlT_E_NS1_11comp_targetILNS1_3genE5ELNS1_11target_archE942ELNS1_3gpuE9ELNS1_3repE0EEENS1_30default_config_static_selectorELNS0_4arch9wavefront6targetE0EEEvSR_
                                        ; -- End function
	.section	.AMDGPU.csdata,"",@progbits
; Kernel info:
; codeLenInByte = 0
; NumSgprs: 0
; NumVgprs: 0
; ScratchSize: 0
; MemoryBound: 0
; FloatMode: 240
; IeeeMode: 1
; LDSByteSize: 0 bytes/workgroup (compile time only)
; SGPRBlocks: 0
; VGPRBlocks: 0
; NumSGPRsForWavesPerEU: 1
; NumVGPRsForWavesPerEU: 1
; Occupancy: 16
; WaveLimiterHint : 0
; COMPUTE_PGM_RSRC2:SCRATCH_EN: 0
; COMPUTE_PGM_RSRC2:USER_SGPR: 15
; COMPUTE_PGM_RSRC2:TRAP_HANDLER: 0
; COMPUTE_PGM_RSRC2:TGID_X_EN: 1
; COMPUTE_PGM_RSRC2:TGID_Y_EN: 0
; COMPUTE_PGM_RSRC2:TGID_Z_EN: 0
; COMPUTE_PGM_RSRC2:TIDIG_COMP_CNT: 0
	.section	.text._ZN7rocprim17ROCPRIM_400000_NS6detail17trampoline_kernelINS0_14default_configENS1_32segmented_reduce_config_selectorIN3c108BFloat16EEEZNS1_21segmented_reduce_implIS3_PKS6_PS6_PKlS6_N6hipcub16HIPCUB_304000_NS6detail27convert_result_type_wrapperISA_SB_N2at6native12_GLOBAL__N_110CustomProdEEEEE10hipError_tPvRmT0_T1_jT2_SS_T4_T3_P12ihipStream_tbEUlT_E_NS1_11comp_targetILNS1_3genE10ELNS1_11target_archE1201ELNS1_3gpuE5ELNS1_3repE0EEENS1_30default_config_static_selectorELNS0_4arch9wavefront6targetE0EEEvSR_,"axG",@progbits,_ZN7rocprim17ROCPRIM_400000_NS6detail17trampoline_kernelINS0_14default_configENS1_32segmented_reduce_config_selectorIN3c108BFloat16EEEZNS1_21segmented_reduce_implIS3_PKS6_PS6_PKlS6_N6hipcub16HIPCUB_304000_NS6detail27convert_result_type_wrapperISA_SB_N2at6native12_GLOBAL__N_110CustomProdEEEEE10hipError_tPvRmT0_T1_jT2_SS_T4_T3_P12ihipStream_tbEUlT_E_NS1_11comp_targetILNS1_3genE10ELNS1_11target_archE1201ELNS1_3gpuE5ELNS1_3repE0EEENS1_30default_config_static_selectorELNS0_4arch9wavefront6targetE0EEEvSR_,comdat
	.globl	_ZN7rocprim17ROCPRIM_400000_NS6detail17trampoline_kernelINS0_14default_configENS1_32segmented_reduce_config_selectorIN3c108BFloat16EEEZNS1_21segmented_reduce_implIS3_PKS6_PS6_PKlS6_N6hipcub16HIPCUB_304000_NS6detail27convert_result_type_wrapperISA_SB_N2at6native12_GLOBAL__N_110CustomProdEEEEE10hipError_tPvRmT0_T1_jT2_SS_T4_T3_P12ihipStream_tbEUlT_E_NS1_11comp_targetILNS1_3genE10ELNS1_11target_archE1201ELNS1_3gpuE5ELNS1_3repE0EEENS1_30default_config_static_selectorELNS0_4arch9wavefront6targetE0EEEvSR_ ; -- Begin function _ZN7rocprim17ROCPRIM_400000_NS6detail17trampoline_kernelINS0_14default_configENS1_32segmented_reduce_config_selectorIN3c108BFloat16EEEZNS1_21segmented_reduce_implIS3_PKS6_PS6_PKlS6_N6hipcub16HIPCUB_304000_NS6detail27convert_result_type_wrapperISA_SB_N2at6native12_GLOBAL__N_110CustomProdEEEEE10hipError_tPvRmT0_T1_jT2_SS_T4_T3_P12ihipStream_tbEUlT_E_NS1_11comp_targetILNS1_3genE10ELNS1_11target_archE1201ELNS1_3gpuE5ELNS1_3repE0EEENS1_30default_config_static_selectorELNS0_4arch9wavefront6targetE0EEEvSR_
	.p2align	8
	.type	_ZN7rocprim17ROCPRIM_400000_NS6detail17trampoline_kernelINS0_14default_configENS1_32segmented_reduce_config_selectorIN3c108BFloat16EEEZNS1_21segmented_reduce_implIS3_PKS6_PS6_PKlS6_N6hipcub16HIPCUB_304000_NS6detail27convert_result_type_wrapperISA_SB_N2at6native12_GLOBAL__N_110CustomProdEEEEE10hipError_tPvRmT0_T1_jT2_SS_T4_T3_P12ihipStream_tbEUlT_E_NS1_11comp_targetILNS1_3genE10ELNS1_11target_archE1201ELNS1_3gpuE5ELNS1_3repE0EEENS1_30default_config_static_selectorELNS0_4arch9wavefront6targetE0EEEvSR_,@function
_ZN7rocprim17ROCPRIM_400000_NS6detail17trampoline_kernelINS0_14default_configENS1_32segmented_reduce_config_selectorIN3c108BFloat16EEEZNS1_21segmented_reduce_implIS3_PKS6_PS6_PKlS6_N6hipcub16HIPCUB_304000_NS6detail27convert_result_type_wrapperISA_SB_N2at6native12_GLOBAL__N_110CustomProdEEEEE10hipError_tPvRmT0_T1_jT2_SS_T4_T3_P12ihipStream_tbEUlT_E_NS1_11comp_targetILNS1_3genE10ELNS1_11target_archE1201ELNS1_3gpuE5ELNS1_3repE0EEENS1_30default_config_static_selectorELNS0_4arch9wavefront6targetE0EEEvSR_: ; @_ZN7rocprim17ROCPRIM_400000_NS6detail17trampoline_kernelINS0_14default_configENS1_32segmented_reduce_config_selectorIN3c108BFloat16EEEZNS1_21segmented_reduce_implIS3_PKS6_PS6_PKlS6_N6hipcub16HIPCUB_304000_NS6detail27convert_result_type_wrapperISA_SB_N2at6native12_GLOBAL__N_110CustomProdEEEEE10hipError_tPvRmT0_T1_jT2_SS_T4_T3_P12ihipStream_tbEUlT_E_NS1_11comp_targetILNS1_3genE10ELNS1_11target_archE1201ELNS1_3gpuE5ELNS1_3repE0EEENS1_30default_config_static_selectorELNS0_4arch9wavefront6targetE0EEEvSR_
; %bb.0:
	.section	.rodata,"a",@progbits
	.p2align	6, 0x0
	.amdhsa_kernel _ZN7rocprim17ROCPRIM_400000_NS6detail17trampoline_kernelINS0_14default_configENS1_32segmented_reduce_config_selectorIN3c108BFloat16EEEZNS1_21segmented_reduce_implIS3_PKS6_PS6_PKlS6_N6hipcub16HIPCUB_304000_NS6detail27convert_result_type_wrapperISA_SB_N2at6native12_GLOBAL__N_110CustomProdEEEEE10hipError_tPvRmT0_T1_jT2_SS_T4_T3_P12ihipStream_tbEUlT_E_NS1_11comp_targetILNS1_3genE10ELNS1_11target_archE1201ELNS1_3gpuE5ELNS1_3repE0EEENS1_30default_config_static_selectorELNS0_4arch9wavefront6targetE0EEEvSR_
		.amdhsa_group_segment_fixed_size 0
		.amdhsa_private_segment_fixed_size 0
		.amdhsa_kernarg_size 48
		.amdhsa_user_sgpr_count 15
		.amdhsa_user_sgpr_dispatch_ptr 0
		.amdhsa_user_sgpr_queue_ptr 0
		.amdhsa_user_sgpr_kernarg_segment_ptr 1
		.amdhsa_user_sgpr_dispatch_id 0
		.amdhsa_user_sgpr_private_segment_size 0
		.amdhsa_wavefront_size32 1
		.amdhsa_uses_dynamic_stack 0
		.amdhsa_enable_private_segment 0
		.amdhsa_system_sgpr_workgroup_id_x 1
		.amdhsa_system_sgpr_workgroup_id_y 0
		.amdhsa_system_sgpr_workgroup_id_z 0
		.amdhsa_system_sgpr_workgroup_info 0
		.amdhsa_system_vgpr_workitem_id 0
		.amdhsa_next_free_vgpr 1
		.amdhsa_next_free_sgpr 1
		.amdhsa_reserve_vcc 0
		.amdhsa_float_round_mode_32 0
		.amdhsa_float_round_mode_16_64 0
		.amdhsa_float_denorm_mode_32 3
		.amdhsa_float_denorm_mode_16_64 3
		.amdhsa_dx10_clamp 1
		.amdhsa_ieee_mode 1
		.amdhsa_fp16_overflow 0
		.amdhsa_workgroup_processor_mode 1
		.amdhsa_memory_ordered 1
		.amdhsa_forward_progress 0
		.amdhsa_shared_vgpr_count 0
		.amdhsa_exception_fp_ieee_invalid_op 0
		.amdhsa_exception_fp_denorm_src 0
		.amdhsa_exception_fp_ieee_div_zero 0
		.amdhsa_exception_fp_ieee_overflow 0
		.amdhsa_exception_fp_ieee_underflow 0
		.amdhsa_exception_fp_ieee_inexact 0
		.amdhsa_exception_int_div_zero 0
	.end_amdhsa_kernel
	.section	.text._ZN7rocprim17ROCPRIM_400000_NS6detail17trampoline_kernelINS0_14default_configENS1_32segmented_reduce_config_selectorIN3c108BFloat16EEEZNS1_21segmented_reduce_implIS3_PKS6_PS6_PKlS6_N6hipcub16HIPCUB_304000_NS6detail27convert_result_type_wrapperISA_SB_N2at6native12_GLOBAL__N_110CustomProdEEEEE10hipError_tPvRmT0_T1_jT2_SS_T4_T3_P12ihipStream_tbEUlT_E_NS1_11comp_targetILNS1_3genE10ELNS1_11target_archE1201ELNS1_3gpuE5ELNS1_3repE0EEENS1_30default_config_static_selectorELNS0_4arch9wavefront6targetE0EEEvSR_,"axG",@progbits,_ZN7rocprim17ROCPRIM_400000_NS6detail17trampoline_kernelINS0_14default_configENS1_32segmented_reduce_config_selectorIN3c108BFloat16EEEZNS1_21segmented_reduce_implIS3_PKS6_PS6_PKlS6_N6hipcub16HIPCUB_304000_NS6detail27convert_result_type_wrapperISA_SB_N2at6native12_GLOBAL__N_110CustomProdEEEEE10hipError_tPvRmT0_T1_jT2_SS_T4_T3_P12ihipStream_tbEUlT_E_NS1_11comp_targetILNS1_3genE10ELNS1_11target_archE1201ELNS1_3gpuE5ELNS1_3repE0EEENS1_30default_config_static_selectorELNS0_4arch9wavefront6targetE0EEEvSR_,comdat
.Lfunc_end274:
	.size	_ZN7rocprim17ROCPRIM_400000_NS6detail17trampoline_kernelINS0_14default_configENS1_32segmented_reduce_config_selectorIN3c108BFloat16EEEZNS1_21segmented_reduce_implIS3_PKS6_PS6_PKlS6_N6hipcub16HIPCUB_304000_NS6detail27convert_result_type_wrapperISA_SB_N2at6native12_GLOBAL__N_110CustomProdEEEEE10hipError_tPvRmT0_T1_jT2_SS_T4_T3_P12ihipStream_tbEUlT_E_NS1_11comp_targetILNS1_3genE10ELNS1_11target_archE1201ELNS1_3gpuE5ELNS1_3repE0EEENS1_30default_config_static_selectorELNS0_4arch9wavefront6targetE0EEEvSR_, .Lfunc_end274-_ZN7rocprim17ROCPRIM_400000_NS6detail17trampoline_kernelINS0_14default_configENS1_32segmented_reduce_config_selectorIN3c108BFloat16EEEZNS1_21segmented_reduce_implIS3_PKS6_PS6_PKlS6_N6hipcub16HIPCUB_304000_NS6detail27convert_result_type_wrapperISA_SB_N2at6native12_GLOBAL__N_110CustomProdEEEEE10hipError_tPvRmT0_T1_jT2_SS_T4_T3_P12ihipStream_tbEUlT_E_NS1_11comp_targetILNS1_3genE10ELNS1_11target_archE1201ELNS1_3gpuE5ELNS1_3repE0EEENS1_30default_config_static_selectorELNS0_4arch9wavefront6targetE0EEEvSR_
                                        ; -- End function
	.section	.AMDGPU.csdata,"",@progbits
; Kernel info:
; codeLenInByte = 0
; NumSgprs: 0
; NumVgprs: 0
; ScratchSize: 0
; MemoryBound: 0
; FloatMode: 240
; IeeeMode: 1
; LDSByteSize: 0 bytes/workgroup (compile time only)
; SGPRBlocks: 0
; VGPRBlocks: 0
; NumSGPRsForWavesPerEU: 1
; NumVGPRsForWavesPerEU: 1
; Occupancy: 16
; WaveLimiterHint : 0
; COMPUTE_PGM_RSRC2:SCRATCH_EN: 0
; COMPUTE_PGM_RSRC2:USER_SGPR: 15
; COMPUTE_PGM_RSRC2:TRAP_HANDLER: 0
; COMPUTE_PGM_RSRC2:TGID_X_EN: 1
; COMPUTE_PGM_RSRC2:TGID_Y_EN: 0
; COMPUTE_PGM_RSRC2:TGID_Z_EN: 0
; COMPUTE_PGM_RSRC2:TIDIG_COMP_CNT: 0
	.section	.text._ZN7rocprim17ROCPRIM_400000_NS6detail17trampoline_kernelINS0_14default_configENS1_32segmented_reduce_config_selectorIN3c108BFloat16EEEZNS1_21segmented_reduce_implIS3_PKS6_PS6_PKlS6_N6hipcub16HIPCUB_304000_NS6detail27convert_result_type_wrapperISA_SB_N2at6native12_GLOBAL__N_110CustomProdEEEEE10hipError_tPvRmT0_T1_jT2_SS_T4_T3_P12ihipStream_tbEUlT_E_NS1_11comp_targetILNS1_3genE4ELNS1_11target_archE910ELNS1_3gpuE8ELNS1_3repE0EEENS1_30default_config_static_selectorELNS0_4arch9wavefront6targetE0EEEvSR_,"axG",@progbits,_ZN7rocprim17ROCPRIM_400000_NS6detail17trampoline_kernelINS0_14default_configENS1_32segmented_reduce_config_selectorIN3c108BFloat16EEEZNS1_21segmented_reduce_implIS3_PKS6_PS6_PKlS6_N6hipcub16HIPCUB_304000_NS6detail27convert_result_type_wrapperISA_SB_N2at6native12_GLOBAL__N_110CustomProdEEEEE10hipError_tPvRmT0_T1_jT2_SS_T4_T3_P12ihipStream_tbEUlT_E_NS1_11comp_targetILNS1_3genE4ELNS1_11target_archE910ELNS1_3gpuE8ELNS1_3repE0EEENS1_30default_config_static_selectorELNS0_4arch9wavefront6targetE0EEEvSR_,comdat
	.globl	_ZN7rocprim17ROCPRIM_400000_NS6detail17trampoline_kernelINS0_14default_configENS1_32segmented_reduce_config_selectorIN3c108BFloat16EEEZNS1_21segmented_reduce_implIS3_PKS6_PS6_PKlS6_N6hipcub16HIPCUB_304000_NS6detail27convert_result_type_wrapperISA_SB_N2at6native12_GLOBAL__N_110CustomProdEEEEE10hipError_tPvRmT0_T1_jT2_SS_T4_T3_P12ihipStream_tbEUlT_E_NS1_11comp_targetILNS1_3genE4ELNS1_11target_archE910ELNS1_3gpuE8ELNS1_3repE0EEENS1_30default_config_static_selectorELNS0_4arch9wavefront6targetE0EEEvSR_ ; -- Begin function _ZN7rocprim17ROCPRIM_400000_NS6detail17trampoline_kernelINS0_14default_configENS1_32segmented_reduce_config_selectorIN3c108BFloat16EEEZNS1_21segmented_reduce_implIS3_PKS6_PS6_PKlS6_N6hipcub16HIPCUB_304000_NS6detail27convert_result_type_wrapperISA_SB_N2at6native12_GLOBAL__N_110CustomProdEEEEE10hipError_tPvRmT0_T1_jT2_SS_T4_T3_P12ihipStream_tbEUlT_E_NS1_11comp_targetILNS1_3genE4ELNS1_11target_archE910ELNS1_3gpuE8ELNS1_3repE0EEENS1_30default_config_static_selectorELNS0_4arch9wavefront6targetE0EEEvSR_
	.p2align	8
	.type	_ZN7rocprim17ROCPRIM_400000_NS6detail17trampoline_kernelINS0_14default_configENS1_32segmented_reduce_config_selectorIN3c108BFloat16EEEZNS1_21segmented_reduce_implIS3_PKS6_PS6_PKlS6_N6hipcub16HIPCUB_304000_NS6detail27convert_result_type_wrapperISA_SB_N2at6native12_GLOBAL__N_110CustomProdEEEEE10hipError_tPvRmT0_T1_jT2_SS_T4_T3_P12ihipStream_tbEUlT_E_NS1_11comp_targetILNS1_3genE4ELNS1_11target_archE910ELNS1_3gpuE8ELNS1_3repE0EEENS1_30default_config_static_selectorELNS0_4arch9wavefront6targetE0EEEvSR_,@function
_ZN7rocprim17ROCPRIM_400000_NS6detail17trampoline_kernelINS0_14default_configENS1_32segmented_reduce_config_selectorIN3c108BFloat16EEEZNS1_21segmented_reduce_implIS3_PKS6_PS6_PKlS6_N6hipcub16HIPCUB_304000_NS6detail27convert_result_type_wrapperISA_SB_N2at6native12_GLOBAL__N_110CustomProdEEEEE10hipError_tPvRmT0_T1_jT2_SS_T4_T3_P12ihipStream_tbEUlT_E_NS1_11comp_targetILNS1_3genE4ELNS1_11target_archE910ELNS1_3gpuE8ELNS1_3repE0EEENS1_30default_config_static_selectorELNS0_4arch9wavefront6targetE0EEEvSR_: ; @_ZN7rocprim17ROCPRIM_400000_NS6detail17trampoline_kernelINS0_14default_configENS1_32segmented_reduce_config_selectorIN3c108BFloat16EEEZNS1_21segmented_reduce_implIS3_PKS6_PS6_PKlS6_N6hipcub16HIPCUB_304000_NS6detail27convert_result_type_wrapperISA_SB_N2at6native12_GLOBAL__N_110CustomProdEEEEE10hipError_tPvRmT0_T1_jT2_SS_T4_T3_P12ihipStream_tbEUlT_E_NS1_11comp_targetILNS1_3genE4ELNS1_11target_archE910ELNS1_3gpuE8ELNS1_3repE0EEENS1_30default_config_static_selectorELNS0_4arch9wavefront6targetE0EEEvSR_
; %bb.0:
	.section	.rodata,"a",@progbits
	.p2align	6, 0x0
	.amdhsa_kernel _ZN7rocprim17ROCPRIM_400000_NS6detail17trampoline_kernelINS0_14default_configENS1_32segmented_reduce_config_selectorIN3c108BFloat16EEEZNS1_21segmented_reduce_implIS3_PKS6_PS6_PKlS6_N6hipcub16HIPCUB_304000_NS6detail27convert_result_type_wrapperISA_SB_N2at6native12_GLOBAL__N_110CustomProdEEEEE10hipError_tPvRmT0_T1_jT2_SS_T4_T3_P12ihipStream_tbEUlT_E_NS1_11comp_targetILNS1_3genE4ELNS1_11target_archE910ELNS1_3gpuE8ELNS1_3repE0EEENS1_30default_config_static_selectorELNS0_4arch9wavefront6targetE0EEEvSR_
		.amdhsa_group_segment_fixed_size 0
		.amdhsa_private_segment_fixed_size 0
		.amdhsa_kernarg_size 48
		.amdhsa_user_sgpr_count 15
		.amdhsa_user_sgpr_dispatch_ptr 0
		.amdhsa_user_sgpr_queue_ptr 0
		.amdhsa_user_sgpr_kernarg_segment_ptr 1
		.amdhsa_user_sgpr_dispatch_id 0
		.amdhsa_user_sgpr_private_segment_size 0
		.amdhsa_wavefront_size32 1
		.amdhsa_uses_dynamic_stack 0
		.amdhsa_enable_private_segment 0
		.amdhsa_system_sgpr_workgroup_id_x 1
		.amdhsa_system_sgpr_workgroup_id_y 0
		.amdhsa_system_sgpr_workgroup_id_z 0
		.amdhsa_system_sgpr_workgroup_info 0
		.amdhsa_system_vgpr_workitem_id 0
		.amdhsa_next_free_vgpr 1
		.amdhsa_next_free_sgpr 1
		.amdhsa_reserve_vcc 0
		.amdhsa_float_round_mode_32 0
		.amdhsa_float_round_mode_16_64 0
		.amdhsa_float_denorm_mode_32 3
		.amdhsa_float_denorm_mode_16_64 3
		.amdhsa_dx10_clamp 1
		.amdhsa_ieee_mode 1
		.amdhsa_fp16_overflow 0
		.amdhsa_workgroup_processor_mode 1
		.amdhsa_memory_ordered 1
		.amdhsa_forward_progress 0
		.amdhsa_shared_vgpr_count 0
		.amdhsa_exception_fp_ieee_invalid_op 0
		.amdhsa_exception_fp_denorm_src 0
		.amdhsa_exception_fp_ieee_div_zero 0
		.amdhsa_exception_fp_ieee_overflow 0
		.amdhsa_exception_fp_ieee_underflow 0
		.amdhsa_exception_fp_ieee_inexact 0
		.amdhsa_exception_int_div_zero 0
	.end_amdhsa_kernel
	.section	.text._ZN7rocprim17ROCPRIM_400000_NS6detail17trampoline_kernelINS0_14default_configENS1_32segmented_reduce_config_selectorIN3c108BFloat16EEEZNS1_21segmented_reduce_implIS3_PKS6_PS6_PKlS6_N6hipcub16HIPCUB_304000_NS6detail27convert_result_type_wrapperISA_SB_N2at6native12_GLOBAL__N_110CustomProdEEEEE10hipError_tPvRmT0_T1_jT2_SS_T4_T3_P12ihipStream_tbEUlT_E_NS1_11comp_targetILNS1_3genE4ELNS1_11target_archE910ELNS1_3gpuE8ELNS1_3repE0EEENS1_30default_config_static_selectorELNS0_4arch9wavefront6targetE0EEEvSR_,"axG",@progbits,_ZN7rocprim17ROCPRIM_400000_NS6detail17trampoline_kernelINS0_14default_configENS1_32segmented_reduce_config_selectorIN3c108BFloat16EEEZNS1_21segmented_reduce_implIS3_PKS6_PS6_PKlS6_N6hipcub16HIPCUB_304000_NS6detail27convert_result_type_wrapperISA_SB_N2at6native12_GLOBAL__N_110CustomProdEEEEE10hipError_tPvRmT0_T1_jT2_SS_T4_T3_P12ihipStream_tbEUlT_E_NS1_11comp_targetILNS1_3genE4ELNS1_11target_archE910ELNS1_3gpuE8ELNS1_3repE0EEENS1_30default_config_static_selectorELNS0_4arch9wavefront6targetE0EEEvSR_,comdat
.Lfunc_end275:
	.size	_ZN7rocprim17ROCPRIM_400000_NS6detail17trampoline_kernelINS0_14default_configENS1_32segmented_reduce_config_selectorIN3c108BFloat16EEEZNS1_21segmented_reduce_implIS3_PKS6_PS6_PKlS6_N6hipcub16HIPCUB_304000_NS6detail27convert_result_type_wrapperISA_SB_N2at6native12_GLOBAL__N_110CustomProdEEEEE10hipError_tPvRmT0_T1_jT2_SS_T4_T3_P12ihipStream_tbEUlT_E_NS1_11comp_targetILNS1_3genE4ELNS1_11target_archE910ELNS1_3gpuE8ELNS1_3repE0EEENS1_30default_config_static_selectorELNS0_4arch9wavefront6targetE0EEEvSR_, .Lfunc_end275-_ZN7rocprim17ROCPRIM_400000_NS6detail17trampoline_kernelINS0_14default_configENS1_32segmented_reduce_config_selectorIN3c108BFloat16EEEZNS1_21segmented_reduce_implIS3_PKS6_PS6_PKlS6_N6hipcub16HIPCUB_304000_NS6detail27convert_result_type_wrapperISA_SB_N2at6native12_GLOBAL__N_110CustomProdEEEEE10hipError_tPvRmT0_T1_jT2_SS_T4_T3_P12ihipStream_tbEUlT_E_NS1_11comp_targetILNS1_3genE4ELNS1_11target_archE910ELNS1_3gpuE8ELNS1_3repE0EEENS1_30default_config_static_selectorELNS0_4arch9wavefront6targetE0EEEvSR_
                                        ; -- End function
	.section	.AMDGPU.csdata,"",@progbits
; Kernel info:
; codeLenInByte = 0
; NumSgprs: 0
; NumVgprs: 0
; ScratchSize: 0
; MemoryBound: 0
; FloatMode: 240
; IeeeMode: 1
; LDSByteSize: 0 bytes/workgroup (compile time only)
; SGPRBlocks: 0
; VGPRBlocks: 0
; NumSGPRsForWavesPerEU: 1
; NumVGPRsForWavesPerEU: 1
; Occupancy: 16
; WaveLimiterHint : 0
; COMPUTE_PGM_RSRC2:SCRATCH_EN: 0
; COMPUTE_PGM_RSRC2:USER_SGPR: 15
; COMPUTE_PGM_RSRC2:TRAP_HANDLER: 0
; COMPUTE_PGM_RSRC2:TGID_X_EN: 1
; COMPUTE_PGM_RSRC2:TGID_Y_EN: 0
; COMPUTE_PGM_RSRC2:TGID_Z_EN: 0
; COMPUTE_PGM_RSRC2:TIDIG_COMP_CNT: 0
	.section	.text._ZN7rocprim17ROCPRIM_400000_NS6detail17trampoline_kernelINS0_14default_configENS1_32segmented_reduce_config_selectorIN3c108BFloat16EEEZNS1_21segmented_reduce_implIS3_PKS6_PS6_PKlS6_N6hipcub16HIPCUB_304000_NS6detail27convert_result_type_wrapperISA_SB_N2at6native12_GLOBAL__N_110CustomProdEEEEE10hipError_tPvRmT0_T1_jT2_SS_T4_T3_P12ihipStream_tbEUlT_E_NS1_11comp_targetILNS1_3genE3ELNS1_11target_archE908ELNS1_3gpuE7ELNS1_3repE0EEENS1_30default_config_static_selectorELNS0_4arch9wavefront6targetE0EEEvSR_,"axG",@progbits,_ZN7rocprim17ROCPRIM_400000_NS6detail17trampoline_kernelINS0_14default_configENS1_32segmented_reduce_config_selectorIN3c108BFloat16EEEZNS1_21segmented_reduce_implIS3_PKS6_PS6_PKlS6_N6hipcub16HIPCUB_304000_NS6detail27convert_result_type_wrapperISA_SB_N2at6native12_GLOBAL__N_110CustomProdEEEEE10hipError_tPvRmT0_T1_jT2_SS_T4_T3_P12ihipStream_tbEUlT_E_NS1_11comp_targetILNS1_3genE3ELNS1_11target_archE908ELNS1_3gpuE7ELNS1_3repE0EEENS1_30default_config_static_selectorELNS0_4arch9wavefront6targetE0EEEvSR_,comdat
	.globl	_ZN7rocprim17ROCPRIM_400000_NS6detail17trampoline_kernelINS0_14default_configENS1_32segmented_reduce_config_selectorIN3c108BFloat16EEEZNS1_21segmented_reduce_implIS3_PKS6_PS6_PKlS6_N6hipcub16HIPCUB_304000_NS6detail27convert_result_type_wrapperISA_SB_N2at6native12_GLOBAL__N_110CustomProdEEEEE10hipError_tPvRmT0_T1_jT2_SS_T4_T3_P12ihipStream_tbEUlT_E_NS1_11comp_targetILNS1_3genE3ELNS1_11target_archE908ELNS1_3gpuE7ELNS1_3repE0EEENS1_30default_config_static_selectorELNS0_4arch9wavefront6targetE0EEEvSR_ ; -- Begin function _ZN7rocprim17ROCPRIM_400000_NS6detail17trampoline_kernelINS0_14default_configENS1_32segmented_reduce_config_selectorIN3c108BFloat16EEEZNS1_21segmented_reduce_implIS3_PKS6_PS6_PKlS6_N6hipcub16HIPCUB_304000_NS6detail27convert_result_type_wrapperISA_SB_N2at6native12_GLOBAL__N_110CustomProdEEEEE10hipError_tPvRmT0_T1_jT2_SS_T4_T3_P12ihipStream_tbEUlT_E_NS1_11comp_targetILNS1_3genE3ELNS1_11target_archE908ELNS1_3gpuE7ELNS1_3repE0EEENS1_30default_config_static_selectorELNS0_4arch9wavefront6targetE0EEEvSR_
	.p2align	8
	.type	_ZN7rocprim17ROCPRIM_400000_NS6detail17trampoline_kernelINS0_14default_configENS1_32segmented_reduce_config_selectorIN3c108BFloat16EEEZNS1_21segmented_reduce_implIS3_PKS6_PS6_PKlS6_N6hipcub16HIPCUB_304000_NS6detail27convert_result_type_wrapperISA_SB_N2at6native12_GLOBAL__N_110CustomProdEEEEE10hipError_tPvRmT0_T1_jT2_SS_T4_T3_P12ihipStream_tbEUlT_E_NS1_11comp_targetILNS1_3genE3ELNS1_11target_archE908ELNS1_3gpuE7ELNS1_3repE0EEENS1_30default_config_static_selectorELNS0_4arch9wavefront6targetE0EEEvSR_,@function
_ZN7rocprim17ROCPRIM_400000_NS6detail17trampoline_kernelINS0_14default_configENS1_32segmented_reduce_config_selectorIN3c108BFloat16EEEZNS1_21segmented_reduce_implIS3_PKS6_PS6_PKlS6_N6hipcub16HIPCUB_304000_NS6detail27convert_result_type_wrapperISA_SB_N2at6native12_GLOBAL__N_110CustomProdEEEEE10hipError_tPvRmT0_T1_jT2_SS_T4_T3_P12ihipStream_tbEUlT_E_NS1_11comp_targetILNS1_3genE3ELNS1_11target_archE908ELNS1_3gpuE7ELNS1_3repE0EEENS1_30default_config_static_selectorELNS0_4arch9wavefront6targetE0EEEvSR_: ; @_ZN7rocprim17ROCPRIM_400000_NS6detail17trampoline_kernelINS0_14default_configENS1_32segmented_reduce_config_selectorIN3c108BFloat16EEEZNS1_21segmented_reduce_implIS3_PKS6_PS6_PKlS6_N6hipcub16HIPCUB_304000_NS6detail27convert_result_type_wrapperISA_SB_N2at6native12_GLOBAL__N_110CustomProdEEEEE10hipError_tPvRmT0_T1_jT2_SS_T4_T3_P12ihipStream_tbEUlT_E_NS1_11comp_targetILNS1_3genE3ELNS1_11target_archE908ELNS1_3gpuE7ELNS1_3repE0EEENS1_30default_config_static_selectorELNS0_4arch9wavefront6targetE0EEEvSR_
; %bb.0:
	.section	.rodata,"a",@progbits
	.p2align	6, 0x0
	.amdhsa_kernel _ZN7rocprim17ROCPRIM_400000_NS6detail17trampoline_kernelINS0_14default_configENS1_32segmented_reduce_config_selectorIN3c108BFloat16EEEZNS1_21segmented_reduce_implIS3_PKS6_PS6_PKlS6_N6hipcub16HIPCUB_304000_NS6detail27convert_result_type_wrapperISA_SB_N2at6native12_GLOBAL__N_110CustomProdEEEEE10hipError_tPvRmT0_T1_jT2_SS_T4_T3_P12ihipStream_tbEUlT_E_NS1_11comp_targetILNS1_3genE3ELNS1_11target_archE908ELNS1_3gpuE7ELNS1_3repE0EEENS1_30default_config_static_selectorELNS0_4arch9wavefront6targetE0EEEvSR_
		.amdhsa_group_segment_fixed_size 0
		.amdhsa_private_segment_fixed_size 0
		.amdhsa_kernarg_size 48
		.amdhsa_user_sgpr_count 15
		.amdhsa_user_sgpr_dispatch_ptr 0
		.amdhsa_user_sgpr_queue_ptr 0
		.amdhsa_user_sgpr_kernarg_segment_ptr 1
		.amdhsa_user_sgpr_dispatch_id 0
		.amdhsa_user_sgpr_private_segment_size 0
		.amdhsa_wavefront_size32 1
		.amdhsa_uses_dynamic_stack 0
		.amdhsa_enable_private_segment 0
		.amdhsa_system_sgpr_workgroup_id_x 1
		.amdhsa_system_sgpr_workgroup_id_y 0
		.amdhsa_system_sgpr_workgroup_id_z 0
		.amdhsa_system_sgpr_workgroup_info 0
		.amdhsa_system_vgpr_workitem_id 0
		.amdhsa_next_free_vgpr 1
		.amdhsa_next_free_sgpr 1
		.amdhsa_reserve_vcc 0
		.amdhsa_float_round_mode_32 0
		.amdhsa_float_round_mode_16_64 0
		.amdhsa_float_denorm_mode_32 3
		.amdhsa_float_denorm_mode_16_64 3
		.amdhsa_dx10_clamp 1
		.amdhsa_ieee_mode 1
		.amdhsa_fp16_overflow 0
		.amdhsa_workgroup_processor_mode 1
		.amdhsa_memory_ordered 1
		.amdhsa_forward_progress 0
		.amdhsa_shared_vgpr_count 0
		.amdhsa_exception_fp_ieee_invalid_op 0
		.amdhsa_exception_fp_denorm_src 0
		.amdhsa_exception_fp_ieee_div_zero 0
		.amdhsa_exception_fp_ieee_overflow 0
		.amdhsa_exception_fp_ieee_underflow 0
		.amdhsa_exception_fp_ieee_inexact 0
		.amdhsa_exception_int_div_zero 0
	.end_amdhsa_kernel
	.section	.text._ZN7rocprim17ROCPRIM_400000_NS6detail17trampoline_kernelINS0_14default_configENS1_32segmented_reduce_config_selectorIN3c108BFloat16EEEZNS1_21segmented_reduce_implIS3_PKS6_PS6_PKlS6_N6hipcub16HIPCUB_304000_NS6detail27convert_result_type_wrapperISA_SB_N2at6native12_GLOBAL__N_110CustomProdEEEEE10hipError_tPvRmT0_T1_jT2_SS_T4_T3_P12ihipStream_tbEUlT_E_NS1_11comp_targetILNS1_3genE3ELNS1_11target_archE908ELNS1_3gpuE7ELNS1_3repE0EEENS1_30default_config_static_selectorELNS0_4arch9wavefront6targetE0EEEvSR_,"axG",@progbits,_ZN7rocprim17ROCPRIM_400000_NS6detail17trampoline_kernelINS0_14default_configENS1_32segmented_reduce_config_selectorIN3c108BFloat16EEEZNS1_21segmented_reduce_implIS3_PKS6_PS6_PKlS6_N6hipcub16HIPCUB_304000_NS6detail27convert_result_type_wrapperISA_SB_N2at6native12_GLOBAL__N_110CustomProdEEEEE10hipError_tPvRmT0_T1_jT2_SS_T4_T3_P12ihipStream_tbEUlT_E_NS1_11comp_targetILNS1_3genE3ELNS1_11target_archE908ELNS1_3gpuE7ELNS1_3repE0EEENS1_30default_config_static_selectorELNS0_4arch9wavefront6targetE0EEEvSR_,comdat
.Lfunc_end276:
	.size	_ZN7rocprim17ROCPRIM_400000_NS6detail17trampoline_kernelINS0_14default_configENS1_32segmented_reduce_config_selectorIN3c108BFloat16EEEZNS1_21segmented_reduce_implIS3_PKS6_PS6_PKlS6_N6hipcub16HIPCUB_304000_NS6detail27convert_result_type_wrapperISA_SB_N2at6native12_GLOBAL__N_110CustomProdEEEEE10hipError_tPvRmT0_T1_jT2_SS_T4_T3_P12ihipStream_tbEUlT_E_NS1_11comp_targetILNS1_3genE3ELNS1_11target_archE908ELNS1_3gpuE7ELNS1_3repE0EEENS1_30default_config_static_selectorELNS0_4arch9wavefront6targetE0EEEvSR_, .Lfunc_end276-_ZN7rocprim17ROCPRIM_400000_NS6detail17trampoline_kernelINS0_14default_configENS1_32segmented_reduce_config_selectorIN3c108BFloat16EEEZNS1_21segmented_reduce_implIS3_PKS6_PS6_PKlS6_N6hipcub16HIPCUB_304000_NS6detail27convert_result_type_wrapperISA_SB_N2at6native12_GLOBAL__N_110CustomProdEEEEE10hipError_tPvRmT0_T1_jT2_SS_T4_T3_P12ihipStream_tbEUlT_E_NS1_11comp_targetILNS1_3genE3ELNS1_11target_archE908ELNS1_3gpuE7ELNS1_3repE0EEENS1_30default_config_static_selectorELNS0_4arch9wavefront6targetE0EEEvSR_
                                        ; -- End function
	.section	.AMDGPU.csdata,"",@progbits
; Kernel info:
; codeLenInByte = 0
; NumSgprs: 0
; NumVgprs: 0
; ScratchSize: 0
; MemoryBound: 0
; FloatMode: 240
; IeeeMode: 1
; LDSByteSize: 0 bytes/workgroup (compile time only)
; SGPRBlocks: 0
; VGPRBlocks: 0
; NumSGPRsForWavesPerEU: 1
; NumVGPRsForWavesPerEU: 1
; Occupancy: 16
; WaveLimiterHint : 0
; COMPUTE_PGM_RSRC2:SCRATCH_EN: 0
; COMPUTE_PGM_RSRC2:USER_SGPR: 15
; COMPUTE_PGM_RSRC2:TRAP_HANDLER: 0
; COMPUTE_PGM_RSRC2:TGID_X_EN: 1
; COMPUTE_PGM_RSRC2:TGID_Y_EN: 0
; COMPUTE_PGM_RSRC2:TGID_Z_EN: 0
; COMPUTE_PGM_RSRC2:TIDIG_COMP_CNT: 0
	.section	.text._ZN7rocprim17ROCPRIM_400000_NS6detail17trampoline_kernelINS0_14default_configENS1_32segmented_reduce_config_selectorIN3c108BFloat16EEEZNS1_21segmented_reduce_implIS3_PKS6_PS6_PKlS6_N6hipcub16HIPCUB_304000_NS6detail27convert_result_type_wrapperISA_SB_N2at6native12_GLOBAL__N_110CustomProdEEEEE10hipError_tPvRmT0_T1_jT2_SS_T4_T3_P12ihipStream_tbEUlT_E_NS1_11comp_targetILNS1_3genE2ELNS1_11target_archE906ELNS1_3gpuE6ELNS1_3repE0EEENS1_30default_config_static_selectorELNS0_4arch9wavefront6targetE0EEEvSR_,"axG",@progbits,_ZN7rocprim17ROCPRIM_400000_NS6detail17trampoline_kernelINS0_14default_configENS1_32segmented_reduce_config_selectorIN3c108BFloat16EEEZNS1_21segmented_reduce_implIS3_PKS6_PS6_PKlS6_N6hipcub16HIPCUB_304000_NS6detail27convert_result_type_wrapperISA_SB_N2at6native12_GLOBAL__N_110CustomProdEEEEE10hipError_tPvRmT0_T1_jT2_SS_T4_T3_P12ihipStream_tbEUlT_E_NS1_11comp_targetILNS1_3genE2ELNS1_11target_archE906ELNS1_3gpuE6ELNS1_3repE0EEENS1_30default_config_static_selectorELNS0_4arch9wavefront6targetE0EEEvSR_,comdat
	.globl	_ZN7rocprim17ROCPRIM_400000_NS6detail17trampoline_kernelINS0_14default_configENS1_32segmented_reduce_config_selectorIN3c108BFloat16EEEZNS1_21segmented_reduce_implIS3_PKS6_PS6_PKlS6_N6hipcub16HIPCUB_304000_NS6detail27convert_result_type_wrapperISA_SB_N2at6native12_GLOBAL__N_110CustomProdEEEEE10hipError_tPvRmT0_T1_jT2_SS_T4_T3_P12ihipStream_tbEUlT_E_NS1_11comp_targetILNS1_3genE2ELNS1_11target_archE906ELNS1_3gpuE6ELNS1_3repE0EEENS1_30default_config_static_selectorELNS0_4arch9wavefront6targetE0EEEvSR_ ; -- Begin function _ZN7rocprim17ROCPRIM_400000_NS6detail17trampoline_kernelINS0_14default_configENS1_32segmented_reduce_config_selectorIN3c108BFloat16EEEZNS1_21segmented_reduce_implIS3_PKS6_PS6_PKlS6_N6hipcub16HIPCUB_304000_NS6detail27convert_result_type_wrapperISA_SB_N2at6native12_GLOBAL__N_110CustomProdEEEEE10hipError_tPvRmT0_T1_jT2_SS_T4_T3_P12ihipStream_tbEUlT_E_NS1_11comp_targetILNS1_3genE2ELNS1_11target_archE906ELNS1_3gpuE6ELNS1_3repE0EEENS1_30default_config_static_selectorELNS0_4arch9wavefront6targetE0EEEvSR_
	.p2align	8
	.type	_ZN7rocprim17ROCPRIM_400000_NS6detail17trampoline_kernelINS0_14default_configENS1_32segmented_reduce_config_selectorIN3c108BFloat16EEEZNS1_21segmented_reduce_implIS3_PKS6_PS6_PKlS6_N6hipcub16HIPCUB_304000_NS6detail27convert_result_type_wrapperISA_SB_N2at6native12_GLOBAL__N_110CustomProdEEEEE10hipError_tPvRmT0_T1_jT2_SS_T4_T3_P12ihipStream_tbEUlT_E_NS1_11comp_targetILNS1_3genE2ELNS1_11target_archE906ELNS1_3gpuE6ELNS1_3repE0EEENS1_30default_config_static_selectorELNS0_4arch9wavefront6targetE0EEEvSR_,@function
_ZN7rocprim17ROCPRIM_400000_NS6detail17trampoline_kernelINS0_14default_configENS1_32segmented_reduce_config_selectorIN3c108BFloat16EEEZNS1_21segmented_reduce_implIS3_PKS6_PS6_PKlS6_N6hipcub16HIPCUB_304000_NS6detail27convert_result_type_wrapperISA_SB_N2at6native12_GLOBAL__N_110CustomProdEEEEE10hipError_tPvRmT0_T1_jT2_SS_T4_T3_P12ihipStream_tbEUlT_E_NS1_11comp_targetILNS1_3genE2ELNS1_11target_archE906ELNS1_3gpuE6ELNS1_3repE0EEENS1_30default_config_static_selectorELNS0_4arch9wavefront6targetE0EEEvSR_: ; @_ZN7rocprim17ROCPRIM_400000_NS6detail17trampoline_kernelINS0_14default_configENS1_32segmented_reduce_config_selectorIN3c108BFloat16EEEZNS1_21segmented_reduce_implIS3_PKS6_PS6_PKlS6_N6hipcub16HIPCUB_304000_NS6detail27convert_result_type_wrapperISA_SB_N2at6native12_GLOBAL__N_110CustomProdEEEEE10hipError_tPvRmT0_T1_jT2_SS_T4_T3_P12ihipStream_tbEUlT_E_NS1_11comp_targetILNS1_3genE2ELNS1_11target_archE906ELNS1_3gpuE6ELNS1_3repE0EEENS1_30default_config_static_selectorELNS0_4arch9wavefront6targetE0EEEvSR_
; %bb.0:
	.section	.rodata,"a",@progbits
	.p2align	6, 0x0
	.amdhsa_kernel _ZN7rocprim17ROCPRIM_400000_NS6detail17trampoline_kernelINS0_14default_configENS1_32segmented_reduce_config_selectorIN3c108BFloat16EEEZNS1_21segmented_reduce_implIS3_PKS6_PS6_PKlS6_N6hipcub16HIPCUB_304000_NS6detail27convert_result_type_wrapperISA_SB_N2at6native12_GLOBAL__N_110CustomProdEEEEE10hipError_tPvRmT0_T1_jT2_SS_T4_T3_P12ihipStream_tbEUlT_E_NS1_11comp_targetILNS1_3genE2ELNS1_11target_archE906ELNS1_3gpuE6ELNS1_3repE0EEENS1_30default_config_static_selectorELNS0_4arch9wavefront6targetE0EEEvSR_
		.amdhsa_group_segment_fixed_size 0
		.amdhsa_private_segment_fixed_size 0
		.amdhsa_kernarg_size 48
		.amdhsa_user_sgpr_count 15
		.amdhsa_user_sgpr_dispatch_ptr 0
		.amdhsa_user_sgpr_queue_ptr 0
		.amdhsa_user_sgpr_kernarg_segment_ptr 1
		.amdhsa_user_sgpr_dispatch_id 0
		.amdhsa_user_sgpr_private_segment_size 0
		.amdhsa_wavefront_size32 1
		.amdhsa_uses_dynamic_stack 0
		.amdhsa_enable_private_segment 0
		.amdhsa_system_sgpr_workgroup_id_x 1
		.amdhsa_system_sgpr_workgroup_id_y 0
		.amdhsa_system_sgpr_workgroup_id_z 0
		.amdhsa_system_sgpr_workgroup_info 0
		.amdhsa_system_vgpr_workitem_id 0
		.amdhsa_next_free_vgpr 1
		.amdhsa_next_free_sgpr 1
		.amdhsa_reserve_vcc 0
		.amdhsa_float_round_mode_32 0
		.amdhsa_float_round_mode_16_64 0
		.amdhsa_float_denorm_mode_32 3
		.amdhsa_float_denorm_mode_16_64 3
		.amdhsa_dx10_clamp 1
		.amdhsa_ieee_mode 1
		.amdhsa_fp16_overflow 0
		.amdhsa_workgroup_processor_mode 1
		.amdhsa_memory_ordered 1
		.amdhsa_forward_progress 0
		.amdhsa_shared_vgpr_count 0
		.amdhsa_exception_fp_ieee_invalid_op 0
		.amdhsa_exception_fp_denorm_src 0
		.amdhsa_exception_fp_ieee_div_zero 0
		.amdhsa_exception_fp_ieee_overflow 0
		.amdhsa_exception_fp_ieee_underflow 0
		.amdhsa_exception_fp_ieee_inexact 0
		.amdhsa_exception_int_div_zero 0
	.end_amdhsa_kernel
	.section	.text._ZN7rocprim17ROCPRIM_400000_NS6detail17trampoline_kernelINS0_14default_configENS1_32segmented_reduce_config_selectorIN3c108BFloat16EEEZNS1_21segmented_reduce_implIS3_PKS6_PS6_PKlS6_N6hipcub16HIPCUB_304000_NS6detail27convert_result_type_wrapperISA_SB_N2at6native12_GLOBAL__N_110CustomProdEEEEE10hipError_tPvRmT0_T1_jT2_SS_T4_T3_P12ihipStream_tbEUlT_E_NS1_11comp_targetILNS1_3genE2ELNS1_11target_archE906ELNS1_3gpuE6ELNS1_3repE0EEENS1_30default_config_static_selectorELNS0_4arch9wavefront6targetE0EEEvSR_,"axG",@progbits,_ZN7rocprim17ROCPRIM_400000_NS6detail17trampoline_kernelINS0_14default_configENS1_32segmented_reduce_config_selectorIN3c108BFloat16EEEZNS1_21segmented_reduce_implIS3_PKS6_PS6_PKlS6_N6hipcub16HIPCUB_304000_NS6detail27convert_result_type_wrapperISA_SB_N2at6native12_GLOBAL__N_110CustomProdEEEEE10hipError_tPvRmT0_T1_jT2_SS_T4_T3_P12ihipStream_tbEUlT_E_NS1_11comp_targetILNS1_3genE2ELNS1_11target_archE906ELNS1_3gpuE6ELNS1_3repE0EEENS1_30default_config_static_selectorELNS0_4arch9wavefront6targetE0EEEvSR_,comdat
.Lfunc_end277:
	.size	_ZN7rocprim17ROCPRIM_400000_NS6detail17trampoline_kernelINS0_14default_configENS1_32segmented_reduce_config_selectorIN3c108BFloat16EEEZNS1_21segmented_reduce_implIS3_PKS6_PS6_PKlS6_N6hipcub16HIPCUB_304000_NS6detail27convert_result_type_wrapperISA_SB_N2at6native12_GLOBAL__N_110CustomProdEEEEE10hipError_tPvRmT0_T1_jT2_SS_T4_T3_P12ihipStream_tbEUlT_E_NS1_11comp_targetILNS1_3genE2ELNS1_11target_archE906ELNS1_3gpuE6ELNS1_3repE0EEENS1_30default_config_static_selectorELNS0_4arch9wavefront6targetE0EEEvSR_, .Lfunc_end277-_ZN7rocprim17ROCPRIM_400000_NS6detail17trampoline_kernelINS0_14default_configENS1_32segmented_reduce_config_selectorIN3c108BFloat16EEEZNS1_21segmented_reduce_implIS3_PKS6_PS6_PKlS6_N6hipcub16HIPCUB_304000_NS6detail27convert_result_type_wrapperISA_SB_N2at6native12_GLOBAL__N_110CustomProdEEEEE10hipError_tPvRmT0_T1_jT2_SS_T4_T3_P12ihipStream_tbEUlT_E_NS1_11comp_targetILNS1_3genE2ELNS1_11target_archE906ELNS1_3gpuE6ELNS1_3repE0EEENS1_30default_config_static_selectorELNS0_4arch9wavefront6targetE0EEEvSR_
                                        ; -- End function
	.section	.AMDGPU.csdata,"",@progbits
; Kernel info:
; codeLenInByte = 0
; NumSgprs: 0
; NumVgprs: 0
; ScratchSize: 0
; MemoryBound: 0
; FloatMode: 240
; IeeeMode: 1
; LDSByteSize: 0 bytes/workgroup (compile time only)
; SGPRBlocks: 0
; VGPRBlocks: 0
; NumSGPRsForWavesPerEU: 1
; NumVGPRsForWavesPerEU: 1
; Occupancy: 16
; WaveLimiterHint : 0
; COMPUTE_PGM_RSRC2:SCRATCH_EN: 0
; COMPUTE_PGM_RSRC2:USER_SGPR: 15
; COMPUTE_PGM_RSRC2:TRAP_HANDLER: 0
; COMPUTE_PGM_RSRC2:TGID_X_EN: 1
; COMPUTE_PGM_RSRC2:TGID_Y_EN: 0
; COMPUTE_PGM_RSRC2:TGID_Z_EN: 0
; COMPUTE_PGM_RSRC2:TIDIG_COMP_CNT: 0
	.section	.text._ZN7rocprim17ROCPRIM_400000_NS6detail17trampoline_kernelINS0_14default_configENS1_32segmented_reduce_config_selectorIN3c108BFloat16EEEZNS1_21segmented_reduce_implIS3_PKS6_PS6_PKlS6_N6hipcub16HIPCUB_304000_NS6detail27convert_result_type_wrapperISA_SB_N2at6native12_GLOBAL__N_110CustomProdEEEEE10hipError_tPvRmT0_T1_jT2_SS_T4_T3_P12ihipStream_tbEUlT_E_NS1_11comp_targetILNS1_3genE9ELNS1_11target_archE1100ELNS1_3gpuE3ELNS1_3repE0EEENS1_30default_config_static_selectorELNS0_4arch9wavefront6targetE0EEEvSR_,"axG",@progbits,_ZN7rocprim17ROCPRIM_400000_NS6detail17trampoline_kernelINS0_14default_configENS1_32segmented_reduce_config_selectorIN3c108BFloat16EEEZNS1_21segmented_reduce_implIS3_PKS6_PS6_PKlS6_N6hipcub16HIPCUB_304000_NS6detail27convert_result_type_wrapperISA_SB_N2at6native12_GLOBAL__N_110CustomProdEEEEE10hipError_tPvRmT0_T1_jT2_SS_T4_T3_P12ihipStream_tbEUlT_E_NS1_11comp_targetILNS1_3genE9ELNS1_11target_archE1100ELNS1_3gpuE3ELNS1_3repE0EEENS1_30default_config_static_selectorELNS0_4arch9wavefront6targetE0EEEvSR_,comdat
	.globl	_ZN7rocprim17ROCPRIM_400000_NS6detail17trampoline_kernelINS0_14default_configENS1_32segmented_reduce_config_selectorIN3c108BFloat16EEEZNS1_21segmented_reduce_implIS3_PKS6_PS6_PKlS6_N6hipcub16HIPCUB_304000_NS6detail27convert_result_type_wrapperISA_SB_N2at6native12_GLOBAL__N_110CustomProdEEEEE10hipError_tPvRmT0_T1_jT2_SS_T4_T3_P12ihipStream_tbEUlT_E_NS1_11comp_targetILNS1_3genE9ELNS1_11target_archE1100ELNS1_3gpuE3ELNS1_3repE0EEENS1_30default_config_static_selectorELNS0_4arch9wavefront6targetE0EEEvSR_ ; -- Begin function _ZN7rocprim17ROCPRIM_400000_NS6detail17trampoline_kernelINS0_14default_configENS1_32segmented_reduce_config_selectorIN3c108BFloat16EEEZNS1_21segmented_reduce_implIS3_PKS6_PS6_PKlS6_N6hipcub16HIPCUB_304000_NS6detail27convert_result_type_wrapperISA_SB_N2at6native12_GLOBAL__N_110CustomProdEEEEE10hipError_tPvRmT0_T1_jT2_SS_T4_T3_P12ihipStream_tbEUlT_E_NS1_11comp_targetILNS1_3genE9ELNS1_11target_archE1100ELNS1_3gpuE3ELNS1_3repE0EEENS1_30default_config_static_selectorELNS0_4arch9wavefront6targetE0EEEvSR_
	.p2align	8
	.type	_ZN7rocprim17ROCPRIM_400000_NS6detail17trampoline_kernelINS0_14default_configENS1_32segmented_reduce_config_selectorIN3c108BFloat16EEEZNS1_21segmented_reduce_implIS3_PKS6_PS6_PKlS6_N6hipcub16HIPCUB_304000_NS6detail27convert_result_type_wrapperISA_SB_N2at6native12_GLOBAL__N_110CustomProdEEEEE10hipError_tPvRmT0_T1_jT2_SS_T4_T3_P12ihipStream_tbEUlT_E_NS1_11comp_targetILNS1_3genE9ELNS1_11target_archE1100ELNS1_3gpuE3ELNS1_3repE0EEENS1_30default_config_static_selectorELNS0_4arch9wavefront6targetE0EEEvSR_,@function
_ZN7rocprim17ROCPRIM_400000_NS6detail17trampoline_kernelINS0_14default_configENS1_32segmented_reduce_config_selectorIN3c108BFloat16EEEZNS1_21segmented_reduce_implIS3_PKS6_PS6_PKlS6_N6hipcub16HIPCUB_304000_NS6detail27convert_result_type_wrapperISA_SB_N2at6native12_GLOBAL__N_110CustomProdEEEEE10hipError_tPvRmT0_T1_jT2_SS_T4_T3_P12ihipStream_tbEUlT_E_NS1_11comp_targetILNS1_3genE9ELNS1_11target_archE1100ELNS1_3gpuE3ELNS1_3repE0EEENS1_30default_config_static_selectorELNS0_4arch9wavefront6targetE0EEEvSR_: ; @_ZN7rocprim17ROCPRIM_400000_NS6detail17trampoline_kernelINS0_14default_configENS1_32segmented_reduce_config_selectorIN3c108BFloat16EEEZNS1_21segmented_reduce_implIS3_PKS6_PS6_PKlS6_N6hipcub16HIPCUB_304000_NS6detail27convert_result_type_wrapperISA_SB_N2at6native12_GLOBAL__N_110CustomProdEEEEE10hipError_tPvRmT0_T1_jT2_SS_T4_T3_P12ihipStream_tbEUlT_E_NS1_11comp_targetILNS1_3genE9ELNS1_11target_archE1100ELNS1_3gpuE3ELNS1_3repE0EEENS1_30default_config_static_selectorELNS0_4arch9wavefront6targetE0EEEvSR_
; %bb.0:
	s_clause 0x2
	s_load_b256 s[16:23], s[0:1], 0x0
	s_load_b32 s4, s[0:1], 0x28
	s_load_b64 s[0:1], s[0:1], 0x20
	s_mov_b32 s24, s15
	s_mov_b32 s25, 0
	s_waitcnt lgkmcnt(0)
	s_lshl_b64 s[2:3], s[20:21], 3
	s_lshr_b32 s15, s4, 16
	s_add_u32 s4, s22, s2
	s_addc_u32 s5, s23, s3
	s_add_u32 s6, s0, s2
	s_addc_u32 s7, s1, s3
	s_lshl_b64 s[0:1], s[24:25], 3
	s_delay_alu instid0(SALU_CYCLE_1)
	s_add_u32 s2, s4, s0
	s_addc_u32 s3, s5, s1
	s_add_u32 s0, s6, s0
	s_addc_u32 s1, s7, s1
	s_load_b64 s[26:27], s[2:3], 0x0
	s_load_b64 s[22:23], s[0:1], 0x0
	s_waitcnt lgkmcnt(0)
	v_cmp_gt_i64_e64 s0, s[22:23], s[26:27]
	s_delay_alu instid0(VALU_DEP_1)
	s_and_b32 vcc_lo, exec_lo, s0
	v_cmp_eq_u32_e64 s0, 0, v0
	s_cbranch_vccnz .LBB278_3
; %bb.1:
	s_delay_alu instid0(VALU_DEP_1)
	s_and_b32 s30, s0, exec_lo
	s_cbranch_execz .LBB278_4
; %bb.2:
	v_mov_b32_e32 v1, s15
	s_and_saveexec_b32 s0, s30
	s_cbranch_execnz .LBB278_115
	s_branch .LBB278_116
.LBB278_3:
	s_mov_b32 s30, s25
.LBB278_4:
	s_add_u32 s2, s26, 0x1000
	s_addc_u32 s3, s27, 0
	s_delay_alu instid0(SALU_CYCLE_1) | instskip(NEXT) | instid1(VALU_DEP_1)
	v_cmp_le_i64_e64 s0, s[2:3], s[22:23]
	s_and_b32 vcc_lo, exec_lo, s0
	s_cbranch_vccz .LBB278_61
; %bb.5:
	s_lshl_b64 s[0:1], s[26:27], 1
	v_lshlrev_b32_e32 v19, 1, v0
	s_add_u32 s4, s16, s0
	s_addc_u32 s5, s17, s1
	s_clause 0x7
	global_load_u16 v17, v19, s[4:5] offset:512
	global_load_u16 v18, v19, s[4:5]
	global_load_u16 v16, v19, s[4:5] offset:1024
	global_load_u16 v15, v19, s[4:5] offset:1536
	;; [unrolled: 1-line block ×6, first 2 shown]
	v_add_co_u32 v1, s4, s4, v19
	s_delay_alu instid0(VALU_DEP_1) | instskip(SKIP_1) | instid1(VALU_DEP_2)
	v_add_co_ci_u32_e64 v2, null, s5, 0, s4
	s_add_u32 s4, s26, 0x2000
	v_add_co_u32 v1, vcc_lo, 0x1000, v1
	s_delay_alu instid0(VALU_DEP_2)
	v_add_co_ci_u32_e32 v2, vcc_lo, 0, v2, vcc_lo
	s_addc_u32 s5, s27, 0
	s_clause 0x6
	global_load_u16 v10, v[1:2], off
	global_load_u16 v9, v[1:2], off offset:512
	global_load_u16 v8, v[1:2], off offset:1024
	;; [unrolled: 1-line block ×6, first 2 shown]
	v_cmp_ge_i64_e64 s4, s[4:5], s[22:23]
	s_waitcnt vmcnt(14)
	v_lshlrev_b32_e32 v4, 16, v17
	s_waitcnt vmcnt(13)
	v_lshlrev_b32_e32 v20, 16, v18
	;; [unrolled: 2-line block ×3, first 2 shown]
	s_delay_alu instid0(VALU_DEP_2) | instskip(NEXT) | instid1(VALU_DEP_1)
	v_mul_f32_e32 v4, v20, v4
	v_bfe_u32 v20, v4, 16, 1
	v_cmp_o_f32_e32 vcc_lo, v4, v4
	s_delay_alu instid0(VALU_DEP_2) | instskip(SKIP_2) | instid1(VALU_DEP_1)
	v_add3_u32 v20, v4, v20, 0x7fff
	global_load_u16 v4, v[1:2], off offset:3584
	v_and_b32_e32 v20, 0xffff0000, v20
	v_cndmask_b32_e32 v20, 0x7fc00000, v20, vcc_lo
	s_waitcnt vmcnt(12)
	s_delay_alu instid0(VALU_DEP_1) | instskip(NEXT) | instid1(VALU_DEP_1)
	v_dual_mul_f32 v1, v20, v21 :: v_dual_lshlrev_b32 v20, 16, v15
	v_bfe_u32 v2, v1, 16, 1
	s_delay_alu instid0(VALU_DEP_1) | instskip(NEXT) | instid1(VALU_DEP_1)
	v_add3_u32 v2, v1, v2, 0x7fff
	v_and_b32_e32 v2, 0xffff0000, v2
	v_cmp_o_f32_e32 vcc_lo, v1, v1
	s_delay_alu instid0(VALU_DEP_2) | instskip(SKIP_1) | instid1(VALU_DEP_1)
	v_cndmask_b32_e32 v1, 0x7fc00000, v2, vcc_lo
	s_waitcnt vmcnt(11)
	v_dual_mul_f32 v1, v1, v20 :: v_dual_lshlrev_b32 v20, 16, v14
	s_delay_alu instid0(VALU_DEP_1) | instskip(NEXT) | instid1(VALU_DEP_1)
	v_bfe_u32 v2, v1, 16, 1
	v_add3_u32 v2, v1, v2, 0x7fff
	s_delay_alu instid0(VALU_DEP_1) | instskip(SKIP_1) | instid1(VALU_DEP_2)
	v_and_b32_e32 v2, 0xffff0000, v2
	v_cmp_o_f32_e32 vcc_lo, v1, v1
	v_cndmask_b32_e32 v1, 0x7fc00000, v2, vcc_lo
	s_waitcnt vmcnt(10)
	s_delay_alu instid0(VALU_DEP_1) | instskip(NEXT) | instid1(VALU_DEP_1)
	v_dual_mul_f32 v1, v1, v20 :: v_dual_lshlrev_b32 v20, 16, v13
	v_bfe_u32 v2, v1, 16, 1
	s_delay_alu instid0(VALU_DEP_1) | instskip(NEXT) | instid1(VALU_DEP_1)
	v_add3_u32 v2, v1, v2, 0x7fff
	v_and_b32_e32 v2, 0xffff0000, v2
	v_cmp_o_f32_e32 vcc_lo, v1, v1
	s_delay_alu instid0(VALU_DEP_2) | instskip(NEXT) | instid1(VALU_DEP_1)
	v_cndmask_b32_e32 v1, 0x7fc00000, v2, vcc_lo
	v_mul_f32_e32 v1, v1, v20
	s_waitcnt vmcnt(9)
	v_lshlrev_b32_e32 v20, 16, v12
	s_delay_alu instid0(VALU_DEP_2) | instskip(NEXT) | instid1(VALU_DEP_1)
	v_bfe_u32 v2, v1, 16, 1
	v_add3_u32 v2, v1, v2, 0x7fff
	s_delay_alu instid0(VALU_DEP_1) | instskip(SKIP_1) | instid1(VALU_DEP_2)
	v_and_b32_e32 v2, 0xffff0000, v2
	v_cmp_o_f32_e32 vcc_lo, v1, v1
	v_cndmask_b32_e32 v1, 0x7fc00000, v2, vcc_lo
	s_waitcnt vmcnt(8)
	s_delay_alu instid0(VALU_DEP_1) | instskip(NEXT) | instid1(VALU_DEP_1)
	v_dual_mul_f32 v1, v1, v20 :: v_dual_lshlrev_b32 v20, 16, v11
	v_bfe_u32 v2, v1, 16, 1
	s_delay_alu instid0(VALU_DEP_1) | instskip(NEXT) | instid1(VALU_DEP_1)
	v_add3_u32 v2, v1, v2, 0x7fff
	v_and_b32_e32 v2, 0xffff0000, v2
	v_cmp_o_f32_e32 vcc_lo, v1, v1
	s_delay_alu instid0(VALU_DEP_2) | instskip(SKIP_1) | instid1(VALU_DEP_1)
	v_cndmask_b32_e32 v1, 0x7fc00000, v2, vcc_lo
	s_waitcnt vmcnt(7)
	v_dual_mul_f32 v1, v1, v20 :: v_dual_lshlrev_b32 v20, 16, v10
	s_delay_alu instid0(VALU_DEP_1) | instskip(NEXT) | instid1(VALU_DEP_1)
	v_bfe_u32 v2, v1, 16, 1
	v_add3_u32 v2, v1, v2, 0x7fff
	s_delay_alu instid0(VALU_DEP_1) | instskip(SKIP_1) | instid1(VALU_DEP_2)
	v_and_b32_e32 v2, 0xffff0000, v2
	v_cmp_o_f32_e32 vcc_lo, v1, v1
	v_cndmask_b32_e32 v1, 0x7fc00000, v2, vcc_lo
	s_delay_alu instid0(VALU_DEP_1) | instskip(NEXT) | instid1(VALU_DEP_1)
	v_mul_f32_e32 v1, v1, v20
	v_bfe_u32 v2, v1, 16, 1
	s_delay_alu instid0(VALU_DEP_1) | instskip(NEXT) | instid1(VALU_DEP_1)
	v_add3_u32 v2, v1, v2, 0x7fff
	v_and_b32_e32 v2, 0xffff0000, v2
	v_cmp_o_f32_e32 vcc_lo, v1, v1
	s_waitcnt vmcnt(6)
	s_delay_alu instid0(VALU_DEP_2) | instskip(NEXT) | instid1(VALU_DEP_1)
	v_dual_cndmask_b32 v1, 0x7fc00000, v2 :: v_dual_lshlrev_b32 v20, 16, v9
	v_mul_f32_e32 v1, v1, v20
	s_delay_alu instid0(VALU_DEP_1) | instskip(NEXT) | instid1(VALU_DEP_1)
	v_bfe_u32 v2, v1, 16, 1
	v_add3_u32 v2, v1, v2, 0x7fff
	s_delay_alu instid0(VALU_DEP_1) | instskip(SKIP_2) | instid1(VALU_DEP_2)
	v_and_b32_e32 v2, 0xffff0000, v2
	v_cmp_o_f32_e32 vcc_lo, v1, v1
	s_waitcnt vmcnt(5)
	v_dual_cndmask_b32 v1, 0x7fc00000, v2 :: v_dual_lshlrev_b32 v20, 16, v8
	s_delay_alu instid0(VALU_DEP_1) | instskip(NEXT) | instid1(VALU_DEP_1)
	v_mul_f32_e32 v1, v1, v20
	v_bfe_u32 v2, v1, 16, 1
	s_delay_alu instid0(VALU_DEP_1) | instskip(NEXT) | instid1(VALU_DEP_1)
	v_add3_u32 v2, v1, v2, 0x7fff
	v_and_b32_e32 v2, 0xffff0000, v2
	v_cmp_o_f32_e32 vcc_lo, v1, v1
	s_waitcnt vmcnt(4)
	s_delay_alu instid0(VALU_DEP_2) | instskip(SKIP_1) | instid1(VALU_DEP_1)
	v_dual_cndmask_b32 v1, 0x7fc00000, v2 :: v_dual_lshlrev_b32 v20, 16, v7
	s_waitcnt vmcnt(3)
	v_dual_mul_f32 v1, v1, v20 :: v_dual_lshlrev_b32 v20, 16, v6
	s_delay_alu instid0(VALU_DEP_1) | instskip(NEXT) | instid1(VALU_DEP_1)
	v_bfe_u32 v2, v1, 16, 1
	v_add3_u32 v2, v1, v2, 0x7fff
	s_delay_alu instid0(VALU_DEP_1) | instskip(SKIP_1) | instid1(VALU_DEP_2)
	v_and_b32_e32 v2, 0xffff0000, v2
	v_cmp_o_f32_e32 vcc_lo, v1, v1
	v_cndmask_b32_e32 v1, 0x7fc00000, v2, vcc_lo
	s_waitcnt vmcnt(2)
	s_delay_alu instid0(VALU_DEP_1) | instskip(NEXT) | instid1(VALU_DEP_1)
	v_dual_mul_f32 v1, v1, v20 :: v_dual_lshlrev_b32 v20, 16, v5
	v_bfe_u32 v2, v1, 16, 1
	s_delay_alu instid0(VALU_DEP_1) | instskip(NEXT) | instid1(VALU_DEP_1)
	v_add3_u32 v2, v1, v2, 0x7fff
	v_and_b32_e32 v2, 0xffff0000, v2
	v_cmp_o_f32_e32 vcc_lo, v1, v1
	s_delay_alu instid0(VALU_DEP_2) | instskip(SKIP_1) | instid1(VALU_DEP_1)
	v_cndmask_b32_e32 v1, 0x7fc00000, v2, vcc_lo
	s_waitcnt vmcnt(1)
	v_dual_mul_f32 v1, v1, v20 :: v_dual_lshlrev_b32 v20, 16, v3
	s_delay_alu instid0(VALU_DEP_1) | instskip(NEXT) | instid1(VALU_DEP_1)
	v_bfe_u32 v2, v1, 16, 1
	v_add3_u32 v2, v1, v2, 0x7fff
	s_delay_alu instid0(VALU_DEP_1) | instskip(SKIP_1) | instid1(VALU_DEP_2)
	v_and_b32_e32 v2, 0xffff0000, v2
	v_cmp_o_f32_e32 vcc_lo, v1, v1
	v_cndmask_b32_e32 v1, 0x7fc00000, v2, vcc_lo
	s_delay_alu instid0(VALU_DEP_1) | instskip(SKIP_2) | instid1(VALU_DEP_2)
	v_mul_f32_e32 v1, v1, v20
	s_waitcnt vmcnt(0)
	v_lshlrev_b32_e32 v20, 16, v4
	v_bfe_u32 v2, v1, 16, 1
	s_delay_alu instid0(VALU_DEP_1) | instskip(NEXT) | instid1(VALU_DEP_1)
	v_add3_u32 v2, v1, v2, 0x7fff
	v_and_b32_e32 v2, 0xffff0000, v2
	v_cmp_o_f32_e32 vcc_lo, v1, v1
	s_delay_alu instid0(VALU_DEP_2) | instskip(NEXT) | instid1(VALU_DEP_1)
	v_cndmask_b32_e32 v1, 0x7fc00000, v2, vcc_lo
	v_mul_f32_e32 v1, v1, v20
	s_delay_alu instid0(VALU_DEP_1) | instskip(SKIP_1) | instid1(VALU_DEP_2)
	v_bfe_u32 v2, v1, 16, 1
	v_cmp_o_f32_e32 vcc_lo, v1, v1
	v_add3_u32 v2, v1, v2, 0x7fff
	s_delay_alu instid0(VALU_DEP_1) | instskip(NEXT) | instid1(VALU_DEP_1)
	v_lshrrev_b32_e32 v2, 16, v2
	v_cndmask_b32_e32 v20, 0x7fc0, v2, vcc_lo
	s_and_b32 vcc_lo, exec_lo, s4
	s_cbranch_vccnz .LBB278_8
; %bb.6:
	s_add_u32 s0, s16, s0
	s_addc_u32 s1, s17, s1
	v_add_co_u32 v1, s0, s0, v19
	s_delay_alu instid0(VALU_DEP_1) | instskip(NEXT) | instid1(VALU_DEP_2)
	v_add_co_ci_u32_e64 v2, null, s1, 0, s0
	v_add_co_u32 v1, vcc_lo, 0x2000, v1
	s_delay_alu instid0(VALU_DEP_2)
	v_add_co_ci_u32_e32 v2, vcc_lo, 0, v2, vcc_lo
.LBB278_7:                              ; =>This Inner Loop Header: Depth=1
	s_clause 0x7
	global_load_u16 v18, v[1:2], off
	global_load_u16 v17, v[1:2], off offset:512
	global_load_u16 v16, v[1:2], off offset:1024
	;; [unrolled: 1-line block ×7, first 2 shown]
	v_add_co_u32 v21, vcc_lo, 0x1000, v1
	v_add_co_ci_u32_e32 v22, vcc_lo, 0, v2, vcc_lo
	s_mov_b64 s[0:1], s[2:3]
	s_clause 0x5
	global_load_u16 v10, v[21:22], off
	global_load_u16 v9, v[21:22], off offset:512
	global_load_u16 v8, v[21:22], off offset:1024
	;; [unrolled: 1-line block ×5, first 2 shown]
	s_add_u32 s2, s0, 0x1000
	s_addc_u32 s3, s1, 0
	s_add_u32 s0, s0, 0x2000
	s_addc_u32 s1, s1, 0
	s_delay_alu instid0(SALU_CYCLE_1)
	v_cmp_lt_i64_e64 s0, s[0:1], s[22:23]
	s_waitcnt vmcnt(13)
	v_lshlrev_b32_e32 v4, 16, v18
	s_waitcnt vmcnt(11)
	v_lshlrev_b32_e32 v23, 16, v16
	v_lshlrev_b32_e32 v3, 16, v20
	s_delay_alu instid0(VALU_DEP_1) | instskip(NEXT) | instid1(VALU_DEP_1)
	v_dual_mul_f32 v3, v3, v4 :: v_dual_lshlrev_b32 v20, 16, v17
	v_bfe_u32 v4, v3, 16, 1
	v_cmp_o_f32_e32 vcc_lo, v3, v3
	s_delay_alu instid0(VALU_DEP_2) | instskip(SKIP_2) | instid1(VALU_DEP_1)
	v_add3_u32 v4, v3, v4, 0x7fff
	global_load_u16 v3, v[21:22], off offset:3072
	v_and_b32_e32 v4, 0xffff0000, v4
	v_cndmask_b32_e32 v4, 0x7fc00000, v4, vcc_lo
	s_delay_alu instid0(VALU_DEP_1) | instskip(NEXT) | instid1(VALU_DEP_1)
	v_mul_f32_e32 v4, v4, v20
	v_bfe_u32 v20, v4, 16, 1
	v_cmp_o_f32_e32 vcc_lo, v4, v4
	s_delay_alu instid0(VALU_DEP_2) | instskip(SKIP_4) | instid1(VALU_DEP_1)
	v_add3_u32 v20, v4, v20, 0x7fff
	global_load_u16 v4, v[21:22], off offset:3584
	s_waitcnt vmcnt(12)
	v_lshlrev_b32_e32 v22, 16, v15
	v_and_b32_e32 v20, 0xffff0000, v20
	v_cndmask_b32_e32 v20, 0x7fc00000, v20, vcc_lo
	s_delay_alu instid0(VALU_DEP_1) | instskip(NEXT) | instid1(VALU_DEP_1)
	v_mul_f32_e32 v20, v20, v23
	v_bfe_u32 v21, v20, 16, 1
	v_cmp_o_f32_e32 vcc_lo, v20, v20
	s_delay_alu instid0(VALU_DEP_2) | instskip(NEXT) | instid1(VALU_DEP_1)
	v_add3_u32 v21, v20, v21, 0x7fff
	v_and_b32_e32 v21, 0xffff0000, v21
	s_delay_alu instid0(VALU_DEP_1) | instskip(NEXT) | instid1(VALU_DEP_1)
	v_cndmask_b32_e32 v20, 0x7fc00000, v21, vcc_lo
	v_mul_f32_e32 v20, v20, v22
	s_waitcnt vmcnt(11)
	v_lshlrev_b32_e32 v22, 16, v14
	s_delay_alu instid0(VALU_DEP_2) | instskip(NEXT) | instid1(VALU_DEP_1)
	v_bfe_u32 v21, v20, 16, 1
	v_add3_u32 v21, v20, v21, 0x7fff
	s_delay_alu instid0(VALU_DEP_1) | instskip(SKIP_1) | instid1(VALU_DEP_2)
	v_and_b32_e32 v21, 0xffff0000, v21
	v_cmp_o_f32_e32 vcc_lo, v20, v20
	v_cndmask_b32_e32 v20, 0x7fc00000, v21, vcc_lo
	s_delay_alu instid0(VALU_DEP_1) | instskip(SKIP_2) | instid1(VALU_DEP_2)
	v_mul_f32_e32 v20, v20, v22
	s_waitcnt vmcnt(10)
	v_lshlrev_b32_e32 v22, 16, v13
	v_bfe_u32 v21, v20, 16, 1
	s_delay_alu instid0(VALU_DEP_1) | instskip(NEXT) | instid1(VALU_DEP_1)
	v_add3_u32 v21, v20, v21, 0x7fff
	v_and_b32_e32 v21, 0xffff0000, v21
	v_cmp_o_f32_e32 vcc_lo, v20, v20
	s_delay_alu instid0(VALU_DEP_2) | instskip(NEXT) | instid1(VALU_DEP_1)
	v_cndmask_b32_e32 v20, 0x7fc00000, v21, vcc_lo
	v_mul_f32_e32 v20, v20, v22
	s_waitcnt vmcnt(9)
	v_lshlrev_b32_e32 v22, 16, v12
	s_delay_alu instid0(VALU_DEP_2) | instskip(NEXT) | instid1(VALU_DEP_1)
	v_bfe_u32 v21, v20, 16, 1
	v_add3_u32 v21, v20, v21, 0x7fff
	s_delay_alu instid0(VALU_DEP_1) | instskip(SKIP_1) | instid1(VALU_DEP_2)
	v_and_b32_e32 v21, 0xffff0000, v21
	v_cmp_o_f32_e32 vcc_lo, v20, v20
	v_cndmask_b32_e32 v20, 0x7fc00000, v21, vcc_lo
	s_delay_alu instid0(VALU_DEP_1) | instskip(SKIP_2) | instid1(VALU_DEP_2)
	v_mul_f32_e32 v20, v20, v22
	s_waitcnt vmcnt(8)
	v_lshlrev_b32_e32 v22, 16, v11
	v_bfe_u32 v21, v20, 16, 1
	s_delay_alu instid0(VALU_DEP_1) | instskip(NEXT) | instid1(VALU_DEP_1)
	v_add3_u32 v21, v20, v21, 0x7fff
	v_and_b32_e32 v21, 0xffff0000, v21
	v_cmp_o_f32_e32 vcc_lo, v20, v20
	s_delay_alu instid0(VALU_DEP_2) | instskip(NEXT) | instid1(VALU_DEP_1)
	;; [unrolled: 21-line block ×5, first 2 shown]
	v_cndmask_b32_e32 v20, 0x7fc00000, v21, vcc_lo
	v_mul_f32_e32 v20, v20, v22
	s_waitcnt vmcnt(1)
	v_lshlrev_b32_e32 v22, 16, v3
	s_delay_alu instid0(VALU_DEP_2) | instskip(NEXT) | instid1(VALU_DEP_1)
	v_bfe_u32 v21, v20, 16, 1
	v_add3_u32 v21, v20, v21, 0x7fff
	s_delay_alu instid0(VALU_DEP_1) | instskip(SKIP_1) | instid1(VALU_DEP_2)
	v_and_b32_e32 v21, 0xffff0000, v21
	v_cmp_o_f32_e32 vcc_lo, v20, v20
	v_cndmask_b32_e32 v20, 0x7fc00000, v21, vcc_lo
	s_delay_alu instid0(VALU_DEP_1) | instskip(SKIP_2) | instid1(VALU_DEP_2)
	v_mul_f32_e32 v20, v20, v22
	s_waitcnt vmcnt(0)
	v_lshlrev_b32_e32 v22, 16, v4
	v_bfe_u32 v21, v20, 16, 1
	s_delay_alu instid0(VALU_DEP_1) | instskip(NEXT) | instid1(VALU_DEP_1)
	v_add3_u32 v21, v20, v21, 0x7fff
	v_and_b32_e32 v21, 0xffff0000, v21
	v_cmp_o_f32_e32 vcc_lo, v20, v20
	s_delay_alu instid0(VALU_DEP_2) | instskip(SKIP_2) | instid1(VALU_DEP_3)
	v_cndmask_b32_e32 v20, 0x7fc00000, v21, vcc_lo
	v_add_co_u32 v1, vcc_lo, 0x2000, v1
	v_add_co_ci_u32_e32 v2, vcc_lo, 0, v2, vcc_lo
	v_mul_f32_e32 v20, v20, v22
	s_and_b32 vcc_lo, exec_lo, s0
	s_delay_alu instid0(VALU_DEP_1) | instskip(SKIP_1) | instid1(VALU_DEP_2)
	v_bfe_u32 v21, v20, 16, 1
	v_cmp_o_f32_e64 s0, v20, v20
	v_add3_u32 v21, v20, v21, 0x7fff
	s_delay_alu instid0(VALU_DEP_1) | instskip(NEXT) | instid1(VALU_DEP_1)
	v_lshrrev_b32_e32 v21, 16, v21
	v_cndmask_b32_e64 v20, 0x7fc0, v21, s0
	s_cbranch_vccnz .LBB278_7
.LBB278_8:
	s_sub_i32 s31, s22, s2
	s_lshl_b64 s[0:1], s[2:3], 1
	v_cmp_gt_u32_e64 s14, s31, v0
	s_add_u32 s28, s16, s0
	s_addc_u32 s29, s17, s1
	s_delay_alu instid0(VALU_DEP_1)
	s_and_saveexec_b32 s0, s14
	s_cbranch_execz .LBB278_10
; %bb.9:
	global_load_u16 v18, v19, s[28:29]
.LBB278_10:
	s_or_b32 exec_lo, exec_lo, s0
	v_or_b32_e32 v1, 0x100, v0
	s_delay_alu instid0(VALU_DEP_1) | instskip(NEXT) | instid1(VALU_DEP_1)
	v_cmp_gt_u32_e64 s13, s31, v1
	s_and_saveexec_b32 s0, s13
	s_cbranch_execz .LBB278_12
; %bb.11:
	global_load_u16 v17, v19, s[28:29] offset:512
.LBB278_12:
	s_or_b32 exec_lo, exec_lo, s0
	v_or_b32_e32 v1, 0x200, v0
	s_delay_alu instid0(VALU_DEP_1) | instskip(NEXT) | instid1(VALU_DEP_1)
	v_cmp_gt_u32_e64 s12, s31, v1
	s_and_saveexec_b32 s0, s12
	s_cbranch_execz .LBB278_14
; %bb.13:
	global_load_u16 v16, v19, s[28:29] offset:1024
.LBB278_14:
	;; [unrolled: 9-line block ×7, first 2 shown]
	s_or_b32 exec_lo, exec_lo, s0
	v_or_b32_e32 v1, 0x800, v0
	s_delay_alu instid0(VALU_DEP_1) | instskip(NEXT) | instid1(VALU_DEP_1)
	v_cmp_gt_u32_e64 s6, s31, v1
	s_and_saveexec_b32 s0, s6
	s_cbranch_execz .LBB278_26
; %bb.25:
	v_lshlrev_b32_e32 v1, 1, v1
	global_load_u16 v10, v1, s[28:29]
.LBB278_26:
	s_or_b32 exec_lo, exec_lo, s0
	v_or_b32_e32 v1, 0x900, v0
	s_delay_alu instid0(VALU_DEP_1) | instskip(NEXT) | instid1(VALU_DEP_1)
	v_cmp_gt_u32_e64 s5, s31, v1
	s_and_saveexec_b32 s0, s5
	s_cbranch_execz .LBB278_28
; %bb.27:
	v_lshlrev_b32_e32 v1, 1, v1
	global_load_u16 v9, v1, s[28:29]
.LBB278_28:
	;; [unrolled: 10-line block ×7, first 2 shown]
	s_or_b32 exec_lo, exec_lo, s33
	v_or_b32_e32 v1, 0xf00, v0
	s_delay_alu instid0(VALU_DEP_1)
	v_cmp_gt_u32_e32 vcc_lo, s31, v1
	s_and_saveexec_b32 s31, vcc_lo
	s_cbranch_execnz .LBB278_90
; %bb.39:
	s_or_b32 exec_lo, exec_lo, s31
	s_and_saveexec_b32 s28, s14
	s_cbranch_execnz .LBB278_91
.LBB278_40:
	s_or_b32 exec_lo, exec_lo, s28
	s_and_saveexec_b32 s14, s13
	s_cbranch_execnz .LBB278_92
.LBB278_41:
	s_or_b32 exec_lo, exec_lo, s14
	s_and_saveexec_b32 s13, s12
	s_cbranch_execnz .LBB278_93
.LBB278_42:
	s_or_b32 exec_lo, exec_lo, s13
	s_and_saveexec_b32 s12, s11
	s_cbranch_execnz .LBB278_94
.LBB278_43:
	s_or_b32 exec_lo, exec_lo, s12
	s_and_saveexec_b32 s11, s10
	s_cbranch_execnz .LBB278_95
.LBB278_44:
	s_or_b32 exec_lo, exec_lo, s11
	s_and_saveexec_b32 s10, s9
	s_cbranch_execnz .LBB278_96
.LBB278_45:
	s_or_b32 exec_lo, exec_lo, s10
	s_and_saveexec_b32 s9, s8
	s_cbranch_execnz .LBB278_97
.LBB278_46:
	s_or_b32 exec_lo, exec_lo, s9
	s_and_saveexec_b32 s8, s7
	s_cbranch_execnz .LBB278_98
.LBB278_47:
	s_or_b32 exec_lo, exec_lo, s8
	s_and_saveexec_b32 s7, s6
	s_cbranch_execnz .LBB278_99
.LBB278_48:
	s_or_b32 exec_lo, exec_lo, s7
	s_and_saveexec_b32 s6, s5
	s_cbranch_execnz .LBB278_100
.LBB278_49:
	s_or_b32 exec_lo, exec_lo, s6
	s_and_saveexec_b32 s5, s4
	s_cbranch_execnz .LBB278_101
.LBB278_50:
	s_or_b32 exec_lo, exec_lo, s5
	s_and_saveexec_b32 s4, s3
	s_cbranch_execnz .LBB278_102
.LBB278_51:
	s_or_b32 exec_lo, exec_lo, s4
	s_and_saveexec_b32 s3, s2
	s_cbranch_execnz .LBB278_103
.LBB278_52:
	s_or_b32 exec_lo, exec_lo, s3
	s_and_saveexec_b32 s2, s1
	s_cbranch_execnz .LBB278_104
.LBB278_53:
	s_or_b32 exec_lo, exec_lo, s2
	s_and_saveexec_b32 s1, s0
	s_cbranch_execnz .LBB278_105
.LBB278_54:
	s_or_b32 exec_lo, exec_lo, s1
	s_and_saveexec_b32 s0, vcc_lo
	s_cbranch_execz .LBB278_56
.LBB278_55:
	v_lshlrev_b32_e32 v1, 16, v20
	s_waitcnt vmcnt(0)
	v_lshlrev_b32_e32 v2, 16, v4
	s_delay_alu instid0(VALU_DEP_1) | instskip(NEXT) | instid1(VALU_DEP_1)
	v_mul_f32_e32 v1, v2, v1
	v_bfe_u32 v2, v1, 16, 1
	v_cmp_o_f32_e32 vcc_lo, v1, v1
	s_delay_alu instid0(VALU_DEP_2) | instskip(NEXT) | instid1(VALU_DEP_1)
	v_add3_u32 v2, v1, v2, 0x7fff
	v_lshrrev_b32_e32 v2, 16, v2
	s_delay_alu instid0(VALU_DEP_1)
	v_cndmask_b32_e32 v20, 0x7fc0, v2, vcc_lo
.LBB278_56:
	s_or_b32 exec_lo, exec_lo, s0
	s_delay_alu instid0(VALU_DEP_1) | instskip(SKIP_2) | instid1(VALU_DEP_2)
	v_and_b32_e32 v1, 0xffff, v20
	v_lshlrev_b32_e32 v2, 16, v20
	s_mov_b32 s0, exec_lo
	v_mov_b32_dpp v1, v1 quad_perm:[1,0,3,2] row_mask:0xf bank_mask:0xf
	s_delay_alu instid0(VALU_DEP_1) | instskip(NEXT) | instid1(VALU_DEP_1)
	v_lshlrev_b32_e32 v1, 16, v1
	v_mul_f32_e32 v1, v2, v1
	s_delay_alu instid0(VALU_DEP_1) | instskip(SKIP_1) | instid1(VALU_DEP_2)
	v_bfe_u32 v2, v1, 16, 1
	v_cmp_o_f32_e32 vcc_lo, v1, v1
	v_add3_u32 v2, v1, v2, 0x7fff
	s_delay_alu instid0(VALU_DEP_1) | instskip(NEXT) | instid1(VALU_DEP_1)
	v_lshrrev_b32_e32 v2, 16, v2
	v_cndmask_b32_e32 v1, 0x7fc0, v2, vcc_lo
	s_delay_alu instid0(VALU_DEP_1) | instskip(SKIP_1) | instid1(VALU_DEP_2)
	v_mov_b32_dpp v2, v1 quad_perm:[2,3,0,1] row_mask:0xf bank_mask:0xf
	v_lshlrev_b32_e32 v1, 16, v1
	v_lshlrev_b32_e32 v2, 16, v2
	s_delay_alu instid0(VALU_DEP_1) | instskip(NEXT) | instid1(VALU_DEP_1)
	v_mul_f32_e32 v1, v2, v1
	v_bfe_u32 v2, v1, 16, 1
	v_cmp_o_f32_e32 vcc_lo, v1, v1
	s_delay_alu instid0(VALU_DEP_2) | instskip(NEXT) | instid1(VALU_DEP_1)
	v_add3_u32 v2, v1, v2, 0x7fff
	v_lshrrev_b32_e32 v2, 16, v2
	s_delay_alu instid0(VALU_DEP_1) | instskip(NEXT) | instid1(VALU_DEP_1)
	v_cndmask_b32_e32 v1, 0x7fc0, v2, vcc_lo
	v_mov_b32_dpp v2, v1 row_ror:4 row_mask:0xf bank_mask:0xf
	v_lshlrev_b32_e32 v1, 16, v1
	s_delay_alu instid0(VALU_DEP_2) | instskip(NEXT) | instid1(VALU_DEP_1)
	v_lshlrev_b32_e32 v2, 16, v2
	v_mul_f32_e32 v1, v2, v1
	s_delay_alu instid0(VALU_DEP_1) | instskip(SKIP_1) | instid1(VALU_DEP_2)
	v_bfe_u32 v2, v1, 16, 1
	v_cmp_o_f32_e32 vcc_lo, v1, v1
	v_add3_u32 v2, v1, v2, 0x7fff
	s_delay_alu instid0(VALU_DEP_1) | instskip(NEXT) | instid1(VALU_DEP_1)
	v_lshrrev_b32_e32 v2, 16, v2
	v_cndmask_b32_e32 v1, 0x7fc0, v2, vcc_lo
	s_delay_alu instid0(VALU_DEP_1) | instskip(SKIP_1) | instid1(VALU_DEP_2)
	v_mov_b32_dpp v2, v1 row_ror:8 row_mask:0xf bank_mask:0xf
	v_lshlrev_b32_e32 v1, 16, v1
	v_lshlrev_b32_e32 v2, 16, v2
	s_delay_alu instid0(VALU_DEP_1) | instskip(NEXT) | instid1(VALU_DEP_1)
	v_mul_f32_e32 v1, v2, v1
	v_bfe_u32 v2, v1, 16, 1
	v_cmp_o_f32_e32 vcc_lo, v1, v1
	s_delay_alu instid0(VALU_DEP_2) | instskip(NEXT) | instid1(VALU_DEP_1)
	v_add3_u32 v2, v1, v2, 0x7fff
	v_lshrrev_b32_e32 v2, 16, v2
	s_delay_alu instid0(VALU_DEP_1) | instskip(SKIP_4) | instid1(VALU_DEP_1)
	v_cndmask_b32_e32 v1, 0x7fc0, v2, vcc_lo
	ds_swizzle_b32 v2, v1 offset:swizzle(BROADCAST,32,15)
	v_lshlrev_b32_e32 v1, 16, v1
	s_waitcnt lgkmcnt(0)
	v_lshlrev_b32_e32 v2, 16, v2
	v_mul_f32_e32 v1, v2, v1
	s_delay_alu instid0(VALU_DEP_1) | instskip(SKIP_1) | instid1(VALU_DEP_2)
	v_bfe_u32 v2, v1, 16, 1
	v_cmp_o_f32_e32 vcc_lo, v1, v1
	v_add3_u32 v2, v1, v2, 0x7fff
	s_delay_alu instid0(VALU_DEP_1) | instskip(NEXT) | instid1(VALU_DEP_1)
	v_lshrrev_b32_e32 v2, 16, v2
	v_dual_cndmask_b32 v1, 0x7fc0, v2 :: v_dual_mov_b32 v2, 0
	ds_bpermute_b32 v2, v2, v1 offset:124
	v_mbcnt_lo_u32_b32 v1, -1, 0
	s_delay_alu instid0(VALU_DEP_1)
	v_cmpx_eq_u32_e32 0, v1
	s_xor_b32 s0, exec_lo, s0
	s_cbranch_execz .LBB278_58
; %bb.57:
	s_waitcnt vmcnt(0)
	v_lshrrev_b32_e32 v3, 4, v0
	s_delay_alu instid0(VALU_DEP_1)
	v_and_b32_e32 v3, 14, v3
	s_waitcnt lgkmcnt(0)
	ds_store_b16 v3, v2
.LBB278_58:
	s_or_b32 exec_lo, exec_lo, s0
	s_delay_alu instid0(SALU_CYCLE_1)
	s_mov_b32 s0, exec_lo
	s_waitcnt vmcnt(0) lgkmcnt(0)
	s_barrier
	buffer_gl0_inv
	v_cmpx_gt_u32_e32 32, v0
	s_cbranch_execz .LBB278_60
; %bb.59:
	v_and_b32_e32 v2, 7, v1
	s_delay_alu instid0(VALU_DEP_1) | instskip(SKIP_3) | instid1(VALU_DEP_1)
	v_lshlrev_b32_e32 v3, 1, v2
	v_cmp_ne_u32_e32 vcc_lo, 7, v2
	ds_load_u16 v3, v3
	v_add_co_ci_u32_e32 v4, vcc_lo, 0, v1, vcc_lo
	v_lshlrev_b32_e32 v4, 2, v4
	s_waitcnt lgkmcnt(0)
	ds_bpermute_b32 v4, v4, v3
	v_lshlrev_b32_e32 v3, 16, v3
	s_waitcnt lgkmcnt(0)
	v_lshlrev_b32_e32 v4, 16, v4
	s_delay_alu instid0(VALU_DEP_1) | instskip(SKIP_1) | instid1(VALU_DEP_2)
	v_mul_f32_e32 v3, v3, v4
	v_cmp_gt_u32_e32 vcc_lo, 6, v2
	v_bfe_u32 v4, v3, 16, 1
	v_cndmask_b32_e64 v5, 0, 1, vcc_lo
	v_cmp_o_f32_e32 vcc_lo, v3, v3
	s_delay_alu instid0(VALU_DEP_3) | instskip(NEXT) | instid1(VALU_DEP_3)
	v_add3_u32 v4, v3, v4, 0x7fff
	v_lshlrev_b32_e32 v5, 1, v5
	s_delay_alu instid0(VALU_DEP_2) | instskip(NEXT) | instid1(VALU_DEP_2)
	v_lshrrev_b32_e32 v4, 16, v4
	v_add_lshl_u32 v5, v5, v1, 2
	s_delay_alu instid0(VALU_DEP_2) | instskip(SKIP_2) | instid1(VALU_DEP_1)
	v_cndmask_b32_e32 v3, 0x7fc0, v4, vcc_lo
	v_cmp_gt_u32_e32 vcc_lo, 4, v2
	v_cndmask_b32_e64 v2, 0, 1, vcc_lo
	v_lshlrev_b32_e32 v2, 2, v2
	ds_bpermute_b32 v4, v5, v3
	v_lshlrev_b32_e32 v3, 16, v3
	v_add_lshl_u32 v1, v2, v1, 2
	s_waitcnt lgkmcnt(0)
	v_lshlrev_b32_e32 v4, 16, v4
	s_delay_alu instid0(VALU_DEP_1) | instskip(NEXT) | instid1(VALU_DEP_1)
	v_mul_f32_e32 v3, v4, v3
	v_bfe_u32 v4, v3, 16, 1
	v_cmp_o_f32_e32 vcc_lo, v3, v3
	s_delay_alu instid0(VALU_DEP_2) | instskip(NEXT) | instid1(VALU_DEP_1)
	v_add3_u32 v4, v3, v4, 0x7fff
	v_lshrrev_b32_e32 v4, 16, v4
	s_delay_alu instid0(VALU_DEP_1) | instskip(SKIP_4) | instid1(VALU_DEP_1)
	v_cndmask_b32_e32 v3, 0x7fc0, v4, vcc_lo
	ds_bpermute_b32 v1, v1, v3
	v_lshlrev_b32_e32 v2, 16, v3
	s_waitcnt lgkmcnt(0)
	v_lshlrev_b32_e32 v1, 16, v1
	v_mul_f32_e32 v1, v1, v2
	s_delay_alu instid0(VALU_DEP_1) | instskip(SKIP_1) | instid1(VALU_DEP_2)
	v_bfe_u32 v2, v1, 16, 1
	v_cmp_o_f32_e32 vcc_lo, v1, v1
	v_add3_u32 v2, v1, v2, 0x7fff
	s_delay_alu instid0(VALU_DEP_1) | instskip(NEXT) | instid1(VALU_DEP_1)
	v_lshrrev_b32_e32 v2, 16, v2
	v_cndmask_b32_e32 v2, 0x7fc0, v2, vcc_lo
.LBB278_60:
	s_or_b32 exec_lo, exec_lo, s0
	s_branch .LBB278_112
.LBB278_61:
                                        ; implicit-def: $vgpr2
	s_cbranch_execz .LBB278_112
; %bb.62:
	s_sub_i32 s1, s22, s26
	s_mov_b32 s2, exec_lo
                                        ; implicit-def: $vgpr5
	v_cmpx_gt_u32_e64 s1, v0
	s_cbranch_execz .LBB278_68
; %bb.63:
	v_add_co_u32 v1, s0, s26, v0
	s_delay_alu instid0(VALU_DEP_1) | instskip(SKIP_1) | instid1(VALU_DEP_1)
	v_add_co_ci_u32_e64 v2, null, s27, 0, s0
	s_mov_b32 s3, exec_lo
	v_lshlrev_b64 v[3:4], 1, v[1:2]
	s_delay_alu instid0(VALU_DEP_1) | instskip(NEXT) | instid1(VALU_DEP_2)
	v_add_co_u32 v3, vcc_lo, s16, v3
	v_add_co_ci_u32_e32 v4, vcc_lo, s17, v4, vcc_lo
	v_add_co_u32 v1, vcc_lo, 0x100, v1
	v_add_co_ci_u32_e32 v2, vcc_lo, 0, v2, vcc_lo
	global_load_u16 v5, v[3:4], off
	v_cmpx_gt_i64_e64 s[22:23], v[1:2]
	s_cbranch_execz .LBB278_67
; %bb.64:
	v_add_co_u32 v3, vcc_lo, 0x200, v3
	v_add_co_ci_u32_e32 v4, vcc_lo, 0, v4, vcc_lo
	s_mov_b32 s4, 0
	.p2align	6
.LBB278_65:                             ; =>This Inner Loop Header: Depth=1
	global_load_u16 v6, v[3:4], off
	s_waitcnt vmcnt(1)
	v_lshlrev_b32_e32 v5, 16, v5
	v_add_co_u32 v1, vcc_lo, 0x100, v1
	v_add_co_ci_u32_e32 v2, vcc_lo, 0, v2, vcc_lo
	v_add_co_u32 v3, vcc_lo, 0x200, v3
	v_add_co_ci_u32_e32 v4, vcc_lo, 0, v4, vcc_lo
	s_delay_alu instid0(VALU_DEP_3) | instskip(NEXT) | instid1(VALU_DEP_1)
	v_cmp_le_i64_e64 s0, s[22:23], v[1:2]
	s_or_b32 s4, s0, s4
	s_waitcnt vmcnt(0)
	v_lshlrev_b32_e32 v6, 16, v6
	s_delay_alu instid0(VALU_DEP_1) | instskip(NEXT) | instid1(VALU_DEP_1)
	v_mul_f32_e32 v5, v5, v6
	v_bfe_u32 v6, v5, 16, 1
	v_cmp_o_f32_e32 vcc_lo, v5, v5
	s_delay_alu instid0(VALU_DEP_2) | instskip(NEXT) | instid1(VALU_DEP_1)
	v_add3_u32 v6, v5, v6, 0x7fff
	v_lshrrev_b32_e32 v6, 16, v6
	s_delay_alu instid0(VALU_DEP_1)
	v_cndmask_b32_e32 v5, 0x7fc0, v6, vcc_lo
	s_and_not1_b32 exec_lo, exec_lo, s4
	s_cbranch_execnz .LBB278_65
; %bb.66:
	s_or_b32 exec_lo, exec_lo, s4
.LBB278_67:
	s_delay_alu instid0(SALU_CYCLE_1)
	s_or_b32 exec_lo, exec_lo, s3
.LBB278_68:
	s_delay_alu instid0(SALU_CYCLE_1)
	s_or_b32 exec_lo, exec_lo, s2
	v_mbcnt_lo_u32_b32 v1, -1, 0
	s_waitcnt vmcnt(0)
	v_and_b32_e32 v3, 0xffff, v5
	s_cmpk_lt_u32 s1, 0x100
	s_cbranch_scc0 .LBB278_106
; %bb.69:
	v_cmp_ne_u32_e32 vcc_lo, 31, v1
	s_delay_alu instid0(VALU_DEP_2) | instskip(SKIP_1) | instid1(VALU_DEP_1)
	v_mov_b32_e32 v6, v3
	v_add_co_ci_u32_e32 v2, vcc_lo, 0, v1, vcc_lo
	v_lshlrev_b32_e32 v2, 2, v2
	ds_bpermute_b32 v7, v2, v3
	v_and_b32_e32 v2, 0xe0, v0
	s_delay_alu instid0(VALU_DEP_1) | instskip(SKIP_1) | instid1(VALU_DEP_1)
	v_sub_nc_u32_e64 v4, s1, v2 clamp
	v_add_nc_u32_e32 v2, 1, v1
	v_cmp_lt_u32_e32 vcc_lo, v2, v4
	v_mov_b32_e32 v2, v5
	s_and_saveexec_b32 s0, vcc_lo
	s_cbranch_execz .LBB278_71
; %bb.70:
	v_lshlrev_b32_e32 v2, 16, v3
	s_waitcnt lgkmcnt(0)
	v_lshlrev_b32_e32 v6, 16, v7
	s_delay_alu instid0(VALU_DEP_1) | instskip(NEXT) | instid1(VALU_DEP_1)
	v_mul_f32_e32 v2, v2, v6
	v_bfe_u32 v6, v2, 16, 1
	v_cmp_o_f32_e32 vcc_lo, v2, v2
	s_delay_alu instid0(VALU_DEP_2) | instskip(NEXT) | instid1(VALU_DEP_1)
	v_add3_u32 v6, v2, v6, 0x7fff
	v_lshrrev_b32_e32 v6, 16, v6
	s_delay_alu instid0(VALU_DEP_1) | instskip(NEXT) | instid1(VALU_DEP_1)
	v_cndmask_b32_e32 v2, 0x7fc0, v6, vcc_lo
	v_and_b32_e32 v6, 0xffff, v2
.LBB278_71:
	s_or_b32 exec_lo, exec_lo, s0
	v_cmp_gt_u32_e32 vcc_lo, 30, v1
	v_add_nc_u32_e32 v8, 2, v1
	s_mov_b32 s0, exec_lo
	s_waitcnt lgkmcnt(0)
	v_cndmask_b32_e64 v7, 0, 1, vcc_lo
	s_delay_alu instid0(VALU_DEP_1) | instskip(NEXT) | instid1(VALU_DEP_1)
	v_lshlrev_b32_e32 v7, 1, v7
	v_add_lshl_u32 v7, v7, v1, 2
	ds_bpermute_b32 v7, v7, v6
	v_cmpx_lt_u32_e64 v8, v4
	s_cbranch_execz .LBB278_73
; %bb.72:
	v_lshlrev_b32_e32 v2, 16, v6
	s_waitcnt lgkmcnt(0)
	v_lshlrev_b32_e32 v6, 16, v7
	s_delay_alu instid0(VALU_DEP_1) | instskip(NEXT) | instid1(VALU_DEP_1)
	v_mul_f32_e32 v2, v2, v6
	v_bfe_u32 v6, v2, 16, 1
	v_cmp_o_f32_e32 vcc_lo, v2, v2
	s_delay_alu instid0(VALU_DEP_2) | instskip(NEXT) | instid1(VALU_DEP_1)
	v_add3_u32 v6, v2, v6, 0x7fff
	v_lshrrev_b32_e32 v6, 16, v6
	s_delay_alu instid0(VALU_DEP_1) | instskip(NEXT) | instid1(VALU_DEP_1)
	v_cndmask_b32_e32 v2, 0x7fc0, v6, vcc_lo
	v_and_b32_e32 v6, 0xffff, v2
.LBB278_73:
	s_or_b32 exec_lo, exec_lo, s0
	v_cmp_gt_u32_e32 vcc_lo, 28, v1
	v_add_nc_u32_e32 v8, 4, v1
	s_mov_b32 s0, exec_lo
	s_waitcnt lgkmcnt(0)
	v_cndmask_b32_e64 v7, 0, 1, vcc_lo
	s_delay_alu instid0(VALU_DEP_1) | instskip(NEXT) | instid1(VALU_DEP_1)
	v_lshlrev_b32_e32 v7, 2, v7
	v_add_lshl_u32 v7, v7, v1, 2
	ds_bpermute_b32 v7, v7, v6
	v_cmpx_lt_u32_e64 v8, v4
	;; [unrolled: 27-line block ×4, first 2 shown]
	s_cbranch_execz .LBB278_79
; %bb.78:
	v_lshlrev_b32_e32 v2, 16, v6
	s_waitcnt lgkmcnt(0)
	v_lshlrev_b32_e32 v4, 16, v7
	s_delay_alu instid0(VALU_DEP_1) | instskip(NEXT) | instid1(VALU_DEP_1)
	v_mul_f32_e32 v2, v2, v4
	v_bfe_u32 v4, v2, 16, 1
	v_cmp_o_f32_e32 vcc_lo, v2, v2
	s_delay_alu instid0(VALU_DEP_2) | instskip(NEXT) | instid1(VALU_DEP_1)
	v_add3_u32 v4, v2, v4, 0x7fff
	v_lshrrev_b32_e32 v4, 16, v4
	s_delay_alu instid0(VALU_DEP_1)
	v_cndmask_b32_e32 v2, 0x7fc0, v4, vcc_lo
.LBB278_79:
	s_or_b32 exec_lo, exec_lo, s0
	s_delay_alu instid0(SALU_CYCLE_1)
	s_mov_b32 s0, exec_lo
	v_cmpx_eq_u32_e32 0, v1
	s_cbranch_execz .LBB278_81
; %bb.80:
	v_lshrrev_b32_e32 v4, 4, v0
	s_delay_alu instid0(VALU_DEP_1)
	v_and_b32_e32 v4, 14, v4
	ds_store_b16 v4, v2
.LBB278_81:
	s_or_b32 exec_lo, exec_lo, s0
	s_delay_alu instid0(SALU_CYCLE_1)
	s_mov_b32 s0, exec_lo
	s_waitcnt lgkmcnt(0)
	s_barrier
	buffer_gl0_inv
	v_cmpx_gt_u32_e32 8, v0
	s_cbranch_execz .LBB278_89
; %bb.82:
	v_lshlrev_b32_e32 v2, 1, v1
	v_and_b32_e32 v4, 7, v1
	s_add_i32 s1, s1, 31
	s_mov_b32 s2, exec_lo
	s_lshr_b32 s1, s1, 5
	ds_load_u16 v2, v2
	v_cmp_ne_u32_e32 vcc_lo, 7, v4
	v_add_nc_u32_e32 v8, 1, v4
	v_add_co_ci_u32_e32 v7, vcc_lo, 0, v1, vcc_lo
	s_delay_alu instid0(VALU_DEP_1)
	v_lshlrev_b32_e32 v7, 2, v7
	s_waitcnt lgkmcnt(0)
	v_and_b32_e32 v6, 0xffff, v2
	ds_bpermute_b32 v7, v7, v6
	v_cmpx_gt_u32_e64 s1, v8
	s_cbranch_execz .LBB278_84
; %bb.83:
	v_lshlrev_b32_e32 v2, 16, v6
	s_waitcnt lgkmcnt(0)
	v_lshlrev_b32_e32 v6, 16, v7
	s_delay_alu instid0(VALU_DEP_1) | instskip(NEXT) | instid1(VALU_DEP_1)
	v_mul_f32_e32 v2, v2, v6
	v_bfe_u32 v6, v2, 16, 1
	v_cmp_o_f32_e32 vcc_lo, v2, v2
	s_delay_alu instid0(VALU_DEP_2) | instskip(NEXT) | instid1(VALU_DEP_1)
	v_add3_u32 v6, v2, v6, 0x7fff
	v_lshrrev_b32_e32 v6, 16, v6
	s_delay_alu instid0(VALU_DEP_1) | instskip(NEXT) | instid1(VALU_DEP_1)
	v_cndmask_b32_e32 v2, 0x7fc0, v6, vcc_lo
	v_and_b32_e32 v6, 0xffff, v2
.LBB278_84:
	s_or_b32 exec_lo, exec_lo, s2
	v_cmp_gt_u32_e32 vcc_lo, 6, v4
	v_add_nc_u32_e32 v8, 2, v4
	s_mov_b32 s2, exec_lo
	s_waitcnt lgkmcnt(0)
	v_cndmask_b32_e64 v7, 0, 1, vcc_lo
	s_delay_alu instid0(VALU_DEP_1) | instskip(NEXT) | instid1(VALU_DEP_1)
	v_lshlrev_b32_e32 v7, 1, v7
	v_add_lshl_u32 v7, v7, v1, 2
	ds_bpermute_b32 v7, v7, v6
	v_cmpx_gt_u32_e64 s1, v8
	s_cbranch_execz .LBB278_86
; %bb.85:
	v_lshlrev_b32_e32 v2, 16, v6
	s_waitcnt lgkmcnt(0)
	v_lshlrev_b32_e32 v6, 16, v7
	s_delay_alu instid0(VALU_DEP_1) | instskip(NEXT) | instid1(VALU_DEP_1)
	v_mul_f32_e32 v2, v2, v6
	v_bfe_u32 v6, v2, 16, 1
	v_cmp_o_f32_e32 vcc_lo, v2, v2
	s_delay_alu instid0(VALU_DEP_2) | instskip(NEXT) | instid1(VALU_DEP_1)
	v_add3_u32 v6, v2, v6, 0x7fff
	v_lshrrev_b32_e32 v6, 16, v6
	s_delay_alu instid0(VALU_DEP_1) | instskip(NEXT) | instid1(VALU_DEP_1)
	v_cndmask_b32_e32 v2, 0x7fc0, v6, vcc_lo
	v_and_b32_e32 v6, 0xffff, v2
.LBB278_86:
	s_or_b32 exec_lo, exec_lo, s2
	v_cmp_gt_u32_e32 vcc_lo, 4, v4
	v_add_nc_u32_e32 v4, 4, v4
	s_waitcnt lgkmcnt(0)
	v_cndmask_b32_e64 v7, 0, 1, vcc_lo
	s_delay_alu instid0(VALU_DEP_2) | instskip(NEXT) | instid1(VALU_DEP_2)
	v_cmp_gt_u32_e32 vcc_lo, s1, v4
	v_lshlrev_b32_e32 v7, 2, v7
	s_delay_alu instid0(VALU_DEP_1)
	v_add_lshl_u32 v7, v7, v1, 2
	ds_bpermute_b32 v7, v7, v6
	s_and_saveexec_b32 s1, vcc_lo
	s_cbranch_execz .LBB278_88
; %bb.87:
	v_lshlrev_b32_e32 v2, 16, v6
	s_waitcnt lgkmcnt(0)
	v_lshlrev_b32_e32 v4, 16, v7
	s_delay_alu instid0(VALU_DEP_1) | instskip(NEXT) | instid1(VALU_DEP_1)
	v_mul_f32_e32 v2, v2, v4
	v_bfe_u32 v4, v2, 16, 1
	v_cmp_o_f32_e32 vcc_lo, v2, v2
	s_delay_alu instid0(VALU_DEP_2) | instskip(NEXT) | instid1(VALU_DEP_1)
	v_add3_u32 v4, v2, v4, 0x7fff
	v_lshrrev_b32_e32 v4, 16, v4
	s_delay_alu instid0(VALU_DEP_1)
	v_cndmask_b32_e32 v2, 0x7fc0, v4, vcc_lo
.LBB278_88:
	s_or_b32 exec_lo, exec_lo, s1
.LBB278_89:
	s_delay_alu instid0(SALU_CYCLE_1)
	s_or_b32 exec_lo, exec_lo, s0
	s_branch .LBB278_112
.LBB278_90:
	v_lshlrev_b32_e32 v1, 1, v1
	global_load_u16 v4, v1, s[28:29]
	s_or_b32 exec_lo, exec_lo, s31
	s_and_saveexec_b32 s28, s14
	s_cbranch_execz .LBB278_40
.LBB278_91:
	v_lshlrev_b32_e32 v1, 16, v20
	s_waitcnt vmcnt(0)
	v_lshlrev_b32_e32 v2, 16, v18
	s_delay_alu instid0(VALU_DEP_1) | instskip(NEXT) | instid1(VALU_DEP_1)
	v_mul_f32_e32 v1, v1, v2
	v_bfe_u32 v2, v1, 16, 1
	v_cmp_o_f32_e64 s14, v1, v1
	s_delay_alu instid0(VALU_DEP_2) | instskip(NEXT) | instid1(VALU_DEP_1)
	v_add3_u32 v2, v1, v2, 0x7fff
	v_lshrrev_b32_e32 v2, 16, v2
	s_delay_alu instid0(VALU_DEP_1)
	v_cndmask_b32_e64 v20, 0x7fc0, v2, s14
	s_or_b32 exec_lo, exec_lo, s28
	s_and_saveexec_b32 s14, s13
	s_cbranch_execz .LBB278_41
.LBB278_92:
	s_delay_alu instid0(VALU_DEP_1) | instskip(SKIP_2) | instid1(VALU_DEP_1)
	v_lshlrev_b32_e32 v1, 16, v20
	s_waitcnt vmcnt(0)
	v_lshlrev_b32_e32 v2, 16, v17
	v_mul_f32_e32 v1, v2, v1
	s_delay_alu instid0(VALU_DEP_1) | instskip(SKIP_1) | instid1(VALU_DEP_2)
	v_bfe_u32 v2, v1, 16, 1
	v_cmp_o_f32_e64 s13, v1, v1
	v_add3_u32 v2, v1, v2, 0x7fff
	s_delay_alu instid0(VALU_DEP_1) | instskip(NEXT) | instid1(VALU_DEP_1)
	v_lshrrev_b32_e32 v2, 16, v2
	v_cndmask_b32_e64 v20, 0x7fc0, v2, s13
	s_or_b32 exec_lo, exec_lo, s14
	s_and_saveexec_b32 s13, s12
	s_cbranch_execz .LBB278_42
.LBB278_93:
	s_delay_alu instid0(VALU_DEP_1) | instskip(SKIP_2) | instid1(VALU_DEP_1)
	v_lshlrev_b32_e32 v1, 16, v20
	s_waitcnt vmcnt(0)
	v_lshlrev_b32_e32 v2, 16, v16
	v_mul_f32_e32 v1, v2, v1
	s_delay_alu instid0(VALU_DEP_1) | instskip(SKIP_1) | instid1(VALU_DEP_2)
	v_bfe_u32 v2, v1, 16, 1
	v_cmp_o_f32_e64 s12, v1, v1
	v_add3_u32 v2, v1, v2, 0x7fff
	s_delay_alu instid0(VALU_DEP_1) | instskip(NEXT) | instid1(VALU_DEP_1)
	v_lshrrev_b32_e32 v2, 16, v2
	v_cndmask_b32_e64 v20, 0x7fc0, v2, s12
	s_or_b32 exec_lo, exec_lo, s13
	s_and_saveexec_b32 s12, s11
	s_cbranch_execz .LBB278_43
.LBB278_94:
	s_delay_alu instid0(VALU_DEP_1) | instskip(SKIP_2) | instid1(VALU_DEP_1)
	v_lshlrev_b32_e32 v1, 16, v20
	s_waitcnt vmcnt(0)
	v_lshlrev_b32_e32 v2, 16, v15
	v_mul_f32_e32 v1, v2, v1
	s_delay_alu instid0(VALU_DEP_1) | instskip(SKIP_1) | instid1(VALU_DEP_2)
	v_bfe_u32 v2, v1, 16, 1
	v_cmp_o_f32_e64 s11, v1, v1
	v_add3_u32 v2, v1, v2, 0x7fff
	s_delay_alu instid0(VALU_DEP_1) | instskip(NEXT) | instid1(VALU_DEP_1)
	v_lshrrev_b32_e32 v2, 16, v2
	v_cndmask_b32_e64 v20, 0x7fc0, v2, s11
	s_or_b32 exec_lo, exec_lo, s12
	s_and_saveexec_b32 s11, s10
	s_cbranch_execz .LBB278_44
.LBB278_95:
	s_delay_alu instid0(VALU_DEP_1) | instskip(SKIP_2) | instid1(VALU_DEP_1)
	v_lshlrev_b32_e32 v1, 16, v20
	s_waitcnt vmcnt(0)
	v_lshlrev_b32_e32 v2, 16, v14
	v_mul_f32_e32 v1, v2, v1
	s_delay_alu instid0(VALU_DEP_1) | instskip(SKIP_1) | instid1(VALU_DEP_2)
	v_bfe_u32 v2, v1, 16, 1
	v_cmp_o_f32_e64 s10, v1, v1
	v_add3_u32 v2, v1, v2, 0x7fff
	s_delay_alu instid0(VALU_DEP_1) | instskip(NEXT) | instid1(VALU_DEP_1)
	v_lshrrev_b32_e32 v2, 16, v2
	v_cndmask_b32_e64 v20, 0x7fc0, v2, s10
	s_or_b32 exec_lo, exec_lo, s11
	s_and_saveexec_b32 s10, s9
	s_cbranch_execz .LBB278_45
.LBB278_96:
	s_delay_alu instid0(VALU_DEP_1) | instskip(SKIP_2) | instid1(VALU_DEP_1)
	v_lshlrev_b32_e32 v1, 16, v20
	s_waitcnt vmcnt(0)
	v_lshlrev_b32_e32 v2, 16, v13
	v_mul_f32_e32 v1, v2, v1
	s_delay_alu instid0(VALU_DEP_1) | instskip(SKIP_1) | instid1(VALU_DEP_2)
	v_bfe_u32 v2, v1, 16, 1
	v_cmp_o_f32_e64 s9, v1, v1
	v_add3_u32 v2, v1, v2, 0x7fff
	s_delay_alu instid0(VALU_DEP_1) | instskip(NEXT) | instid1(VALU_DEP_1)
	v_lshrrev_b32_e32 v2, 16, v2
	v_cndmask_b32_e64 v20, 0x7fc0, v2, s9
	s_or_b32 exec_lo, exec_lo, s10
	s_and_saveexec_b32 s9, s8
	s_cbranch_execz .LBB278_46
.LBB278_97:
	s_delay_alu instid0(VALU_DEP_1) | instskip(SKIP_2) | instid1(VALU_DEP_1)
	v_lshlrev_b32_e32 v1, 16, v20
	s_waitcnt vmcnt(0)
	v_lshlrev_b32_e32 v2, 16, v12
	v_mul_f32_e32 v1, v2, v1
	s_delay_alu instid0(VALU_DEP_1) | instskip(SKIP_1) | instid1(VALU_DEP_2)
	v_bfe_u32 v2, v1, 16, 1
	v_cmp_o_f32_e64 s8, v1, v1
	v_add3_u32 v2, v1, v2, 0x7fff
	s_delay_alu instid0(VALU_DEP_1) | instskip(NEXT) | instid1(VALU_DEP_1)
	v_lshrrev_b32_e32 v2, 16, v2
	v_cndmask_b32_e64 v20, 0x7fc0, v2, s8
	s_or_b32 exec_lo, exec_lo, s9
	s_and_saveexec_b32 s8, s7
	s_cbranch_execz .LBB278_47
.LBB278_98:
	s_delay_alu instid0(VALU_DEP_1) | instskip(SKIP_2) | instid1(VALU_DEP_1)
	v_lshlrev_b32_e32 v1, 16, v20
	s_waitcnt vmcnt(0)
	v_lshlrev_b32_e32 v2, 16, v11
	v_mul_f32_e32 v1, v2, v1
	s_delay_alu instid0(VALU_DEP_1) | instskip(SKIP_1) | instid1(VALU_DEP_2)
	v_bfe_u32 v2, v1, 16, 1
	v_cmp_o_f32_e64 s7, v1, v1
	v_add3_u32 v2, v1, v2, 0x7fff
	s_delay_alu instid0(VALU_DEP_1) | instskip(NEXT) | instid1(VALU_DEP_1)
	v_lshrrev_b32_e32 v2, 16, v2
	v_cndmask_b32_e64 v20, 0x7fc0, v2, s7
	s_or_b32 exec_lo, exec_lo, s8
	s_and_saveexec_b32 s7, s6
	s_cbranch_execz .LBB278_48
.LBB278_99:
	s_delay_alu instid0(VALU_DEP_1) | instskip(SKIP_2) | instid1(VALU_DEP_1)
	v_lshlrev_b32_e32 v1, 16, v20
	s_waitcnt vmcnt(0)
	v_lshlrev_b32_e32 v2, 16, v10
	v_mul_f32_e32 v1, v2, v1
	s_delay_alu instid0(VALU_DEP_1) | instskip(SKIP_1) | instid1(VALU_DEP_2)
	v_bfe_u32 v2, v1, 16, 1
	v_cmp_o_f32_e64 s6, v1, v1
	v_add3_u32 v2, v1, v2, 0x7fff
	s_delay_alu instid0(VALU_DEP_1) | instskip(NEXT) | instid1(VALU_DEP_1)
	v_lshrrev_b32_e32 v2, 16, v2
	v_cndmask_b32_e64 v20, 0x7fc0, v2, s6
	s_or_b32 exec_lo, exec_lo, s7
	s_and_saveexec_b32 s6, s5
	s_cbranch_execz .LBB278_49
.LBB278_100:
	s_delay_alu instid0(VALU_DEP_1) | instskip(SKIP_2) | instid1(VALU_DEP_1)
	v_lshlrev_b32_e32 v1, 16, v20
	s_waitcnt vmcnt(0)
	v_lshlrev_b32_e32 v2, 16, v9
	v_mul_f32_e32 v1, v2, v1
	s_delay_alu instid0(VALU_DEP_1) | instskip(SKIP_1) | instid1(VALU_DEP_2)
	v_bfe_u32 v2, v1, 16, 1
	v_cmp_o_f32_e64 s5, v1, v1
	v_add3_u32 v2, v1, v2, 0x7fff
	s_delay_alu instid0(VALU_DEP_1) | instskip(NEXT) | instid1(VALU_DEP_1)
	v_lshrrev_b32_e32 v2, 16, v2
	v_cndmask_b32_e64 v20, 0x7fc0, v2, s5
	s_or_b32 exec_lo, exec_lo, s6
	s_and_saveexec_b32 s5, s4
	s_cbranch_execz .LBB278_50
.LBB278_101:
	s_delay_alu instid0(VALU_DEP_1) | instskip(SKIP_2) | instid1(VALU_DEP_1)
	v_lshlrev_b32_e32 v1, 16, v20
	s_waitcnt vmcnt(0)
	v_lshlrev_b32_e32 v2, 16, v8
	v_mul_f32_e32 v1, v2, v1
	s_delay_alu instid0(VALU_DEP_1) | instskip(SKIP_1) | instid1(VALU_DEP_2)
	v_bfe_u32 v2, v1, 16, 1
	v_cmp_o_f32_e64 s4, v1, v1
	v_add3_u32 v2, v1, v2, 0x7fff
	s_delay_alu instid0(VALU_DEP_1) | instskip(NEXT) | instid1(VALU_DEP_1)
	v_lshrrev_b32_e32 v2, 16, v2
	v_cndmask_b32_e64 v20, 0x7fc0, v2, s4
	s_or_b32 exec_lo, exec_lo, s5
	s_and_saveexec_b32 s4, s3
	s_cbranch_execz .LBB278_51
.LBB278_102:
	s_delay_alu instid0(VALU_DEP_1) | instskip(SKIP_2) | instid1(VALU_DEP_1)
	v_lshlrev_b32_e32 v1, 16, v20
	s_waitcnt vmcnt(0)
	v_lshlrev_b32_e32 v2, 16, v7
	v_mul_f32_e32 v1, v2, v1
	s_delay_alu instid0(VALU_DEP_1) | instskip(SKIP_1) | instid1(VALU_DEP_2)
	v_bfe_u32 v2, v1, 16, 1
	v_cmp_o_f32_e64 s3, v1, v1
	v_add3_u32 v2, v1, v2, 0x7fff
	s_delay_alu instid0(VALU_DEP_1) | instskip(NEXT) | instid1(VALU_DEP_1)
	v_lshrrev_b32_e32 v2, 16, v2
	v_cndmask_b32_e64 v20, 0x7fc0, v2, s3
	s_or_b32 exec_lo, exec_lo, s4
	s_and_saveexec_b32 s3, s2
	s_cbranch_execz .LBB278_52
.LBB278_103:
	s_delay_alu instid0(VALU_DEP_1) | instskip(SKIP_2) | instid1(VALU_DEP_1)
	v_lshlrev_b32_e32 v1, 16, v20
	s_waitcnt vmcnt(0)
	v_lshlrev_b32_e32 v2, 16, v6
	v_mul_f32_e32 v1, v2, v1
	s_delay_alu instid0(VALU_DEP_1) | instskip(SKIP_1) | instid1(VALU_DEP_2)
	v_bfe_u32 v2, v1, 16, 1
	v_cmp_o_f32_e64 s2, v1, v1
	v_add3_u32 v2, v1, v2, 0x7fff
	s_delay_alu instid0(VALU_DEP_1) | instskip(NEXT) | instid1(VALU_DEP_1)
	v_lshrrev_b32_e32 v2, 16, v2
	v_cndmask_b32_e64 v20, 0x7fc0, v2, s2
	s_or_b32 exec_lo, exec_lo, s3
	s_and_saveexec_b32 s2, s1
	s_cbranch_execz .LBB278_53
.LBB278_104:
	s_delay_alu instid0(VALU_DEP_1) | instskip(SKIP_2) | instid1(VALU_DEP_1)
	v_lshlrev_b32_e32 v1, 16, v20
	s_waitcnt vmcnt(0)
	v_lshlrev_b32_e32 v2, 16, v5
	v_mul_f32_e32 v1, v2, v1
	s_delay_alu instid0(VALU_DEP_1) | instskip(SKIP_1) | instid1(VALU_DEP_2)
	v_bfe_u32 v2, v1, 16, 1
	v_cmp_o_f32_e64 s1, v1, v1
	v_add3_u32 v2, v1, v2, 0x7fff
	s_delay_alu instid0(VALU_DEP_1) | instskip(NEXT) | instid1(VALU_DEP_1)
	v_lshrrev_b32_e32 v2, 16, v2
	v_cndmask_b32_e64 v20, 0x7fc0, v2, s1
	s_or_b32 exec_lo, exec_lo, s2
	s_and_saveexec_b32 s1, s0
	s_cbranch_execz .LBB278_54
.LBB278_105:
	s_delay_alu instid0(VALU_DEP_1) | instskip(SKIP_2) | instid1(VALU_DEP_1)
	v_lshlrev_b32_e32 v1, 16, v20
	s_waitcnt vmcnt(0)
	v_lshlrev_b32_e32 v2, 16, v3
	v_mul_f32_e32 v1, v2, v1
	s_delay_alu instid0(VALU_DEP_1) | instskip(SKIP_1) | instid1(VALU_DEP_2)
	v_bfe_u32 v2, v1, 16, 1
	v_cmp_o_f32_e64 s0, v1, v1
	v_add3_u32 v2, v1, v2, 0x7fff
	s_delay_alu instid0(VALU_DEP_1) | instskip(NEXT) | instid1(VALU_DEP_1)
	v_lshrrev_b32_e32 v2, 16, v2
	v_cndmask_b32_e64 v20, 0x7fc0, v2, s0
	s_or_b32 exec_lo, exec_lo, s1
	s_and_saveexec_b32 s0, vcc_lo
	s_cbranch_execnz .LBB278_55
	s_branch .LBB278_56
.LBB278_106:
                                        ; implicit-def: $vgpr2
	s_cbranch_execz .LBB278_112
; %bb.107:
	s_delay_alu instid0(VALU_DEP_1) | instskip(SKIP_2) | instid1(VALU_DEP_2)
	v_mov_b32_dpp v2, v3 quad_perm:[1,0,3,2] row_mask:0xf bank_mask:0xf
	v_lshlrev_b32_e32 v3, 16, v5
	s_mov_b32 s0, exec_lo
	v_lshlrev_b32_e32 v2, 16, v2
	s_delay_alu instid0(VALU_DEP_1) | instskip(NEXT) | instid1(VALU_DEP_1)
	v_mul_f32_e32 v2, v3, v2
	v_bfe_u32 v3, v2, 16, 1
	v_cmp_o_f32_e32 vcc_lo, v2, v2
	s_delay_alu instid0(VALU_DEP_2) | instskip(NEXT) | instid1(VALU_DEP_1)
	v_add3_u32 v3, v2, v3, 0x7fff
	v_lshrrev_b32_e32 v3, 16, v3
	s_delay_alu instid0(VALU_DEP_1) | instskip(NEXT) | instid1(VALU_DEP_1)
	v_cndmask_b32_e32 v2, 0x7fc0, v3, vcc_lo
	v_mov_b32_dpp v3, v2 quad_perm:[2,3,0,1] row_mask:0xf bank_mask:0xf
	v_lshlrev_b32_e32 v2, 16, v2
	s_delay_alu instid0(VALU_DEP_2) | instskip(NEXT) | instid1(VALU_DEP_1)
	v_lshlrev_b32_e32 v3, 16, v3
	v_mul_f32_e32 v2, v3, v2
	s_delay_alu instid0(VALU_DEP_1) | instskip(SKIP_1) | instid1(VALU_DEP_2)
	v_bfe_u32 v3, v2, 16, 1
	v_cmp_o_f32_e32 vcc_lo, v2, v2
	v_add3_u32 v3, v2, v3, 0x7fff
	s_delay_alu instid0(VALU_DEP_1) | instskip(NEXT) | instid1(VALU_DEP_1)
	v_lshrrev_b32_e32 v3, 16, v3
	v_cndmask_b32_e32 v2, 0x7fc0, v3, vcc_lo
	s_delay_alu instid0(VALU_DEP_1) | instskip(SKIP_1) | instid1(VALU_DEP_2)
	v_mov_b32_dpp v3, v2 row_ror:4 row_mask:0xf bank_mask:0xf
	v_lshlrev_b32_e32 v2, 16, v2
	v_lshlrev_b32_e32 v3, 16, v3
	s_delay_alu instid0(VALU_DEP_1) | instskip(NEXT) | instid1(VALU_DEP_1)
	v_mul_f32_e32 v2, v3, v2
	v_bfe_u32 v3, v2, 16, 1
	v_cmp_o_f32_e32 vcc_lo, v2, v2
	s_delay_alu instid0(VALU_DEP_2) | instskip(NEXT) | instid1(VALU_DEP_1)
	v_add3_u32 v3, v2, v3, 0x7fff
	v_lshrrev_b32_e32 v3, 16, v3
	s_delay_alu instid0(VALU_DEP_1) | instskip(NEXT) | instid1(VALU_DEP_1)
	v_cndmask_b32_e32 v2, 0x7fc0, v3, vcc_lo
	v_mov_b32_dpp v3, v2 row_ror:8 row_mask:0xf bank_mask:0xf
	v_lshlrev_b32_e32 v2, 16, v2
	s_delay_alu instid0(VALU_DEP_2) | instskip(NEXT) | instid1(VALU_DEP_1)
	v_lshlrev_b32_e32 v3, 16, v3
	v_mul_f32_e32 v2, v3, v2
	s_delay_alu instid0(VALU_DEP_1) | instskip(SKIP_1) | instid1(VALU_DEP_2)
	v_bfe_u32 v3, v2, 16, 1
	v_cmp_o_f32_e32 vcc_lo, v2, v2
	v_add3_u32 v3, v2, v3, 0x7fff
	s_delay_alu instid0(VALU_DEP_1) | instskip(NEXT) | instid1(VALU_DEP_1)
	v_lshrrev_b32_e32 v3, 16, v3
	v_cndmask_b32_e32 v2, 0x7fc0, v3, vcc_lo
	ds_swizzle_b32 v3, v2 offset:swizzle(BROADCAST,32,15)
	v_lshlrev_b32_e32 v2, 16, v2
	s_waitcnt lgkmcnt(0)
	v_lshlrev_b32_e32 v3, 16, v3
	s_delay_alu instid0(VALU_DEP_1) | instskip(NEXT) | instid1(VALU_DEP_1)
	v_mul_f32_e32 v2, v3, v2
	v_bfe_u32 v3, v2, 16, 1
	v_cmp_o_f32_e32 vcc_lo, v2, v2
	s_delay_alu instid0(VALU_DEP_2) | instskip(NEXT) | instid1(VALU_DEP_1)
	v_add3_u32 v3, v2, v3, 0x7fff
	v_lshrrev_b32_e32 v3, 16, v3
	s_delay_alu instid0(VALU_DEP_1)
	v_dual_cndmask_b32 v2, 0x7fc0, v3 :: v_dual_mov_b32 v3, 0
	ds_bpermute_b32 v2, v3, v2 offset:124
	v_cmpx_eq_u32_e32 0, v1
	s_cbranch_execz .LBB278_109
; %bb.108:
	v_lshrrev_b32_e32 v3, 4, v0
	s_delay_alu instid0(VALU_DEP_1)
	v_and_b32_e32 v3, 14, v3
	s_waitcnt lgkmcnt(0)
	ds_store_b16 v3, v2
.LBB278_109:
	s_or_b32 exec_lo, exec_lo, s0
	s_delay_alu instid0(SALU_CYCLE_1)
	s_mov_b32 s0, exec_lo
	s_waitcnt lgkmcnt(0)
	s_barrier
	buffer_gl0_inv
	v_cmpx_gt_u32_e32 32, v0
	s_cbranch_execz .LBB278_111
; %bb.110:
	v_and_b32_e32 v2, 7, v1
	s_delay_alu instid0(VALU_DEP_1) | instskip(SKIP_3) | instid1(VALU_DEP_1)
	v_lshlrev_b32_e32 v3, 1, v2
	v_cmp_ne_u32_e32 vcc_lo, 7, v2
	ds_load_u16 v3, v3
	v_add_co_ci_u32_e32 v4, vcc_lo, 0, v1, vcc_lo
	v_lshlrev_b32_e32 v4, 2, v4
	s_waitcnt lgkmcnt(0)
	ds_bpermute_b32 v4, v4, v3
	v_lshlrev_b32_e32 v3, 16, v3
	s_waitcnt lgkmcnt(0)
	v_lshlrev_b32_e32 v4, 16, v4
	s_delay_alu instid0(VALU_DEP_1) | instskip(SKIP_1) | instid1(VALU_DEP_2)
	v_mul_f32_e32 v3, v3, v4
	v_cmp_gt_u32_e32 vcc_lo, 6, v2
	v_bfe_u32 v4, v3, 16, 1
	v_cndmask_b32_e64 v5, 0, 1, vcc_lo
	v_cmp_o_f32_e32 vcc_lo, v3, v3
	s_delay_alu instid0(VALU_DEP_3) | instskip(NEXT) | instid1(VALU_DEP_3)
	v_add3_u32 v4, v3, v4, 0x7fff
	v_lshlrev_b32_e32 v5, 1, v5
	s_delay_alu instid0(VALU_DEP_2) | instskip(NEXT) | instid1(VALU_DEP_2)
	v_lshrrev_b32_e32 v4, 16, v4
	v_add_lshl_u32 v5, v5, v1, 2
	s_delay_alu instid0(VALU_DEP_2) | instskip(SKIP_2) | instid1(VALU_DEP_1)
	v_cndmask_b32_e32 v3, 0x7fc0, v4, vcc_lo
	v_cmp_gt_u32_e32 vcc_lo, 4, v2
	v_cndmask_b32_e64 v2, 0, 1, vcc_lo
	v_lshlrev_b32_e32 v2, 2, v2
	ds_bpermute_b32 v4, v5, v3
	v_lshlrev_b32_e32 v3, 16, v3
	v_add_lshl_u32 v1, v2, v1, 2
	s_waitcnt lgkmcnt(0)
	v_lshlrev_b32_e32 v4, 16, v4
	s_delay_alu instid0(VALU_DEP_1) | instskip(NEXT) | instid1(VALU_DEP_1)
	v_mul_f32_e32 v3, v4, v3
	v_bfe_u32 v4, v3, 16, 1
	v_cmp_o_f32_e32 vcc_lo, v3, v3
	s_delay_alu instid0(VALU_DEP_2) | instskip(NEXT) | instid1(VALU_DEP_1)
	v_add3_u32 v4, v3, v4, 0x7fff
	v_lshrrev_b32_e32 v4, 16, v4
	s_delay_alu instid0(VALU_DEP_1) | instskip(SKIP_4) | instid1(VALU_DEP_1)
	v_cndmask_b32_e32 v3, 0x7fc0, v4, vcc_lo
	ds_bpermute_b32 v1, v1, v3
	v_lshlrev_b32_e32 v2, 16, v3
	s_waitcnt lgkmcnt(0)
	v_lshlrev_b32_e32 v1, 16, v1
	v_mul_f32_e32 v1, v1, v2
	s_delay_alu instid0(VALU_DEP_1) | instskip(SKIP_1) | instid1(VALU_DEP_2)
	v_bfe_u32 v2, v1, 16, 1
	v_cmp_o_f32_e32 vcc_lo, v1, v1
	v_add3_u32 v2, v1, v2, 0x7fff
	s_delay_alu instid0(VALU_DEP_1) | instskip(NEXT) | instid1(VALU_DEP_1)
	v_lshrrev_b32_e32 v2, 16, v2
	v_cndmask_b32_e32 v2, 0x7fc0, v2, vcc_lo
.LBB278_111:
	s_or_b32 exec_lo, exec_lo, s0
.LBB278_112:
	s_delay_alu instid0(SALU_CYCLE_1)
	s_mov_b32 s0, exec_lo
                                        ; implicit-def: $vgpr1
	v_cmpx_eq_u32_e32 0, v0
; %bb.113:
	s_delay_alu instid0(VALU_DEP_2) | instskip(SKIP_2) | instid1(VALU_DEP_1)
	v_lshlrev_b32_e32 v0, 16, v2
	s_lshl_b32 s1, s15, 16
	s_or_b32 s30, s30, exec_lo
	v_mul_f32_e32 v0, s1, v0
	s_delay_alu instid0(VALU_DEP_1) | instskip(SKIP_1) | instid1(VALU_DEP_2)
	v_bfe_u32 v1, v0, 16, 1
	v_cmp_o_f32_e32 vcc_lo, v0, v0
	v_add3_u32 v1, v0, v1, 0x7fff
	s_delay_alu instid0(VALU_DEP_1) | instskip(NEXT) | instid1(VALU_DEP_1)
	v_lshrrev_b32_e32 v1, 16, v1
	v_cndmask_b32_e32 v1, 0x7fc0, v1, vcc_lo
; %bb.114:
	s_or_b32 exec_lo, exec_lo, s0
	s_and_saveexec_b32 s0, s30
	s_cbranch_execz .LBB278_116
.LBB278_115:
	s_lshl_b64 s[0:1], s[20:21], 1
	v_mov_b32_e32 v0, 0
	s_add_u32 s2, s18, s0
	s_addc_u32 s3, s19, s1
	s_lshl_b64 s[0:1], s[24:25], 1
	s_delay_alu instid0(SALU_CYCLE_1)
	s_add_u32 s0, s2, s0
	s_addc_u32 s1, s3, s1
	global_store_b16 v0, v1, s[0:1]
.LBB278_116:
	s_nop 0
	s_sendmsg sendmsg(MSG_DEALLOC_VGPRS)
	s_endpgm
	.section	.rodata,"a",@progbits
	.p2align	6, 0x0
	.amdhsa_kernel _ZN7rocprim17ROCPRIM_400000_NS6detail17trampoline_kernelINS0_14default_configENS1_32segmented_reduce_config_selectorIN3c108BFloat16EEEZNS1_21segmented_reduce_implIS3_PKS6_PS6_PKlS6_N6hipcub16HIPCUB_304000_NS6detail27convert_result_type_wrapperISA_SB_N2at6native12_GLOBAL__N_110CustomProdEEEEE10hipError_tPvRmT0_T1_jT2_SS_T4_T3_P12ihipStream_tbEUlT_E_NS1_11comp_targetILNS1_3genE9ELNS1_11target_archE1100ELNS1_3gpuE3ELNS1_3repE0EEENS1_30default_config_static_selectorELNS0_4arch9wavefront6targetE0EEEvSR_
		.amdhsa_group_segment_fixed_size 16
		.amdhsa_private_segment_fixed_size 0
		.amdhsa_kernarg_size 48
		.amdhsa_user_sgpr_count 15
		.amdhsa_user_sgpr_dispatch_ptr 0
		.amdhsa_user_sgpr_queue_ptr 0
		.amdhsa_user_sgpr_kernarg_segment_ptr 1
		.amdhsa_user_sgpr_dispatch_id 0
		.amdhsa_user_sgpr_private_segment_size 0
		.amdhsa_wavefront_size32 1
		.amdhsa_uses_dynamic_stack 0
		.amdhsa_enable_private_segment 0
		.amdhsa_system_sgpr_workgroup_id_x 1
		.amdhsa_system_sgpr_workgroup_id_y 0
		.amdhsa_system_sgpr_workgroup_id_z 0
		.amdhsa_system_sgpr_workgroup_info 0
		.amdhsa_system_vgpr_workitem_id 0
		.amdhsa_next_free_vgpr 24
		.amdhsa_next_free_sgpr 34
		.amdhsa_reserve_vcc 1
		.amdhsa_float_round_mode_32 0
		.amdhsa_float_round_mode_16_64 0
		.amdhsa_float_denorm_mode_32 3
		.amdhsa_float_denorm_mode_16_64 3
		.amdhsa_dx10_clamp 1
		.amdhsa_ieee_mode 1
		.amdhsa_fp16_overflow 0
		.amdhsa_workgroup_processor_mode 1
		.amdhsa_memory_ordered 1
		.amdhsa_forward_progress 0
		.amdhsa_shared_vgpr_count 0
		.amdhsa_exception_fp_ieee_invalid_op 0
		.amdhsa_exception_fp_denorm_src 0
		.amdhsa_exception_fp_ieee_div_zero 0
		.amdhsa_exception_fp_ieee_overflow 0
		.amdhsa_exception_fp_ieee_underflow 0
		.amdhsa_exception_fp_ieee_inexact 0
		.amdhsa_exception_int_div_zero 0
	.end_amdhsa_kernel
	.section	.text._ZN7rocprim17ROCPRIM_400000_NS6detail17trampoline_kernelINS0_14default_configENS1_32segmented_reduce_config_selectorIN3c108BFloat16EEEZNS1_21segmented_reduce_implIS3_PKS6_PS6_PKlS6_N6hipcub16HIPCUB_304000_NS6detail27convert_result_type_wrapperISA_SB_N2at6native12_GLOBAL__N_110CustomProdEEEEE10hipError_tPvRmT0_T1_jT2_SS_T4_T3_P12ihipStream_tbEUlT_E_NS1_11comp_targetILNS1_3genE9ELNS1_11target_archE1100ELNS1_3gpuE3ELNS1_3repE0EEENS1_30default_config_static_selectorELNS0_4arch9wavefront6targetE0EEEvSR_,"axG",@progbits,_ZN7rocprim17ROCPRIM_400000_NS6detail17trampoline_kernelINS0_14default_configENS1_32segmented_reduce_config_selectorIN3c108BFloat16EEEZNS1_21segmented_reduce_implIS3_PKS6_PS6_PKlS6_N6hipcub16HIPCUB_304000_NS6detail27convert_result_type_wrapperISA_SB_N2at6native12_GLOBAL__N_110CustomProdEEEEE10hipError_tPvRmT0_T1_jT2_SS_T4_T3_P12ihipStream_tbEUlT_E_NS1_11comp_targetILNS1_3genE9ELNS1_11target_archE1100ELNS1_3gpuE3ELNS1_3repE0EEENS1_30default_config_static_selectorELNS0_4arch9wavefront6targetE0EEEvSR_,comdat
.Lfunc_end278:
	.size	_ZN7rocprim17ROCPRIM_400000_NS6detail17trampoline_kernelINS0_14default_configENS1_32segmented_reduce_config_selectorIN3c108BFloat16EEEZNS1_21segmented_reduce_implIS3_PKS6_PS6_PKlS6_N6hipcub16HIPCUB_304000_NS6detail27convert_result_type_wrapperISA_SB_N2at6native12_GLOBAL__N_110CustomProdEEEEE10hipError_tPvRmT0_T1_jT2_SS_T4_T3_P12ihipStream_tbEUlT_E_NS1_11comp_targetILNS1_3genE9ELNS1_11target_archE1100ELNS1_3gpuE3ELNS1_3repE0EEENS1_30default_config_static_selectorELNS0_4arch9wavefront6targetE0EEEvSR_, .Lfunc_end278-_ZN7rocprim17ROCPRIM_400000_NS6detail17trampoline_kernelINS0_14default_configENS1_32segmented_reduce_config_selectorIN3c108BFloat16EEEZNS1_21segmented_reduce_implIS3_PKS6_PS6_PKlS6_N6hipcub16HIPCUB_304000_NS6detail27convert_result_type_wrapperISA_SB_N2at6native12_GLOBAL__N_110CustomProdEEEEE10hipError_tPvRmT0_T1_jT2_SS_T4_T3_P12ihipStream_tbEUlT_E_NS1_11comp_targetILNS1_3genE9ELNS1_11target_archE1100ELNS1_3gpuE3ELNS1_3repE0EEENS1_30default_config_static_selectorELNS0_4arch9wavefront6targetE0EEEvSR_
                                        ; -- End function
	.section	.AMDGPU.csdata,"",@progbits
; Kernel info:
; codeLenInByte = 7964
; NumSgprs: 36
; NumVgprs: 24
; ScratchSize: 0
; MemoryBound: 0
; FloatMode: 240
; IeeeMode: 1
; LDSByteSize: 16 bytes/workgroup (compile time only)
; SGPRBlocks: 4
; VGPRBlocks: 2
; NumSGPRsForWavesPerEU: 36
; NumVGPRsForWavesPerEU: 24
; Occupancy: 16
; WaveLimiterHint : 1
; COMPUTE_PGM_RSRC2:SCRATCH_EN: 0
; COMPUTE_PGM_RSRC2:USER_SGPR: 15
; COMPUTE_PGM_RSRC2:TRAP_HANDLER: 0
; COMPUTE_PGM_RSRC2:TGID_X_EN: 1
; COMPUTE_PGM_RSRC2:TGID_Y_EN: 0
; COMPUTE_PGM_RSRC2:TGID_Z_EN: 0
; COMPUTE_PGM_RSRC2:TIDIG_COMP_CNT: 0
	.section	.text._ZN7rocprim17ROCPRIM_400000_NS6detail17trampoline_kernelINS0_14default_configENS1_32segmented_reduce_config_selectorIN3c108BFloat16EEEZNS1_21segmented_reduce_implIS3_PKS6_PS6_PKlS6_N6hipcub16HIPCUB_304000_NS6detail27convert_result_type_wrapperISA_SB_N2at6native12_GLOBAL__N_110CustomProdEEEEE10hipError_tPvRmT0_T1_jT2_SS_T4_T3_P12ihipStream_tbEUlT_E_NS1_11comp_targetILNS1_3genE8ELNS1_11target_archE1030ELNS1_3gpuE2ELNS1_3repE0EEENS1_30default_config_static_selectorELNS0_4arch9wavefront6targetE0EEEvSR_,"axG",@progbits,_ZN7rocprim17ROCPRIM_400000_NS6detail17trampoline_kernelINS0_14default_configENS1_32segmented_reduce_config_selectorIN3c108BFloat16EEEZNS1_21segmented_reduce_implIS3_PKS6_PS6_PKlS6_N6hipcub16HIPCUB_304000_NS6detail27convert_result_type_wrapperISA_SB_N2at6native12_GLOBAL__N_110CustomProdEEEEE10hipError_tPvRmT0_T1_jT2_SS_T4_T3_P12ihipStream_tbEUlT_E_NS1_11comp_targetILNS1_3genE8ELNS1_11target_archE1030ELNS1_3gpuE2ELNS1_3repE0EEENS1_30default_config_static_selectorELNS0_4arch9wavefront6targetE0EEEvSR_,comdat
	.globl	_ZN7rocprim17ROCPRIM_400000_NS6detail17trampoline_kernelINS0_14default_configENS1_32segmented_reduce_config_selectorIN3c108BFloat16EEEZNS1_21segmented_reduce_implIS3_PKS6_PS6_PKlS6_N6hipcub16HIPCUB_304000_NS6detail27convert_result_type_wrapperISA_SB_N2at6native12_GLOBAL__N_110CustomProdEEEEE10hipError_tPvRmT0_T1_jT2_SS_T4_T3_P12ihipStream_tbEUlT_E_NS1_11comp_targetILNS1_3genE8ELNS1_11target_archE1030ELNS1_3gpuE2ELNS1_3repE0EEENS1_30default_config_static_selectorELNS0_4arch9wavefront6targetE0EEEvSR_ ; -- Begin function _ZN7rocprim17ROCPRIM_400000_NS6detail17trampoline_kernelINS0_14default_configENS1_32segmented_reduce_config_selectorIN3c108BFloat16EEEZNS1_21segmented_reduce_implIS3_PKS6_PS6_PKlS6_N6hipcub16HIPCUB_304000_NS6detail27convert_result_type_wrapperISA_SB_N2at6native12_GLOBAL__N_110CustomProdEEEEE10hipError_tPvRmT0_T1_jT2_SS_T4_T3_P12ihipStream_tbEUlT_E_NS1_11comp_targetILNS1_3genE8ELNS1_11target_archE1030ELNS1_3gpuE2ELNS1_3repE0EEENS1_30default_config_static_selectorELNS0_4arch9wavefront6targetE0EEEvSR_
	.p2align	8
	.type	_ZN7rocprim17ROCPRIM_400000_NS6detail17trampoline_kernelINS0_14default_configENS1_32segmented_reduce_config_selectorIN3c108BFloat16EEEZNS1_21segmented_reduce_implIS3_PKS6_PS6_PKlS6_N6hipcub16HIPCUB_304000_NS6detail27convert_result_type_wrapperISA_SB_N2at6native12_GLOBAL__N_110CustomProdEEEEE10hipError_tPvRmT0_T1_jT2_SS_T4_T3_P12ihipStream_tbEUlT_E_NS1_11comp_targetILNS1_3genE8ELNS1_11target_archE1030ELNS1_3gpuE2ELNS1_3repE0EEENS1_30default_config_static_selectorELNS0_4arch9wavefront6targetE0EEEvSR_,@function
_ZN7rocprim17ROCPRIM_400000_NS6detail17trampoline_kernelINS0_14default_configENS1_32segmented_reduce_config_selectorIN3c108BFloat16EEEZNS1_21segmented_reduce_implIS3_PKS6_PS6_PKlS6_N6hipcub16HIPCUB_304000_NS6detail27convert_result_type_wrapperISA_SB_N2at6native12_GLOBAL__N_110CustomProdEEEEE10hipError_tPvRmT0_T1_jT2_SS_T4_T3_P12ihipStream_tbEUlT_E_NS1_11comp_targetILNS1_3genE8ELNS1_11target_archE1030ELNS1_3gpuE2ELNS1_3repE0EEENS1_30default_config_static_selectorELNS0_4arch9wavefront6targetE0EEEvSR_: ; @_ZN7rocprim17ROCPRIM_400000_NS6detail17trampoline_kernelINS0_14default_configENS1_32segmented_reduce_config_selectorIN3c108BFloat16EEEZNS1_21segmented_reduce_implIS3_PKS6_PS6_PKlS6_N6hipcub16HIPCUB_304000_NS6detail27convert_result_type_wrapperISA_SB_N2at6native12_GLOBAL__N_110CustomProdEEEEE10hipError_tPvRmT0_T1_jT2_SS_T4_T3_P12ihipStream_tbEUlT_E_NS1_11comp_targetILNS1_3genE8ELNS1_11target_archE1030ELNS1_3gpuE2ELNS1_3repE0EEENS1_30default_config_static_selectorELNS0_4arch9wavefront6targetE0EEEvSR_
; %bb.0:
	.section	.rodata,"a",@progbits
	.p2align	6, 0x0
	.amdhsa_kernel _ZN7rocprim17ROCPRIM_400000_NS6detail17trampoline_kernelINS0_14default_configENS1_32segmented_reduce_config_selectorIN3c108BFloat16EEEZNS1_21segmented_reduce_implIS3_PKS6_PS6_PKlS6_N6hipcub16HIPCUB_304000_NS6detail27convert_result_type_wrapperISA_SB_N2at6native12_GLOBAL__N_110CustomProdEEEEE10hipError_tPvRmT0_T1_jT2_SS_T4_T3_P12ihipStream_tbEUlT_E_NS1_11comp_targetILNS1_3genE8ELNS1_11target_archE1030ELNS1_3gpuE2ELNS1_3repE0EEENS1_30default_config_static_selectorELNS0_4arch9wavefront6targetE0EEEvSR_
		.amdhsa_group_segment_fixed_size 0
		.amdhsa_private_segment_fixed_size 0
		.amdhsa_kernarg_size 48
		.amdhsa_user_sgpr_count 15
		.amdhsa_user_sgpr_dispatch_ptr 0
		.amdhsa_user_sgpr_queue_ptr 0
		.amdhsa_user_sgpr_kernarg_segment_ptr 1
		.amdhsa_user_sgpr_dispatch_id 0
		.amdhsa_user_sgpr_private_segment_size 0
		.amdhsa_wavefront_size32 1
		.amdhsa_uses_dynamic_stack 0
		.amdhsa_enable_private_segment 0
		.amdhsa_system_sgpr_workgroup_id_x 1
		.amdhsa_system_sgpr_workgroup_id_y 0
		.amdhsa_system_sgpr_workgroup_id_z 0
		.amdhsa_system_sgpr_workgroup_info 0
		.amdhsa_system_vgpr_workitem_id 0
		.amdhsa_next_free_vgpr 1
		.amdhsa_next_free_sgpr 1
		.amdhsa_reserve_vcc 0
		.amdhsa_float_round_mode_32 0
		.amdhsa_float_round_mode_16_64 0
		.amdhsa_float_denorm_mode_32 3
		.amdhsa_float_denorm_mode_16_64 3
		.amdhsa_dx10_clamp 1
		.amdhsa_ieee_mode 1
		.amdhsa_fp16_overflow 0
		.amdhsa_workgroup_processor_mode 1
		.amdhsa_memory_ordered 1
		.amdhsa_forward_progress 0
		.amdhsa_shared_vgpr_count 0
		.amdhsa_exception_fp_ieee_invalid_op 0
		.amdhsa_exception_fp_denorm_src 0
		.amdhsa_exception_fp_ieee_div_zero 0
		.amdhsa_exception_fp_ieee_overflow 0
		.amdhsa_exception_fp_ieee_underflow 0
		.amdhsa_exception_fp_ieee_inexact 0
		.amdhsa_exception_int_div_zero 0
	.end_amdhsa_kernel
	.section	.text._ZN7rocprim17ROCPRIM_400000_NS6detail17trampoline_kernelINS0_14default_configENS1_32segmented_reduce_config_selectorIN3c108BFloat16EEEZNS1_21segmented_reduce_implIS3_PKS6_PS6_PKlS6_N6hipcub16HIPCUB_304000_NS6detail27convert_result_type_wrapperISA_SB_N2at6native12_GLOBAL__N_110CustomProdEEEEE10hipError_tPvRmT0_T1_jT2_SS_T4_T3_P12ihipStream_tbEUlT_E_NS1_11comp_targetILNS1_3genE8ELNS1_11target_archE1030ELNS1_3gpuE2ELNS1_3repE0EEENS1_30default_config_static_selectorELNS0_4arch9wavefront6targetE0EEEvSR_,"axG",@progbits,_ZN7rocprim17ROCPRIM_400000_NS6detail17trampoline_kernelINS0_14default_configENS1_32segmented_reduce_config_selectorIN3c108BFloat16EEEZNS1_21segmented_reduce_implIS3_PKS6_PS6_PKlS6_N6hipcub16HIPCUB_304000_NS6detail27convert_result_type_wrapperISA_SB_N2at6native12_GLOBAL__N_110CustomProdEEEEE10hipError_tPvRmT0_T1_jT2_SS_T4_T3_P12ihipStream_tbEUlT_E_NS1_11comp_targetILNS1_3genE8ELNS1_11target_archE1030ELNS1_3gpuE2ELNS1_3repE0EEENS1_30default_config_static_selectorELNS0_4arch9wavefront6targetE0EEEvSR_,comdat
.Lfunc_end279:
	.size	_ZN7rocprim17ROCPRIM_400000_NS6detail17trampoline_kernelINS0_14default_configENS1_32segmented_reduce_config_selectorIN3c108BFloat16EEEZNS1_21segmented_reduce_implIS3_PKS6_PS6_PKlS6_N6hipcub16HIPCUB_304000_NS6detail27convert_result_type_wrapperISA_SB_N2at6native12_GLOBAL__N_110CustomProdEEEEE10hipError_tPvRmT0_T1_jT2_SS_T4_T3_P12ihipStream_tbEUlT_E_NS1_11comp_targetILNS1_3genE8ELNS1_11target_archE1030ELNS1_3gpuE2ELNS1_3repE0EEENS1_30default_config_static_selectorELNS0_4arch9wavefront6targetE0EEEvSR_, .Lfunc_end279-_ZN7rocprim17ROCPRIM_400000_NS6detail17trampoline_kernelINS0_14default_configENS1_32segmented_reduce_config_selectorIN3c108BFloat16EEEZNS1_21segmented_reduce_implIS3_PKS6_PS6_PKlS6_N6hipcub16HIPCUB_304000_NS6detail27convert_result_type_wrapperISA_SB_N2at6native12_GLOBAL__N_110CustomProdEEEEE10hipError_tPvRmT0_T1_jT2_SS_T4_T3_P12ihipStream_tbEUlT_E_NS1_11comp_targetILNS1_3genE8ELNS1_11target_archE1030ELNS1_3gpuE2ELNS1_3repE0EEENS1_30default_config_static_selectorELNS0_4arch9wavefront6targetE0EEEvSR_
                                        ; -- End function
	.section	.AMDGPU.csdata,"",@progbits
; Kernel info:
; codeLenInByte = 0
; NumSgprs: 0
; NumVgprs: 0
; ScratchSize: 0
; MemoryBound: 0
; FloatMode: 240
; IeeeMode: 1
; LDSByteSize: 0 bytes/workgroup (compile time only)
; SGPRBlocks: 0
; VGPRBlocks: 0
; NumSGPRsForWavesPerEU: 1
; NumVGPRsForWavesPerEU: 1
; Occupancy: 16
; WaveLimiterHint : 0
; COMPUTE_PGM_RSRC2:SCRATCH_EN: 0
; COMPUTE_PGM_RSRC2:USER_SGPR: 15
; COMPUTE_PGM_RSRC2:TRAP_HANDLER: 0
; COMPUTE_PGM_RSRC2:TGID_X_EN: 1
; COMPUTE_PGM_RSRC2:TGID_Y_EN: 0
; COMPUTE_PGM_RSRC2:TGID_Z_EN: 0
; COMPUTE_PGM_RSRC2:TIDIG_COMP_CNT: 0
	.text
	.p2alignl 7, 3214868480
	.fill 96, 4, 3214868480
	.type	__hip_cuid_c885f42794bacf73,@object ; @__hip_cuid_c885f42794bacf73
	.section	.bss,"aw",@nobits
	.globl	__hip_cuid_c885f42794bacf73
__hip_cuid_c885f42794bacf73:
	.byte	0                               ; 0x0
	.size	__hip_cuid_c885f42794bacf73, 1

	.ident	"AMD clang version 19.0.0git (https://github.com/RadeonOpenCompute/llvm-project roc-6.4.0 25133 c7fe45cf4b819c5991fe208aaa96edf142730f1d)"
	.section	".note.GNU-stack","",@progbits
	.addrsig
	.addrsig_sym __hip_cuid_c885f42794bacf73
	.amdgpu_metadata
---
amdhsa.kernels:
  - .args:
      - .offset:         0
        .size:           4
        .value_kind:     by_value
      - .address_space:  global
        .offset:         8
        .size:           8
        .value_kind:     global_buffer
      - .address_space:  global
        .offset:         16
        .size:           8
        .value_kind:     global_buffer
      - .address_space:  global
        .offset:         24
        .size:           8
        .value_kind:     global_buffer
      - .address_space:  global
        .offset:         32
        .size:           8
        .value_kind:     global_buffer
      - .address_space:  global
        .offset:         40
        .size:           8
        .value_kind:     global_buffer
      - .address_space:  global
        .offset:         48
        .size:           8
        .value_kind:     global_buffer
      - .offset:         56
        .size:           8
        .value_kind:     by_value
      - .offset:         64
        .size:           8
        .value_kind:     by_value
      - .offset:         72
        .size:           8
        .value_kind:     by_value
      - .offset:         80
        .size:           8
        .value_kind:     by_value
      - .offset:         88
        .size:           8
        .value_kind:     by_value
      - .offset:         96
        .size:           8
        .value_kind:     by_value
      - .offset:         104
        .size:           8
        .value_kind:     by_value
      - .offset:         112
        .size:           8
        .value_kind:     by_value
      - .offset:         120
        .size:           8
        .value_kind:     by_value
      - .offset:         128
        .size:           8
        .value_kind:     by_value
      - .offset:         136
        .size:           4
        .value_kind:     hidden_block_count_x
      - .offset:         140
        .size:           4
        .value_kind:     hidden_block_count_y
      - .offset:         144
        .size:           4
        .value_kind:     hidden_block_count_z
      - .offset:         148
        .size:           2
        .value_kind:     hidden_group_size_x
      - .offset:         150
        .size:           2
        .value_kind:     hidden_group_size_y
      - .offset:         152
        .size:           2
        .value_kind:     hidden_group_size_z
      - .offset:         154
        .size:           2
        .value_kind:     hidden_remainder_x
      - .offset:         156
        .size:           2
        .value_kind:     hidden_remainder_y
      - .offset:         158
        .size:           2
        .value_kind:     hidden_remainder_z
      - .offset:         176
        .size:           8
        .value_kind:     hidden_global_offset_x
      - .offset:         184
        .size:           8
        .value_kind:     hidden_global_offset_y
      - .offset:         192
        .size:           8
        .value_kind:     hidden_global_offset_z
      - .offset:         200
        .size:           2
        .value_kind:     hidden_grid_dims
    .group_segment_fixed_size: 0
    .kernarg_segment_align: 8
    .kernarg_segment_size: 392
    .language:       OpenCL C
    .language_version:
      - 2
      - 0
    .max_flat_workgroup_size: 1024
    .name:           _ZN2at6native12_GLOBAL__N_130segment_reduce_backward_kernelIdiEEvNS0_13ReductionTypeEPT_PKS4_S7_S7_PKT0_SA_llS4_lllllll
    .private_segment_fixed_size: 0
    .sgpr_count:     54
    .sgpr_spill_count: 0
    .symbol:         _ZN2at6native12_GLOBAL__N_130segment_reduce_backward_kernelIdiEEvNS0_13ReductionTypeEPT_PKS4_S7_S7_PKT0_SA_llS4_lllllll.kd
    .uniform_work_group_size: 1
    .uses_dynamic_stack: false
    .vgpr_count:     37
    .vgpr_spill_count: 0
    .wavefront_size: 32
    .workgroup_processor_mode: 1
  - .args:
      - .offset:         0
        .size:           4
        .value_kind:     by_value
      - .address_space:  global
        .offset:         8
        .size:           8
        .value_kind:     global_buffer
      - .address_space:  global
        .offset:         16
        .size:           8
        .value_kind:     global_buffer
      - .address_space:  global
        .offset:         24
        .size:           8
        .value_kind:     global_buffer
      - .address_space:  global
        .offset:         32
        .size:           8
        .value_kind:     global_buffer
      - .address_space:  global
        .offset:         40
        .size:           8
        .value_kind:     global_buffer
      - .address_space:  global
        .offset:         48
        .size:           8
        .value_kind:     global_buffer
      - .offset:         56
        .size:           8
        .value_kind:     by_value
      - .offset:         64
        .size:           8
        .value_kind:     by_value
      - .offset:         72
        .size:           4
        .value_kind:     by_value
      - .offset:         80
        .size:           8
        .value_kind:     by_value
      - .offset:         88
        .size:           8
        .value_kind:     by_value
      - .offset:         96
        .size:           8
        .value_kind:     by_value
      - .offset:         104
        .size:           8
        .value_kind:     by_value
      - .offset:         112
        .size:           8
        .value_kind:     by_value
      - .offset:         120
        .size:           8
        .value_kind:     by_value
      - .offset:         128
        .size:           8
        .value_kind:     by_value
      - .offset:         136
        .size:           4
        .value_kind:     hidden_block_count_x
      - .offset:         140
        .size:           4
        .value_kind:     hidden_block_count_y
      - .offset:         144
        .size:           4
        .value_kind:     hidden_block_count_z
      - .offset:         148
        .size:           2
        .value_kind:     hidden_group_size_x
      - .offset:         150
        .size:           2
        .value_kind:     hidden_group_size_y
      - .offset:         152
        .size:           2
        .value_kind:     hidden_group_size_z
      - .offset:         154
        .size:           2
        .value_kind:     hidden_remainder_x
      - .offset:         156
        .size:           2
        .value_kind:     hidden_remainder_y
      - .offset:         158
        .size:           2
        .value_kind:     hidden_remainder_z
      - .offset:         176
        .size:           8
        .value_kind:     hidden_global_offset_x
      - .offset:         184
        .size:           8
        .value_kind:     hidden_global_offset_y
      - .offset:         192
        .size:           8
        .value_kind:     hidden_global_offset_z
      - .offset:         200
        .size:           2
        .value_kind:     hidden_grid_dims
    .group_segment_fixed_size: 0
    .kernarg_segment_align: 8
    .kernarg_segment_size: 392
    .language:       OpenCL C
    .language_version:
      - 2
      - 0
    .max_flat_workgroup_size: 1024
    .name:           _ZN2at6native12_GLOBAL__N_130segment_reduce_backward_kernelIfiEEvNS0_13ReductionTypeEPT_PKS4_S7_S7_PKT0_SA_llS4_lllllll
    .private_segment_fixed_size: 0
    .sgpr_count:     46
    .sgpr_spill_count: 0
    .symbol:         _ZN2at6native12_GLOBAL__N_130segment_reduce_backward_kernelIfiEEvNS0_13ReductionTypeEPT_PKS4_S7_S7_PKT0_SA_llS4_lllllll.kd
    .uniform_work_group_size: 1
    .uses_dynamic_stack: false
    .vgpr_count:     32
    .vgpr_spill_count: 0
    .wavefront_size: 32
    .workgroup_processor_mode: 1
  - .args:
      - .offset:         0
        .size:           4
        .value_kind:     by_value
      - .address_space:  global
        .offset:         8
        .size:           8
        .value_kind:     global_buffer
      - .address_space:  global
        .offset:         16
        .size:           8
        .value_kind:     global_buffer
      - .address_space:  global
        .offset:         24
        .size:           8
        .value_kind:     global_buffer
      - .address_space:  global
        .offset:         32
        .size:           8
        .value_kind:     global_buffer
      - .address_space:  global
        .offset:         40
        .size:           8
        .value_kind:     global_buffer
      - .address_space:  global
        .offset:         48
        .size:           8
        .value_kind:     global_buffer
      - .offset:         56
        .size:           8
        .value_kind:     by_value
      - .offset:         64
        .size:           8
        .value_kind:     by_value
      - .offset:         72
        .size:           2
        .value_kind:     by_value
      - .offset:         80
        .size:           8
        .value_kind:     by_value
      - .offset:         88
        .size:           8
        .value_kind:     by_value
      - .offset:         96
        .size:           8
        .value_kind:     by_value
      - .offset:         104
        .size:           8
        .value_kind:     by_value
      - .offset:         112
        .size:           8
        .value_kind:     by_value
      - .offset:         120
        .size:           8
        .value_kind:     by_value
      - .offset:         128
        .size:           8
        .value_kind:     by_value
      - .offset:         136
        .size:           4
        .value_kind:     hidden_block_count_x
      - .offset:         140
        .size:           4
        .value_kind:     hidden_block_count_y
      - .offset:         144
        .size:           4
        .value_kind:     hidden_block_count_z
      - .offset:         148
        .size:           2
        .value_kind:     hidden_group_size_x
      - .offset:         150
        .size:           2
        .value_kind:     hidden_group_size_y
      - .offset:         152
        .size:           2
        .value_kind:     hidden_group_size_z
      - .offset:         154
        .size:           2
        .value_kind:     hidden_remainder_x
      - .offset:         156
        .size:           2
        .value_kind:     hidden_remainder_y
      - .offset:         158
        .size:           2
        .value_kind:     hidden_remainder_z
      - .offset:         176
        .size:           8
        .value_kind:     hidden_global_offset_x
      - .offset:         184
        .size:           8
        .value_kind:     hidden_global_offset_y
      - .offset:         192
        .size:           8
        .value_kind:     hidden_global_offset_z
      - .offset:         200
        .size:           2
        .value_kind:     hidden_grid_dims
    .group_segment_fixed_size: 0
    .kernarg_segment_align: 8
    .kernarg_segment_size: 392
    .language:       OpenCL C
    .language_version:
      - 2
      - 0
    .max_flat_workgroup_size: 1024
    .name:           _ZN2at6native12_GLOBAL__N_130segment_reduce_backward_kernelIN3c108BFloat16EiEEvNS0_13ReductionTypeEPT_PKS6_S9_S9_PKT0_SC_llS6_lllllll
    .private_segment_fixed_size: 0
    .sgpr_count:     46
    .sgpr_spill_count: 0
    .symbol:         _ZN2at6native12_GLOBAL__N_130segment_reduce_backward_kernelIN3c108BFloat16EiEEvNS0_13ReductionTypeEPT_PKS6_S9_S9_PKT0_SC_llS6_lllllll.kd
    .uniform_work_group_size: 1
    .uses_dynamic_stack: false
    .vgpr_count:     34
    .vgpr_spill_count: 0
    .wavefront_size: 32
    .workgroup_processor_mode: 1
  - .args:
      - .offset:         0
        .size:           4
        .value_kind:     by_value
      - .address_space:  global
        .offset:         8
        .size:           8
        .value_kind:     global_buffer
      - .address_space:  global
        .offset:         16
        .size:           8
        .value_kind:     global_buffer
      - .address_space:  global
        .offset:         24
        .size:           8
        .value_kind:     global_buffer
      - .address_space:  global
        .offset:         32
        .size:           8
        .value_kind:     global_buffer
      - .address_space:  global
        .offset:         40
        .size:           8
        .value_kind:     global_buffer
      - .address_space:  global
        .offset:         48
        .size:           8
        .value_kind:     global_buffer
      - .offset:         56
        .size:           8
        .value_kind:     by_value
      - .offset:         64
        .size:           8
        .value_kind:     by_value
      - .offset:         72
        .size:           2
        .value_kind:     by_value
      - .offset:         80
        .size:           8
        .value_kind:     by_value
      - .offset:         88
        .size:           8
        .value_kind:     by_value
      - .offset:         96
        .size:           8
        .value_kind:     by_value
      - .offset:         104
        .size:           8
        .value_kind:     by_value
      - .offset:         112
        .size:           8
        .value_kind:     by_value
      - .offset:         120
        .size:           8
        .value_kind:     by_value
      - .offset:         128
        .size:           8
        .value_kind:     by_value
      - .offset:         136
        .size:           4
        .value_kind:     hidden_block_count_x
      - .offset:         140
        .size:           4
        .value_kind:     hidden_block_count_y
      - .offset:         144
        .size:           4
        .value_kind:     hidden_block_count_z
      - .offset:         148
        .size:           2
        .value_kind:     hidden_group_size_x
      - .offset:         150
        .size:           2
        .value_kind:     hidden_group_size_y
      - .offset:         152
        .size:           2
        .value_kind:     hidden_group_size_z
      - .offset:         154
        .size:           2
        .value_kind:     hidden_remainder_x
      - .offset:         156
        .size:           2
        .value_kind:     hidden_remainder_y
      - .offset:         158
        .size:           2
        .value_kind:     hidden_remainder_z
      - .offset:         176
        .size:           8
        .value_kind:     hidden_global_offset_x
      - .offset:         184
        .size:           8
        .value_kind:     hidden_global_offset_y
      - .offset:         192
        .size:           8
        .value_kind:     hidden_global_offset_z
      - .offset:         200
        .size:           2
        .value_kind:     hidden_grid_dims
    .group_segment_fixed_size: 0
    .kernarg_segment_align: 8
    .kernarg_segment_size: 392
    .language:       OpenCL C
    .language_version:
      - 2
      - 0
    .max_flat_workgroup_size: 1024
    .name:           _ZN2at6native12_GLOBAL__N_130segment_reduce_backward_kernelIN3c104HalfEiEEvNS0_13ReductionTypeEPT_PKS6_S9_S9_PKT0_SC_llS6_lllllll
    .private_segment_fixed_size: 0
    .sgpr_count:     46
    .sgpr_spill_count: 0
    .symbol:         _ZN2at6native12_GLOBAL__N_130segment_reduce_backward_kernelIN3c104HalfEiEEvNS0_13ReductionTypeEPT_PKS6_S9_S9_PKT0_SC_llS6_lllllll.kd
    .uniform_work_group_size: 1
    .uses_dynamic_stack: false
    .vgpr_count:     35
    .vgpr_spill_count: 0
    .wavefront_size: 32
    .workgroup_processor_mode: 1
  - .args:
      - .offset:         0
        .size:           4
        .value_kind:     by_value
      - .address_space:  global
        .offset:         8
        .size:           8
        .value_kind:     global_buffer
      - .address_space:  global
        .offset:         16
        .size:           8
        .value_kind:     global_buffer
      - .address_space:  global
        .offset:         24
        .size:           8
        .value_kind:     global_buffer
      - .address_space:  global
        .offset:         32
        .size:           8
        .value_kind:     global_buffer
      - .address_space:  global
        .offset:         40
        .size:           8
        .value_kind:     global_buffer
      - .address_space:  global
        .offset:         48
        .size:           8
        .value_kind:     global_buffer
      - .offset:         56
        .size:           8
        .value_kind:     by_value
      - .offset:         64
        .size:           8
        .value_kind:     by_value
      - .offset:         72
        .size:           8
        .value_kind:     by_value
      - .offset:         80
        .size:           8
        .value_kind:     by_value
      - .offset:         88
        .size:           8
        .value_kind:     by_value
      - .offset:         96
        .size:           8
        .value_kind:     by_value
      - .offset:         104
        .size:           8
        .value_kind:     by_value
      - .offset:         112
        .size:           8
        .value_kind:     by_value
      - .offset:         120
        .size:           8
        .value_kind:     by_value
      - .offset:         128
        .size:           8
        .value_kind:     by_value
      - .offset:         136
        .size:           4
        .value_kind:     hidden_block_count_x
      - .offset:         140
        .size:           4
        .value_kind:     hidden_block_count_y
      - .offset:         144
        .size:           4
        .value_kind:     hidden_block_count_z
      - .offset:         148
        .size:           2
        .value_kind:     hidden_group_size_x
      - .offset:         150
        .size:           2
        .value_kind:     hidden_group_size_y
      - .offset:         152
        .size:           2
        .value_kind:     hidden_group_size_z
      - .offset:         154
        .size:           2
        .value_kind:     hidden_remainder_x
      - .offset:         156
        .size:           2
        .value_kind:     hidden_remainder_y
      - .offset:         158
        .size:           2
        .value_kind:     hidden_remainder_z
      - .offset:         176
        .size:           8
        .value_kind:     hidden_global_offset_x
      - .offset:         184
        .size:           8
        .value_kind:     hidden_global_offset_y
      - .offset:         192
        .size:           8
        .value_kind:     hidden_global_offset_z
      - .offset:         200
        .size:           2
        .value_kind:     hidden_grid_dims
    .group_segment_fixed_size: 0
    .kernarg_segment_align: 8
    .kernarg_segment_size: 392
    .language:       OpenCL C
    .language_version:
      - 2
      - 0
    .max_flat_workgroup_size: 1024
    .name:           _ZN2at6native12_GLOBAL__N_130segment_reduce_backward_kernelIdlEEvNS0_13ReductionTypeEPT_PKS4_S7_S7_PKT0_SA_llS4_lllllll
    .private_segment_fixed_size: 0
    .sgpr_count:     54
    .sgpr_spill_count: 0
    .symbol:         _ZN2at6native12_GLOBAL__N_130segment_reduce_backward_kernelIdlEEvNS0_13ReductionTypeEPT_PKS4_S7_S7_PKT0_SA_llS4_lllllll.kd
    .uniform_work_group_size: 1
    .uses_dynamic_stack: false
    .vgpr_count:     36
    .vgpr_spill_count: 0
    .wavefront_size: 32
    .workgroup_processor_mode: 1
  - .args:
      - .offset:         0
        .size:           4
        .value_kind:     by_value
      - .address_space:  global
        .offset:         8
        .size:           8
        .value_kind:     global_buffer
      - .address_space:  global
        .offset:         16
        .size:           8
        .value_kind:     global_buffer
      - .address_space:  global
        .offset:         24
        .size:           8
        .value_kind:     global_buffer
      - .address_space:  global
        .offset:         32
        .size:           8
        .value_kind:     global_buffer
      - .address_space:  global
        .offset:         40
        .size:           8
        .value_kind:     global_buffer
      - .address_space:  global
        .offset:         48
        .size:           8
        .value_kind:     global_buffer
      - .offset:         56
        .size:           8
        .value_kind:     by_value
      - .offset:         64
        .size:           8
        .value_kind:     by_value
      - .offset:         72
        .size:           4
        .value_kind:     by_value
      - .offset:         80
        .size:           8
        .value_kind:     by_value
      - .offset:         88
        .size:           8
        .value_kind:     by_value
      - .offset:         96
        .size:           8
        .value_kind:     by_value
      - .offset:         104
        .size:           8
        .value_kind:     by_value
      - .offset:         112
        .size:           8
        .value_kind:     by_value
      - .offset:         120
        .size:           8
        .value_kind:     by_value
      - .offset:         128
        .size:           8
        .value_kind:     by_value
      - .offset:         136
        .size:           4
        .value_kind:     hidden_block_count_x
      - .offset:         140
        .size:           4
        .value_kind:     hidden_block_count_y
      - .offset:         144
        .size:           4
        .value_kind:     hidden_block_count_z
      - .offset:         148
        .size:           2
        .value_kind:     hidden_group_size_x
      - .offset:         150
        .size:           2
        .value_kind:     hidden_group_size_y
      - .offset:         152
        .size:           2
        .value_kind:     hidden_group_size_z
      - .offset:         154
        .size:           2
        .value_kind:     hidden_remainder_x
      - .offset:         156
        .size:           2
        .value_kind:     hidden_remainder_y
      - .offset:         158
        .size:           2
        .value_kind:     hidden_remainder_z
      - .offset:         176
        .size:           8
        .value_kind:     hidden_global_offset_x
      - .offset:         184
        .size:           8
        .value_kind:     hidden_global_offset_y
      - .offset:         192
        .size:           8
        .value_kind:     hidden_global_offset_z
      - .offset:         200
        .size:           2
        .value_kind:     hidden_grid_dims
    .group_segment_fixed_size: 0
    .kernarg_segment_align: 8
    .kernarg_segment_size: 392
    .language:       OpenCL C
    .language_version:
      - 2
      - 0
    .max_flat_workgroup_size: 1024
    .name:           _ZN2at6native12_GLOBAL__N_130segment_reduce_backward_kernelIflEEvNS0_13ReductionTypeEPT_PKS4_S7_S7_PKT0_SA_llS4_lllllll
    .private_segment_fixed_size: 0
    .sgpr_count:     46
    .sgpr_spill_count: 0
    .symbol:         _ZN2at6native12_GLOBAL__N_130segment_reduce_backward_kernelIflEEvNS0_13ReductionTypeEPT_PKS4_S7_S7_PKT0_SA_llS4_lllllll.kd
    .uniform_work_group_size: 1
    .uses_dynamic_stack: false
    .vgpr_count:     31
    .vgpr_spill_count: 0
    .wavefront_size: 32
    .workgroup_processor_mode: 1
  - .args:
      - .offset:         0
        .size:           4
        .value_kind:     by_value
      - .address_space:  global
        .offset:         8
        .size:           8
        .value_kind:     global_buffer
      - .address_space:  global
        .offset:         16
        .size:           8
        .value_kind:     global_buffer
      - .address_space:  global
        .offset:         24
        .size:           8
        .value_kind:     global_buffer
      - .address_space:  global
        .offset:         32
        .size:           8
        .value_kind:     global_buffer
      - .address_space:  global
        .offset:         40
        .size:           8
        .value_kind:     global_buffer
      - .address_space:  global
        .offset:         48
        .size:           8
        .value_kind:     global_buffer
      - .offset:         56
        .size:           8
        .value_kind:     by_value
      - .offset:         64
        .size:           8
        .value_kind:     by_value
      - .offset:         72
        .size:           2
        .value_kind:     by_value
      - .offset:         80
        .size:           8
        .value_kind:     by_value
      - .offset:         88
        .size:           8
        .value_kind:     by_value
      - .offset:         96
        .size:           8
        .value_kind:     by_value
      - .offset:         104
        .size:           8
        .value_kind:     by_value
      - .offset:         112
        .size:           8
        .value_kind:     by_value
      - .offset:         120
        .size:           8
        .value_kind:     by_value
      - .offset:         128
        .size:           8
        .value_kind:     by_value
      - .offset:         136
        .size:           4
        .value_kind:     hidden_block_count_x
      - .offset:         140
        .size:           4
        .value_kind:     hidden_block_count_y
      - .offset:         144
        .size:           4
        .value_kind:     hidden_block_count_z
      - .offset:         148
        .size:           2
        .value_kind:     hidden_group_size_x
      - .offset:         150
        .size:           2
        .value_kind:     hidden_group_size_y
      - .offset:         152
        .size:           2
        .value_kind:     hidden_group_size_z
      - .offset:         154
        .size:           2
        .value_kind:     hidden_remainder_x
      - .offset:         156
        .size:           2
        .value_kind:     hidden_remainder_y
      - .offset:         158
        .size:           2
        .value_kind:     hidden_remainder_z
      - .offset:         176
        .size:           8
        .value_kind:     hidden_global_offset_x
      - .offset:         184
        .size:           8
        .value_kind:     hidden_global_offset_y
      - .offset:         192
        .size:           8
        .value_kind:     hidden_global_offset_z
      - .offset:         200
        .size:           2
        .value_kind:     hidden_grid_dims
    .group_segment_fixed_size: 0
    .kernarg_segment_align: 8
    .kernarg_segment_size: 392
    .language:       OpenCL C
    .language_version:
      - 2
      - 0
    .max_flat_workgroup_size: 1024
    .name:           _ZN2at6native12_GLOBAL__N_130segment_reduce_backward_kernelIN3c108BFloat16ElEEvNS0_13ReductionTypeEPT_PKS6_S9_S9_PKT0_SC_llS6_lllllll
    .private_segment_fixed_size: 0
    .sgpr_count:     46
    .sgpr_spill_count: 0
    .symbol:         _ZN2at6native12_GLOBAL__N_130segment_reduce_backward_kernelIN3c108BFloat16ElEEvNS0_13ReductionTypeEPT_PKS6_S9_S9_PKT0_SC_llS6_lllllll.kd
    .uniform_work_group_size: 1
    .uses_dynamic_stack: false
    .vgpr_count:     33
    .vgpr_spill_count: 0
    .wavefront_size: 32
    .workgroup_processor_mode: 1
  - .args:
      - .offset:         0
        .size:           4
        .value_kind:     by_value
      - .address_space:  global
        .offset:         8
        .size:           8
        .value_kind:     global_buffer
      - .address_space:  global
        .offset:         16
        .size:           8
        .value_kind:     global_buffer
      - .address_space:  global
        .offset:         24
        .size:           8
        .value_kind:     global_buffer
      - .address_space:  global
        .offset:         32
        .size:           8
        .value_kind:     global_buffer
      - .address_space:  global
        .offset:         40
        .size:           8
        .value_kind:     global_buffer
      - .address_space:  global
        .offset:         48
        .size:           8
        .value_kind:     global_buffer
      - .offset:         56
        .size:           8
        .value_kind:     by_value
      - .offset:         64
        .size:           8
        .value_kind:     by_value
      - .offset:         72
        .size:           2
        .value_kind:     by_value
      - .offset:         80
        .size:           8
        .value_kind:     by_value
      - .offset:         88
        .size:           8
        .value_kind:     by_value
      - .offset:         96
        .size:           8
        .value_kind:     by_value
      - .offset:         104
        .size:           8
        .value_kind:     by_value
      - .offset:         112
        .size:           8
        .value_kind:     by_value
      - .offset:         120
        .size:           8
        .value_kind:     by_value
      - .offset:         128
        .size:           8
        .value_kind:     by_value
      - .offset:         136
        .size:           4
        .value_kind:     hidden_block_count_x
      - .offset:         140
        .size:           4
        .value_kind:     hidden_block_count_y
      - .offset:         144
        .size:           4
        .value_kind:     hidden_block_count_z
      - .offset:         148
        .size:           2
        .value_kind:     hidden_group_size_x
      - .offset:         150
        .size:           2
        .value_kind:     hidden_group_size_y
      - .offset:         152
        .size:           2
        .value_kind:     hidden_group_size_z
      - .offset:         154
        .size:           2
        .value_kind:     hidden_remainder_x
      - .offset:         156
        .size:           2
        .value_kind:     hidden_remainder_y
      - .offset:         158
        .size:           2
        .value_kind:     hidden_remainder_z
      - .offset:         176
        .size:           8
        .value_kind:     hidden_global_offset_x
      - .offset:         184
        .size:           8
        .value_kind:     hidden_global_offset_y
      - .offset:         192
        .size:           8
        .value_kind:     hidden_global_offset_z
      - .offset:         200
        .size:           2
        .value_kind:     hidden_grid_dims
    .group_segment_fixed_size: 0
    .kernarg_segment_align: 8
    .kernarg_segment_size: 392
    .language:       OpenCL C
    .language_version:
      - 2
      - 0
    .max_flat_workgroup_size: 1024
    .name:           _ZN2at6native12_GLOBAL__N_130segment_reduce_backward_kernelIN3c104HalfElEEvNS0_13ReductionTypeEPT_PKS6_S9_S9_PKT0_SC_llS6_lllllll
    .private_segment_fixed_size: 0
    .sgpr_count:     46
    .sgpr_spill_count: 0
    .symbol:         _ZN2at6native12_GLOBAL__N_130segment_reduce_backward_kernelIN3c104HalfElEEvNS0_13ReductionTypeEPT_PKS6_S9_S9_PKT0_SC_llS6_lllllll.kd
    .uniform_work_group_size: 1
    .uses_dynamic_stack: false
    .vgpr_count:     34
    .vgpr_spill_count: 0
    .wavefront_size: 32
    .workgroup_processor_mode: 1
  - .args:
      - .offset:         0
        .size:           4
        .value_kind:     by_value
      - .address_space:  global
        .offset:         8
        .size:           8
        .value_kind:     global_buffer
      - .address_space:  global
        .offset:         16
        .size:           8
        .value_kind:     global_buffer
      - .address_space:  global
        .offset:         24
        .size:           8
        .value_kind:     global_buffer
      - .address_space:  global
        .offset:         32
        .size:           8
        .value_kind:     global_buffer
      - .offset:         40
        .size:           8
        .value_kind:     by_value
      - .offset:         48
        .size:           8
        .value_kind:     by_value
      - .offset:         56
        .size:           1
        .value_kind:     by_value
      - .offset:         64
        .size:           8
        .value_kind:     by_value
      - .offset:         72
        .size:           8
        .value_kind:     by_value
      - .offset:         80
        .size:           8
        .value_kind:     by_value
      - .offset:         88
        .size:           8
        .value_kind:     by_value
      - .offset:         96
        .size:           8
        .value_kind:     by_value
      - .offset:         104
        .size:           8
        .value_kind:     by_value
      - .offset:         112
        .size:           8
        .value_kind:     by_value
      - .offset:         120
        .size:           8
        .value_kind:     by_value
      - .offset:         128
        .size:           4
        .value_kind:     hidden_block_count_x
      - .offset:         132
        .size:           4
        .value_kind:     hidden_block_count_y
      - .offset:         136
        .size:           4
        .value_kind:     hidden_block_count_z
      - .offset:         140
        .size:           2
        .value_kind:     hidden_group_size_x
      - .offset:         142
        .size:           2
        .value_kind:     hidden_group_size_y
      - .offset:         144
        .size:           2
        .value_kind:     hidden_group_size_z
      - .offset:         146
        .size:           2
        .value_kind:     hidden_remainder_x
      - .offset:         148
        .size:           2
        .value_kind:     hidden_remainder_y
      - .offset:         150
        .size:           2
        .value_kind:     hidden_remainder_z
      - .offset:         168
        .size:           8
        .value_kind:     hidden_global_offset_x
      - .offset:         176
        .size:           8
        .value_kind:     hidden_global_offset_y
      - .offset:         184
        .size:           8
        .value_kind:     hidden_global_offset_z
      - .offset:         192
        .size:           2
        .value_kind:     hidden_grid_dims
    .group_segment_fixed_size: 0
    .kernarg_segment_align: 8
    .kernarg_segment_size: 384
    .language:       OpenCL C
    .language_version:
      - 2
      - 0
    .max_flat_workgroup_size: 1024
    .name:           _ZN2at6native12_GLOBAL__N_129segment_reduce_forward_kernelIdiEEvNS0_13ReductionTypeEPT_PKS4_PKT0_SA_llbS4_lllllll
    .private_segment_fixed_size: 0
    .sgpr_count:     42
    .sgpr_spill_count: 0
    .symbol:         _ZN2at6native12_GLOBAL__N_129segment_reduce_forward_kernelIdiEEvNS0_13ReductionTypeEPT_PKS4_PKT0_SA_llbS4_lllllll.kd
    .uniform_work_group_size: 1
    .uses_dynamic_stack: false
    .vgpr_count:     23
    .vgpr_spill_count: 0
    .wavefront_size: 32
    .workgroup_processor_mode: 1
  - .args:
      - .offset:         0
        .size:           56
        .value_kind:     by_value
    .group_segment_fixed_size: 0
    .kernarg_segment_align: 8
    .kernarg_segment_size: 56
    .language:       OpenCL C
    .language_version:
      - 2
      - 0
    .max_flat_workgroup_size: 256
    .name:           _ZN7rocprim17ROCPRIM_400000_NS6detail17trampoline_kernelINS0_14default_configENS1_32segmented_reduce_config_selectorIdEEZNS1_21segmented_reduce_implIS3_PKdPdPKidN6hipcub16HIPCUB_304000_NS6detail27convert_result_type_wrapperIS8_S9_N2at6native12_GLOBAL__N_19CustomMaxEEEEE10hipError_tPvRmT0_T1_jT2_SQ_T4_T3_P12ihipStream_tbEUlT_E_NS1_11comp_targetILNS1_3genE0ELNS1_11target_archE4294967295ELNS1_3gpuE0ELNS1_3repE0EEENS1_30default_config_static_selectorELNS0_4arch9wavefront6targetE0EEEvSP_
    .private_segment_fixed_size: 0
    .sgpr_count:     0
    .sgpr_spill_count: 0
    .symbol:         _ZN7rocprim17ROCPRIM_400000_NS6detail17trampoline_kernelINS0_14default_configENS1_32segmented_reduce_config_selectorIdEEZNS1_21segmented_reduce_implIS3_PKdPdPKidN6hipcub16HIPCUB_304000_NS6detail27convert_result_type_wrapperIS8_S9_N2at6native12_GLOBAL__N_19CustomMaxEEEEE10hipError_tPvRmT0_T1_jT2_SQ_T4_T3_P12ihipStream_tbEUlT_E_NS1_11comp_targetILNS1_3genE0ELNS1_11target_archE4294967295ELNS1_3gpuE0ELNS1_3repE0EEENS1_30default_config_static_selectorELNS0_4arch9wavefront6targetE0EEEvSP_.kd
    .uniform_work_group_size: 1
    .uses_dynamic_stack: false
    .vgpr_count:     0
    .vgpr_spill_count: 0
    .wavefront_size: 32
    .workgroup_processor_mode: 1
  - .args:
      - .offset:         0
        .size:           56
        .value_kind:     by_value
    .group_segment_fixed_size: 0
    .kernarg_segment_align: 8
    .kernarg_segment_size: 56
    .language:       OpenCL C
    .language_version:
      - 2
      - 0
    .max_flat_workgroup_size: 256
    .name:           _ZN7rocprim17ROCPRIM_400000_NS6detail17trampoline_kernelINS0_14default_configENS1_32segmented_reduce_config_selectorIdEEZNS1_21segmented_reduce_implIS3_PKdPdPKidN6hipcub16HIPCUB_304000_NS6detail27convert_result_type_wrapperIS8_S9_N2at6native12_GLOBAL__N_19CustomMaxEEEEE10hipError_tPvRmT0_T1_jT2_SQ_T4_T3_P12ihipStream_tbEUlT_E_NS1_11comp_targetILNS1_3genE5ELNS1_11target_archE942ELNS1_3gpuE9ELNS1_3repE0EEENS1_30default_config_static_selectorELNS0_4arch9wavefront6targetE0EEEvSP_
    .private_segment_fixed_size: 0
    .sgpr_count:     0
    .sgpr_spill_count: 0
    .symbol:         _ZN7rocprim17ROCPRIM_400000_NS6detail17trampoline_kernelINS0_14default_configENS1_32segmented_reduce_config_selectorIdEEZNS1_21segmented_reduce_implIS3_PKdPdPKidN6hipcub16HIPCUB_304000_NS6detail27convert_result_type_wrapperIS8_S9_N2at6native12_GLOBAL__N_19CustomMaxEEEEE10hipError_tPvRmT0_T1_jT2_SQ_T4_T3_P12ihipStream_tbEUlT_E_NS1_11comp_targetILNS1_3genE5ELNS1_11target_archE942ELNS1_3gpuE9ELNS1_3repE0EEENS1_30default_config_static_selectorELNS0_4arch9wavefront6targetE0EEEvSP_.kd
    .uniform_work_group_size: 1
    .uses_dynamic_stack: false
    .vgpr_count:     0
    .vgpr_spill_count: 0
    .wavefront_size: 32
    .workgroup_processor_mode: 1
  - .args:
      - .offset:         0
        .size:           56
        .value_kind:     by_value
    .group_segment_fixed_size: 0
    .kernarg_segment_align: 8
    .kernarg_segment_size: 56
    .language:       OpenCL C
    .language_version:
      - 2
      - 0
    .max_flat_workgroup_size: 256
    .name:           _ZN7rocprim17ROCPRIM_400000_NS6detail17trampoline_kernelINS0_14default_configENS1_32segmented_reduce_config_selectorIdEEZNS1_21segmented_reduce_implIS3_PKdPdPKidN6hipcub16HIPCUB_304000_NS6detail27convert_result_type_wrapperIS8_S9_N2at6native12_GLOBAL__N_19CustomMaxEEEEE10hipError_tPvRmT0_T1_jT2_SQ_T4_T3_P12ihipStream_tbEUlT_E_NS1_11comp_targetILNS1_3genE10ELNS1_11target_archE1201ELNS1_3gpuE5ELNS1_3repE0EEENS1_30default_config_static_selectorELNS0_4arch9wavefront6targetE0EEEvSP_
    .private_segment_fixed_size: 0
    .sgpr_count:     0
    .sgpr_spill_count: 0
    .symbol:         _ZN7rocprim17ROCPRIM_400000_NS6detail17trampoline_kernelINS0_14default_configENS1_32segmented_reduce_config_selectorIdEEZNS1_21segmented_reduce_implIS3_PKdPdPKidN6hipcub16HIPCUB_304000_NS6detail27convert_result_type_wrapperIS8_S9_N2at6native12_GLOBAL__N_19CustomMaxEEEEE10hipError_tPvRmT0_T1_jT2_SQ_T4_T3_P12ihipStream_tbEUlT_E_NS1_11comp_targetILNS1_3genE10ELNS1_11target_archE1201ELNS1_3gpuE5ELNS1_3repE0EEENS1_30default_config_static_selectorELNS0_4arch9wavefront6targetE0EEEvSP_.kd
    .uniform_work_group_size: 1
    .uses_dynamic_stack: false
    .vgpr_count:     0
    .vgpr_spill_count: 0
    .wavefront_size: 32
    .workgroup_processor_mode: 1
  - .args:
      - .offset:         0
        .size:           56
        .value_kind:     by_value
    .group_segment_fixed_size: 0
    .kernarg_segment_align: 8
    .kernarg_segment_size: 56
    .language:       OpenCL C
    .language_version:
      - 2
      - 0
    .max_flat_workgroup_size: 256
    .name:           _ZN7rocprim17ROCPRIM_400000_NS6detail17trampoline_kernelINS0_14default_configENS1_32segmented_reduce_config_selectorIdEEZNS1_21segmented_reduce_implIS3_PKdPdPKidN6hipcub16HIPCUB_304000_NS6detail27convert_result_type_wrapperIS8_S9_N2at6native12_GLOBAL__N_19CustomMaxEEEEE10hipError_tPvRmT0_T1_jT2_SQ_T4_T3_P12ihipStream_tbEUlT_E_NS1_11comp_targetILNS1_3genE4ELNS1_11target_archE910ELNS1_3gpuE8ELNS1_3repE0EEENS1_30default_config_static_selectorELNS0_4arch9wavefront6targetE0EEEvSP_
    .private_segment_fixed_size: 0
    .sgpr_count:     0
    .sgpr_spill_count: 0
    .symbol:         _ZN7rocprim17ROCPRIM_400000_NS6detail17trampoline_kernelINS0_14default_configENS1_32segmented_reduce_config_selectorIdEEZNS1_21segmented_reduce_implIS3_PKdPdPKidN6hipcub16HIPCUB_304000_NS6detail27convert_result_type_wrapperIS8_S9_N2at6native12_GLOBAL__N_19CustomMaxEEEEE10hipError_tPvRmT0_T1_jT2_SQ_T4_T3_P12ihipStream_tbEUlT_E_NS1_11comp_targetILNS1_3genE4ELNS1_11target_archE910ELNS1_3gpuE8ELNS1_3repE0EEENS1_30default_config_static_selectorELNS0_4arch9wavefront6targetE0EEEvSP_.kd
    .uniform_work_group_size: 1
    .uses_dynamic_stack: false
    .vgpr_count:     0
    .vgpr_spill_count: 0
    .wavefront_size: 32
    .workgroup_processor_mode: 1
  - .args:
      - .offset:         0
        .size:           56
        .value_kind:     by_value
    .group_segment_fixed_size: 0
    .kernarg_segment_align: 8
    .kernarg_segment_size: 56
    .language:       OpenCL C
    .language_version:
      - 2
      - 0
    .max_flat_workgroup_size: 256
    .name:           _ZN7rocprim17ROCPRIM_400000_NS6detail17trampoline_kernelINS0_14default_configENS1_32segmented_reduce_config_selectorIdEEZNS1_21segmented_reduce_implIS3_PKdPdPKidN6hipcub16HIPCUB_304000_NS6detail27convert_result_type_wrapperIS8_S9_N2at6native12_GLOBAL__N_19CustomMaxEEEEE10hipError_tPvRmT0_T1_jT2_SQ_T4_T3_P12ihipStream_tbEUlT_E_NS1_11comp_targetILNS1_3genE3ELNS1_11target_archE908ELNS1_3gpuE7ELNS1_3repE0EEENS1_30default_config_static_selectorELNS0_4arch9wavefront6targetE0EEEvSP_
    .private_segment_fixed_size: 0
    .sgpr_count:     0
    .sgpr_spill_count: 0
    .symbol:         _ZN7rocprim17ROCPRIM_400000_NS6detail17trampoline_kernelINS0_14default_configENS1_32segmented_reduce_config_selectorIdEEZNS1_21segmented_reduce_implIS3_PKdPdPKidN6hipcub16HIPCUB_304000_NS6detail27convert_result_type_wrapperIS8_S9_N2at6native12_GLOBAL__N_19CustomMaxEEEEE10hipError_tPvRmT0_T1_jT2_SQ_T4_T3_P12ihipStream_tbEUlT_E_NS1_11comp_targetILNS1_3genE3ELNS1_11target_archE908ELNS1_3gpuE7ELNS1_3repE0EEENS1_30default_config_static_selectorELNS0_4arch9wavefront6targetE0EEEvSP_.kd
    .uniform_work_group_size: 1
    .uses_dynamic_stack: false
    .vgpr_count:     0
    .vgpr_spill_count: 0
    .wavefront_size: 32
    .workgroup_processor_mode: 1
  - .args:
      - .offset:         0
        .size:           56
        .value_kind:     by_value
    .group_segment_fixed_size: 0
    .kernarg_segment_align: 8
    .kernarg_segment_size: 56
    .language:       OpenCL C
    .language_version:
      - 2
      - 0
    .max_flat_workgroup_size: 256
    .name:           _ZN7rocprim17ROCPRIM_400000_NS6detail17trampoline_kernelINS0_14default_configENS1_32segmented_reduce_config_selectorIdEEZNS1_21segmented_reduce_implIS3_PKdPdPKidN6hipcub16HIPCUB_304000_NS6detail27convert_result_type_wrapperIS8_S9_N2at6native12_GLOBAL__N_19CustomMaxEEEEE10hipError_tPvRmT0_T1_jT2_SQ_T4_T3_P12ihipStream_tbEUlT_E_NS1_11comp_targetILNS1_3genE2ELNS1_11target_archE906ELNS1_3gpuE6ELNS1_3repE0EEENS1_30default_config_static_selectorELNS0_4arch9wavefront6targetE0EEEvSP_
    .private_segment_fixed_size: 0
    .sgpr_count:     0
    .sgpr_spill_count: 0
    .symbol:         _ZN7rocprim17ROCPRIM_400000_NS6detail17trampoline_kernelINS0_14default_configENS1_32segmented_reduce_config_selectorIdEEZNS1_21segmented_reduce_implIS3_PKdPdPKidN6hipcub16HIPCUB_304000_NS6detail27convert_result_type_wrapperIS8_S9_N2at6native12_GLOBAL__N_19CustomMaxEEEEE10hipError_tPvRmT0_T1_jT2_SQ_T4_T3_P12ihipStream_tbEUlT_E_NS1_11comp_targetILNS1_3genE2ELNS1_11target_archE906ELNS1_3gpuE6ELNS1_3repE0EEENS1_30default_config_static_selectorELNS0_4arch9wavefront6targetE0EEEvSP_.kd
    .uniform_work_group_size: 1
    .uses_dynamic_stack: false
    .vgpr_count:     0
    .vgpr_spill_count: 0
    .wavefront_size: 32
    .workgroup_processor_mode: 1
  - .args:
      - .offset:         0
        .size:           56
        .value_kind:     by_value
    .group_segment_fixed_size: 64
    .kernarg_segment_align: 8
    .kernarg_segment_size: 56
    .language:       OpenCL C
    .language_version:
      - 2
      - 0
    .max_flat_workgroup_size: 256
    .name:           _ZN7rocprim17ROCPRIM_400000_NS6detail17trampoline_kernelINS0_14default_configENS1_32segmented_reduce_config_selectorIdEEZNS1_21segmented_reduce_implIS3_PKdPdPKidN6hipcub16HIPCUB_304000_NS6detail27convert_result_type_wrapperIS8_S9_N2at6native12_GLOBAL__N_19CustomMaxEEEEE10hipError_tPvRmT0_T1_jT2_SQ_T4_T3_P12ihipStream_tbEUlT_E_NS1_11comp_targetILNS1_3genE9ELNS1_11target_archE1100ELNS1_3gpuE3ELNS1_3repE0EEENS1_30default_config_static_selectorELNS0_4arch9wavefront6targetE0EEEvSP_
    .private_segment_fixed_size: 0
    .sgpr_count:     20
    .sgpr_spill_count: 0
    .symbol:         _ZN7rocprim17ROCPRIM_400000_NS6detail17trampoline_kernelINS0_14default_configENS1_32segmented_reduce_config_selectorIdEEZNS1_21segmented_reduce_implIS3_PKdPdPKidN6hipcub16HIPCUB_304000_NS6detail27convert_result_type_wrapperIS8_S9_N2at6native12_GLOBAL__N_19CustomMaxEEEEE10hipError_tPvRmT0_T1_jT2_SQ_T4_T3_P12ihipStream_tbEUlT_E_NS1_11comp_targetILNS1_3genE9ELNS1_11target_archE1100ELNS1_3gpuE3ELNS1_3repE0EEENS1_30default_config_static_selectorELNS0_4arch9wavefront6targetE0EEEvSP_.kd
    .uniform_work_group_size: 1
    .uses_dynamic_stack: false
    .vgpr_count:     50
    .vgpr_spill_count: 0
    .wavefront_size: 32
    .workgroup_processor_mode: 1
  - .args:
      - .offset:         0
        .size:           56
        .value_kind:     by_value
    .group_segment_fixed_size: 0
    .kernarg_segment_align: 8
    .kernarg_segment_size: 56
    .language:       OpenCL C
    .language_version:
      - 2
      - 0
    .max_flat_workgroup_size: 256
    .name:           _ZN7rocprim17ROCPRIM_400000_NS6detail17trampoline_kernelINS0_14default_configENS1_32segmented_reduce_config_selectorIdEEZNS1_21segmented_reduce_implIS3_PKdPdPKidN6hipcub16HIPCUB_304000_NS6detail27convert_result_type_wrapperIS8_S9_N2at6native12_GLOBAL__N_19CustomMaxEEEEE10hipError_tPvRmT0_T1_jT2_SQ_T4_T3_P12ihipStream_tbEUlT_E_NS1_11comp_targetILNS1_3genE8ELNS1_11target_archE1030ELNS1_3gpuE2ELNS1_3repE0EEENS1_30default_config_static_selectorELNS0_4arch9wavefront6targetE0EEEvSP_
    .private_segment_fixed_size: 0
    .sgpr_count:     0
    .sgpr_spill_count: 0
    .symbol:         _ZN7rocprim17ROCPRIM_400000_NS6detail17trampoline_kernelINS0_14default_configENS1_32segmented_reduce_config_selectorIdEEZNS1_21segmented_reduce_implIS3_PKdPdPKidN6hipcub16HIPCUB_304000_NS6detail27convert_result_type_wrapperIS8_S9_N2at6native12_GLOBAL__N_19CustomMaxEEEEE10hipError_tPvRmT0_T1_jT2_SQ_T4_T3_P12ihipStream_tbEUlT_E_NS1_11comp_targetILNS1_3genE8ELNS1_11target_archE1030ELNS1_3gpuE2ELNS1_3repE0EEENS1_30default_config_static_selectorELNS0_4arch9wavefront6targetE0EEEvSP_.kd
    .uniform_work_group_size: 1
    .uses_dynamic_stack: false
    .vgpr_count:     0
    .vgpr_spill_count: 0
    .wavefront_size: 32
    .workgroup_processor_mode: 1
  - .args:
      - .offset:         0
        .size:           56
        .value_kind:     by_value
    .group_segment_fixed_size: 0
    .kernarg_segment_align: 8
    .kernarg_segment_size: 56
    .language:       OpenCL C
    .language_version:
      - 2
      - 0
    .max_flat_workgroup_size: 256
    .name:           _ZN7rocprim17ROCPRIM_400000_NS6detail17trampoline_kernelINS0_14default_configENS1_32segmented_reduce_config_selectorIdEEZNS1_21segmented_reduce_implIS3_PKdPdPKidN6hipcub16HIPCUB_304000_NS6detail27convert_result_type_wrapperIS8_S9_N2at6native12_GLOBAL__N_19CustomSumEEEEE10hipError_tPvRmT0_T1_jT2_SQ_T4_T3_P12ihipStream_tbEUlT_E_NS1_11comp_targetILNS1_3genE0ELNS1_11target_archE4294967295ELNS1_3gpuE0ELNS1_3repE0EEENS1_30default_config_static_selectorELNS0_4arch9wavefront6targetE0EEEvSP_
    .private_segment_fixed_size: 0
    .sgpr_count:     0
    .sgpr_spill_count: 0
    .symbol:         _ZN7rocprim17ROCPRIM_400000_NS6detail17trampoline_kernelINS0_14default_configENS1_32segmented_reduce_config_selectorIdEEZNS1_21segmented_reduce_implIS3_PKdPdPKidN6hipcub16HIPCUB_304000_NS6detail27convert_result_type_wrapperIS8_S9_N2at6native12_GLOBAL__N_19CustomSumEEEEE10hipError_tPvRmT0_T1_jT2_SQ_T4_T3_P12ihipStream_tbEUlT_E_NS1_11comp_targetILNS1_3genE0ELNS1_11target_archE4294967295ELNS1_3gpuE0ELNS1_3repE0EEENS1_30default_config_static_selectorELNS0_4arch9wavefront6targetE0EEEvSP_.kd
    .uniform_work_group_size: 1
    .uses_dynamic_stack: false
    .vgpr_count:     0
    .vgpr_spill_count: 0
    .wavefront_size: 32
    .workgroup_processor_mode: 1
  - .args:
      - .offset:         0
        .size:           56
        .value_kind:     by_value
    .group_segment_fixed_size: 0
    .kernarg_segment_align: 8
    .kernarg_segment_size: 56
    .language:       OpenCL C
    .language_version:
      - 2
      - 0
    .max_flat_workgroup_size: 256
    .name:           _ZN7rocprim17ROCPRIM_400000_NS6detail17trampoline_kernelINS0_14default_configENS1_32segmented_reduce_config_selectorIdEEZNS1_21segmented_reduce_implIS3_PKdPdPKidN6hipcub16HIPCUB_304000_NS6detail27convert_result_type_wrapperIS8_S9_N2at6native12_GLOBAL__N_19CustomSumEEEEE10hipError_tPvRmT0_T1_jT2_SQ_T4_T3_P12ihipStream_tbEUlT_E_NS1_11comp_targetILNS1_3genE5ELNS1_11target_archE942ELNS1_3gpuE9ELNS1_3repE0EEENS1_30default_config_static_selectorELNS0_4arch9wavefront6targetE0EEEvSP_
    .private_segment_fixed_size: 0
    .sgpr_count:     0
    .sgpr_spill_count: 0
    .symbol:         _ZN7rocprim17ROCPRIM_400000_NS6detail17trampoline_kernelINS0_14default_configENS1_32segmented_reduce_config_selectorIdEEZNS1_21segmented_reduce_implIS3_PKdPdPKidN6hipcub16HIPCUB_304000_NS6detail27convert_result_type_wrapperIS8_S9_N2at6native12_GLOBAL__N_19CustomSumEEEEE10hipError_tPvRmT0_T1_jT2_SQ_T4_T3_P12ihipStream_tbEUlT_E_NS1_11comp_targetILNS1_3genE5ELNS1_11target_archE942ELNS1_3gpuE9ELNS1_3repE0EEENS1_30default_config_static_selectorELNS0_4arch9wavefront6targetE0EEEvSP_.kd
    .uniform_work_group_size: 1
    .uses_dynamic_stack: false
    .vgpr_count:     0
    .vgpr_spill_count: 0
    .wavefront_size: 32
    .workgroup_processor_mode: 1
  - .args:
      - .offset:         0
        .size:           56
        .value_kind:     by_value
    .group_segment_fixed_size: 0
    .kernarg_segment_align: 8
    .kernarg_segment_size: 56
    .language:       OpenCL C
    .language_version:
      - 2
      - 0
    .max_flat_workgroup_size: 256
    .name:           _ZN7rocprim17ROCPRIM_400000_NS6detail17trampoline_kernelINS0_14default_configENS1_32segmented_reduce_config_selectorIdEEZNS1_21segmented_reduce_implIS3_PKdPdPKidN6hipcub16HIPCUB_304000_NS6detail27convert_result_type_wrapperIS8_S9_N2at6native12_GLOBAL__N_19CustomSumEEEEE10hipError_tPvRmT0_T1_jT2_SQ_T4_T3_P12ihipStream_tbEUlT_E_NS1_11comp_targetILNS1_3genE10ELNS1_11target_archE1201ELNS1_3gpuE5ELNS1_3repE0EEENS1_30default_config_static_selectorELNS0_4arch9wavefront6targetE0EEEvSP_
    .private_segment_fixed_size: 0
    .sgpr_count:     0
    .sgpr_spill_count: 0
    .symbol:         _ZN7rocprim17ROCPRIM_400000_NS6detail17trampoline_kernelINS0_14default_configENS1_32segmented_reduce_config_selectorIdEEZNS1_21segmented_reduce_implIS3_PKdPdPKidN6hipcub16HIPCUB_304000_NS6detail27convert_result_type_wrapperIS8_S9_N2at6native12_GLOBAL__N_19CustomSumEEEEE10hipError_tPvRmT0_T1_jT2_SQ_T4_T3_P12ihipStream_tbEUlT_E_NS1_11comp_targetILNS1_3genE10ELNS1_11target_archE1201ELNS1_3gpuE5ELNS1_3repE0EEENS1_30default_config_static_selectorELNS0_4arch9wavefront6targetE0EEEvSP_.kd
    .uniform_work_group_size: 1
    .uses_dynamic_stack: false
    .vgpr_count:     0
    .vgpr_spill_count: 0
    .wavefront_size: 32
    .workgroup_processor_mode: 1
  - .args:
      - .offset:         0
        .size:           56
        .value_kind:     by_value
    .group_segment_fixed_size: 0
    .kernarg_segment_align: 8
    .kernarg_segment_size: 56
    .language:       OpenCL C
    .language_version:
      - 2
      - 0
    .max_flat_workgroup_size: 256
    .name:           _ZN7rocprim17ROCPRIM_400000_NS6detail17trampoline_kernelINS0_14default_configENS1_32segmented_reduce_config_selectorIdEEZNS1_21segmented_reduce_implIS3_PKdPdPKidN6hipcub16HIPCUB_304000_NS6detail27convert_result_type_wrapperIS8_S9_N2at6native12_GLOBAL__N_19CustomSumEEEEE10hipError_tPvRmT0_T1_jT2_SQ_T4_T3_P12ihipStream_tbEUlT_E_NS1_11comp_targetILNS1_3genE4ELNS1_11target_archE910ELNS1_3gpuE8ELNS1_3repE0EEENS1_30default_config_static_selectorELNS0_4arch9wavefront6targetE0EEEvSP_
    .private_segment_fixed_size: 0
    .sgpr_count:     0
    .sgpr_spill_count: 0
    .symbol:         _ZN7rocprim17ROCPRIM_400000_NS6detail17trampoline_kernelINS0_14default_configENS1_32segmented_reduce_config_selectorIdEEZNS1_21segmented_reduce_implIS3_PKdPdPKidN6hipcub16HIPCUB_304000_NS6detail27convert_result_type_wrapperIS8_S9_N2at6native12_GLOBAL__N_19CustomSumEEEEE10hipError_tPvRmT0_T1_jT2_SQ_T4_T3_P12ihipStream_tbEUlT_E_NS1_11comp_targetILNS1_3genE4ELNS1_11target_archE910ELNS1_3gpuE8ELNS1_3repE0EEENS1_30default_config_static_selectorELNS0_4arch9wavefront6targetE0EEEvSP_.kd
    .uniform_work_group_size: 1
    .uses_dynamic_stack: false
    .vgpr_count:     0
    .vgpr_spill_count: 0
    .wavefront_size: 32
    .workgroup_processor_mode: 1
  - .args:
      - .offset:         0
        .size:           56
        .value_kind:     by_value
    .group_segment_fixed_size: 0
    .kernarg_segment_align: 8
    .kernarg_segment_size: 56
    .language:       OpenCL C
    .language_version:
      - 2
      - 0
    .max_flat_workgroup_size: 256
    .name:           _ZN7rocprim17ROCPRIM_400000_NS6detail17trampoline_kernelINS0_14default_configENS1_32segmented_reduce_config_selectorIdEEZNS1_21segmented_reduce_implIS3_PKdPdPKidN6hipcub16HIPCUB_304000_NS6detail27convert_result_type_wrapperIS8_S9_N2at6native12_GLOBAL__N_19CustomSumEEEEE10hipError_tPvRmT0_T1_jT2_SQ_T4_T3_P12ihipStream_tbEUlT_E_NS1_11comp_targetILNS1_3genE3ELNS1_11target_archE908ELNS1_3gpuE7ELNS1_3repE0EEENS1_30default_config_static_selectorELNS0_4arch9wavefront6targetE0EEEvSP_
    .private_segment_fixed_size: 0
    .sgpr_count:     0
    .sgpr_spill_count: 0
    .symbol:         _ZN7rocprim17ROCPRIM_400000_NS6detail17trampoline_kernelINS0_14default_configENS1_32segmented_reduce_config_selectorIdEEZNS1_21segmented_reduce_implIS3_PKdPdPKidN6hipcub16HIPCUB_304000_NS6detail27convert_result_type_wrapperIS8_S9_N2at6native12_GLOBAL__N_19CustomSumEEEEE10hipError_tPvRmT0_T1_jT2_SQ_T4_T3_P12ihipStream_tbEUlT_E_NS1_11comp_targetILNS1_3genE3ELNS1_11target_archE908ELNS1_3gpuE7ELNS1_3repE0EEENS1_30default_config_static_selectorELNS0_4arch9wavefront6targetE0EEEvSP_.kd
    .uniform_work_group_size: 1
    .uses_dynamic_stack: false
    .vgpr_count:     0
    .vgpr_spill_count: 0
    .wavefront_size: 32
    .workgroup_processor_mode: 1
  - .args:
      - .offset:         0
        .size:           56
        .value_kind:     by_value
    .group_segment_fixed_size: 0
    .kernarg_segment_align: 8
    .kernarg_segment_size: 56
    .language:       OpenCL C
    .language_version:
      - 2
      - 0
    .max_flat_workgroup_size: 256
    .name:           _ZN7rocprim17ROCPRIM_400000_NS6detail17trampoline_kernelINS0_14default_configENS1_32segmented_reduce_config_selectorIdEEZNS1_21segmented_reduce_implIS3_PKdPdPKidN6hipcub16HIPCUB_304000_NS6detail27convert_result_type_wrapperIS8_S9_N2at6native12_GLOBAL__N_19CustomSumEEEEE10hipError_tPvRmT0_T1_jT2_SQ_T4_T3_P12ihipStream_tbEUlT_E_NS1_11comp_targetILNS1_3genE2ELNS1_11target_archE906ELNS1_3gpuE6ELNS1_3repE0EEENS1_30default_config_static_selectorELNS0_4arch9wavefront6targetE0EEEvSP_
    .private_segment_fixed_size: 0
    .sgpr_count:     0
    .sgpr_spill_count: 0
    .symbol:         _ZN7rocprim17ROCPRIM_400000_NS6detail17trampoline_kernelINS0_14default_configENS1_32segmented_reduce_config_selectorIdEEZNS1_21segmented_reduce_implIS3_PKdPdPKidN6hipcub16HIPCUB_304000_NS6detail27convert_result_type_wrapperIS8_S9_N2at6native12_GLOBAL__N_19CustomSumEEEEE10hipError_tPvRmT0_T1_jT2_SQ_T4_T3_P12ihipStream_tbEUlT_E_NS1_11comp_targetILNS1_3genE2ELNS1_11target_archE906ELNS1_3gpuE6ELNS1_3repE0EEENS1_30default_config_static_selectorELNS0_4arch9wavefront6targetE0EEEvSP_.kd
    .uniform_work_group_size: 1
    .uses_dynamic_stack: false
    .vgpr_count:     0
    .vgpr_spill_count: 0
    .wavefront_size: 32
    .workgroup_processor_mode: 1
  - .args:
      - .offset:         0
        .size:           56
        .value_kind:     by_value
    .group_segment_fixed_size: 64
    .kernarg_segment_align: 8
    .kernarg_segment_size: 56
    .language:       OpenCL C
    .language_version:
      - 2
      - 0
    .max_flat_workgroup_size: 256
    .name:           _ZN7rocprim17ROCPRIM_400000_NS6detail17trampoline_kernelINS0_14default_configENS1_32segmented_reduce_config_selectorIdEEZNS1_21segmented_reduce_implIS3_PKdPdPKidN6hipcub16HIPCUB_304000_NS6detail27convert_result_type_wrapperIS8_S9_N2at6native12_GLOBAL__N_19CustomSumEEEEE10hipError_tPvRmT0_T1_jT2_SQ_T4_T3_P12ihipStream_tbEUlT_E_NS1_11comp_targetILNS1_3genE9ELNS1_11target_archE1100ELNS1_3gpuE3ELNS1_3repE0EEENS1_30default_config_static_selectorELNS0_4arch9wavefront6targetE0EEEvSP_
    .private_segment_fixed_size: 0
    .sgpr_count:     33
    .sgpr_spill_count: 0
    .symbol:         _ZN7rocprim17ROCPRIM_400000_NS6detail17trampoline_kernelINS0_14default_configENS1_32segmented_reduce_config_selectorIdEEZNS1_21segmented_reduce_implIS3_PKdPdPKidN6hipcub16HIPCUB_304000_NS6detail27convert_result_type_wrapperIS8_S9_N2at6native12_GLOBAL__N_19CustomSumEEEEE10hipError_tPvRmT0_T1_jT2_SQ_T4_T3_P12ihipStream_tbEUlT_E_NS1_11comp_targetILNS1_3genE9ELNS1_11target_archE1100ELNS1_3gpuE3ELNS1_3repE0EEENS1_30default_config_static_selectorELNS0_4arch9wavefront6targetE0EEEvSP_.kd
    .uniform_work_group_size: 1
    .uses_dynamic_stack: false
    .vgpr_count:     40
    .vgpr_spill_count: 0
    .wavefront_size: 32
    .workgroup_processor_mode: 1
  - .args:
      - .offset:         0
        .size:           56
        .value_kind:     by_value
    .group_segment_fixed_size: 0
    .kernarg_segment_align: 8
    .kernarg_segment_size: 56
    .language:       OpenCL C
    .language_version:
      - 2
      - 0
    .max_flat_workgroup_size: 256
    .name:           _ZN7rocprim17ROCPRIM_400000_NS6detail17trampoline_kernelINS0_14default_configENS1_32segmented_reduce_config_selectorIdEEZNS1_21segmented_reduce_implIS3_PKdPdPKidN6hipcub16HIPCUB_304000_NS6detail27convert_result_type_wrapperIS8_S9_N2at6native12_GLOBAL__N_19CustomSumEEEEE10hipError_tPvRmT0_T1_jT2_SQ_T4_T3_P12ihipStream_tbEUlT_E_NS1_11comp_targetILNS1_3genE8ELNS1_11target_archE1030ELNS1_3gpuE2ELNS1_3repE0EEENS1_30default_config_static_selectorELNS0_4arch9wavefront6targetE0EEEvSP_
    .private_segment_fixed_size: 0
    .sgpr_count:     0
    .sgpr_spill_count: 0
    .symbol:         _ZN7rocprim17ROCPRIM_400000_NS6detail17trampoline_kernelINS0_14default_configENS1_32segmented_reduce_config_selectorIdEEZNS1_21segmented_reduce_implIS3_PKdPdPKidN6hipcub16HIPCUB_304000_NS6detail27convert_result_type_wrapperIS8_S9_N2at6native12_GLOBAL__N_19CustomSumEEEEE10hipError_tPvRmT0_T1_jT2_SQ_T4_T3_P12ihipStream_tbEUlT_E_NS1_11comp_targetILNS1_3genE8ELNS1_11target_archE1030ELNS1_3gpuE2ELNS1_3repE0EEENS1_30default_config_static_selectorELNS0_4arch9wavefront6targetE0EEEvSP_.kd
    .uniform_work_group_size: 1
    .uses_dynamic_stack: false
    .vgpr_count:     0
    .vgpr_spill_count: 0
    .wavefront_size: 32
    .workgroup_processor_mode: 1
  - .args:
      - .address_space:  global
        .offset:         0
        .size:           8
        .value_kind:     global_buffer
      - .address_space:  global
        .offset:         8
        .size:           8
        .value_kind:     global_buffer
      - .offset:         16
        .size:           8
        .value_kind:     by_value
      - .offset:         24
        .size:           1
        .value_kind:     by_value
      - .offset:         32
        .size:           8
        .value_kind:     by_value
      - .offset:         40
        .size:           4
        .value_kind:     hidden_block_count_x
      - .offset:         44
        .size:           4
        .value_kind:     hidden_block_count_y
      - .offset:         48
        .size:           4
        .value_kind:     hidden_block_count_z
      - .offset:         52
        .size:           2
        .value_kind:     hidden_group_size_x
      - .offset:         54
        .size:           2
        .value_kind:     hidden_group_size_y
      - .offset:         56
        .size:           2
        .value_kind:     hidden_group_size_z
      - .offset:         58
        .size:           2
        .value_kind:     hidden_remainder_x
      - .offset:         60
        .size:           2
        .value_kind:     hidden_remainder_y
      - .offset:         62
        .size:           2
        .value_kind:     hidden_remainder_z
      - .offset:         80
        .size:           8
        .value_kind:     hidden_global_offset_x
      - .offset:         88
        .size:           8
        .value_kind:     hidden_global_offset_y
      - .offset:         96
        .size:           8
        .value_kind:     hidden_global_offset_z
      - .offset:         104
        .size:           2
        .value_kind:     hidden_grid_dims
    .group_segment_fixed_size: 0
    .kernarg_segment_align: 8
    .kernarg_segment_size: 296
    .language:       OpenCL C
    .language_version:
      - 2
      - 0
    .max_flat_workgroup_size: 1024
    .name:           _ZN2at6native12_GLOBAL__N_119post_sum_div_kernelIdiEEvPT_PKT0_lbS3_
    .private_segment_fixed_size: 0
    .sgpr_count:     20
    .sgpr_spill_count: 0
    .symbol:         _ZN2at6native12_GLOBAL__N_119post_sum_div_kernelIdiEEvPT_PKT0_lbS3_.kd
    .uniform_work_group_size: 1
    .uses_dynamic_stack: false
    .vgpr_count:     18
    .vgpr_spill_count: 0
    .wavefront_size: 32
    .workgroup_processor_mode: 1
  - .args:
      - .offset:         0
        .size:           56
        .value_kind:     by_value
    .group_segment_fixed_size: 0
    .kernarg_segment_align: 8
    .kernarg_segment_size: 56
    .language:       OpenCL C
    .language_version:
      - 2
      - 0
    .max_flat_workgroup_size: 256
    .name:           _ZN7rocprim17ROCPRIM_400000_NS6detail17trampoline_kernelINS0_14default_configENS1_32segmented_reduce_config_selectorIdEEZNS1_21segmented_reduce_implIS3_PKdPdPKidN6hipcub16HIPCUB_304000_NS6detail27convert_result_type_wrapperIS8_S9_N2at6native12_GLOBAL__N_19CustomMinEEEEE10hipError_tPvRmT0_T1_jT2_SQ_T4_T3_P12ihipStream_tbEUlT_E_NS1_11comp_targetILNS1_3genE0ELNS1_11target_archE4294967295ELNS1_3gpuE0ELNS1_3repE0EEENS1_30default_config_static_selectorELNS0_4arch9wavefront6targetE0EEEvSP_
    .private_segment_fixed_size: 0
    .sgpr_count:     0
    .sgpr_spill_count: 0
    .symbol:         _ZN7rocprim17ROCPRIM_400000_NS6detail17trampoline_kernelINS0_14default_configENS1_32segmented_reduce_config_selectorIdEEZNS1_21segmented_reduce_implIS3_PKdPdPKidN6hipcub16HIPCUB_304000_NS6detail27convert_result_type_wrapperIS8_S9_N2at6native12_GLOBAL__N_19CustomMinEEEEE10hipError_tPvRmT0_T1_jT2_SQ_T4_T3_P12ihipStream_tbEUlT_E_NS1_11comp_targetILNS1_3genE0ELNS1_11target_archE4294967295ELNS1_3gpuE0ELNS1_3repE0EEENS1_30default_config_static_selectorELNS0_4arch9wavefront6targetE0EEEvSP_.kd
    .uniform_work_group_size: 1
    .uses_dynamic_stack: false
    .vgpr_count:     0
    .vgpr_spill_count: 0
    .wavefront_size: 32
    .workgroup_processor_mode: 1
  - .args:
      - .offset:         0
        .size:           56
        .value_kind:     by_value
    .group_segment_fixed_size: 0
    .kernarg_segment_align: 8
    .kernarg_segment_size: 56
    .language:       OpenCL C
    .language_version:
      - 2
      - 0
    .max_flat_workgroup_size: 256
    .name:           _ZN7rocprim17ROCPRIM_400000_NS6detail17trampoline_kernelINS0_14default_configENS1_32segmented_reduce_config_selectorIdEEZNS1_21segmented_reduce_implIS3_PKdPdPKidN6hipcub16HIPCUB_304000_NS6detail27convert_result_type_wrapperIS8_S9_N2at6native12_GLOBAL__N_19CustomMinEEEEE10hipError_tPvRmT0_T1_jT2_SQ_T4_T3_P12ihipStream_tbEUlT_E_NS1_11comp_targetILNS1_3genE5ELNS1_11target_archE942ELNS1_3gpuE9ELNS1_3repE0EEENS1_30default_config_static_selectorELNS0_4arch9wavefront6targetE0EEEvSP_
    .private_segment_fixed_size: 0
    .sgpr_count:     0
    .sgpr_spill_count: 0
    .symbol:         _ZN7rocprim17ROCPRIM_400000_NS6detail17trampoline_kernelINS0_14default_configENS1_32segmented_reduce_config_selectorIdEEZNS1_21segmented_reduce_implIS3_PKdPdPKidN6hipcub16HIPCUB_304000_NS6detail27convert_result_type_wrapperIS8_S9_N2at6native12_GLOBAL__N_19CustomMinEEEEE10hipError_tPvRmT0_T1_jT2_SQ_T4_T3_P12ihipStream_tbEUlT_E_NS1_11comp_targetILNS1_3genE5ELNS1_11target_archE942ELNS1_3gpuE9ELNS1_3repE0EEENS1_30default_config_static_selectorELNS0_4arch9wavefront6targetE0EEEvSP_.kd
    .uniform_work_group_size: 1
    .uses_dynamic_stack: false
    .vgpr_count:     0
    .vgpr_spill_count: 0
    .wavefront_size: 32
    .workgroup_processor_mode: 1
  - .args:
      - .offset:         0
        .size:           56
        .value_kind:     by_value
    .group_segment_fixed_size: 0
    .kernarg_segment_align: 8
    .kernarg_segment_size: 56
    .language:       OpenCL C
    .language_version:
      - 2
      - 0
    .max_flat_workgroup_size: 256
    .name:           _ZN7rocprim17ROCPRIM_400000_NS6detail17trampoline_kernelINS0_14default_configENS1_32segmented_reduce_config_selectorIdEEZNS1_21segmented_reduce_implIS3_PKdPdPKidN6hipcub16HIPCUB_304000_NS6detail27convert_result_type_wrapperIS8_S9_N2at6native12_GLOBAL__N_19CustomMinEEEEE10hipError_tPvRmT0_T1_jT2_SQ_T4_T3_P12ihipStream_tbEUlT_E_NS1_11comp_targetILNS1_3genE10ELNS1_11target_archE1201ELNS1_3gpuE5ELNS1_3repE0EEENS1_30default_config_static_selectorELNS0_4arch9wavefront6targetE0EEEvSP_
    .private_segment_fixed_size: 0
    .sgpr_count:     0
    .sgpr_spill_count: 0
    .symbol:         _ZN7rocprim17ROCPRIM_400000_NS6detail17trampoline_kernelINS0_14default_configENS1_32segmented_reduce_config_selectorIdEEZNS1_21segmented_reduce_implIS3_PKdPdPKidN6hipcub16HIPCUB_304000_NS6detail27convert_result_type_wrapperIS8_S9_N2at6native12_GLOBAL__N_19CustomMinEEEEE10hipError_tPvRmT0_T1_jT2_SQ_T4_T3_P12ihipStream_tbEUlT_E_NS1_11comp_targetILNS1_3genE10ELNS1_11target_archE1201ELNS1_3gpuE5ELNS1_3repE0EEENS1_30default_config_static_selectorELNS0_4arch9wavefront6targetE0EEEvSP_.kd
    .uniform_work_group_size: 1
    .uses_dynamic_stack: false
    .vgpr_count:     0
    .vgpr_spill_count: 0
    .wavefront_size: 32
    .workgroup_processor_mode: 1
  - .args:
      - .offset:         0
        .size:           56
        .value_kind:     by_value
    .group_segment_fixed_size: 0
    .kernarg_segment_align: 8
    .kernarg_segment_size: 56
    .language:       OpenCL C
    .language_version:
      - 2
      - 0
    .max_flat_workgroup_size: 256
    .name:           _ZN7rocprim17ROCPRIM_400000_NS6detail17trampoline_kernelINS0_14default_configENS1_32segmented_reduce_config_selectorIdEEZNS1_21segmented_reduce_implIS3_PKdPdPKidN6hipcub16HIPCUB_304000_NS6detail27convert_result_type_wrapperIS8_S9_N2at6native12_GLOBAL__N_19CustomMinEEEEE10hipError_tPvRmT0_T1_jT2_SQ_T4_T3_P12ihipStream_tbEUlT_E_NS1_11comp_targetILNS1_3genE4ELNS1_11target_archE910ELNS1_3gpuE8ELNS1_3repE0EEENS1_30default_config_static_selectorELNS0_4arch9wavefront6targetE0EEEvSP_
    .private_segment_fixed_size: 0
    .sgpr_count:     0
    .sgpr_spill_count: 0
    .symbol:         _ZN7rocprim17ROCPRIM_400000_NS6detail17trampoline_kernelINS0_14default_configENS1_32segmented_reduce_config_selectorIdEEZNS1_21segmented_reduce_implIS3_PKdPdPKidN6hipcub16HIPCUB_304000_NS6detail27convert_result_type_wrapperIS8_S9_N2at6native12_GLOBAL__N_19CustomMinEEEEE10hipError_tPvRmT0_T1_jT2_SQ_T4_T3_P12ihipStream_tbEUlT_E_NS1_11comp_targetILNS1_3genE4ELNS1_11target_archE910ELNS1_3gpuE8ELNS1_3repE0EEENS1_30default_config_static_selectorELNS0_4arch9wavefront6targetE0EEEvSP_.kd
    .uniform_work_group_size: 1
    .uses_dynamic_stack: false
    .vgpr_count:     0
    .vgpr_spill_count: 0
    .wavefront_size: 32
    .workgroup_processor_mode: 1
  - .args:
      - .offset:         0
        .size:           56
        .value_kind:     by_value
    .group_segment_fixed_size: 0
    .kernarg_segment_align: 8
    .kernarg_segment_size: 56
    .language:       OpenCL C
    .language_version:
      - 2
      - 0
    .max_flat_workgroup_size: 256
    .name:           _ZN7rocprim17ROCPRIM_400000_NS6detail17trampoline_kernelINS0_14default_configENS1_32segmented_reduce_config_selectorIdEEZNS1_21segmented_reduce_implIS3_PKdPdPKidN6hipcub16HIPCUB_304000_NS6detail27convert_result_type_wrapperIS8_S9_N2at6native12_GLOBAL__N_19CustomMinEEEEE10hipError_tPvRmT0_T1_jT2_SQ_T4_T3_P12ihipStream_tbEUlT_E_NS1_11comp_targetILNS1_3genE3ELNS1_11target_archE908ELNS1_3gpuE7ELNS1_3repE0EEENS1_30default_config_static_selectorELNS0_4arch9wavefront6targetE0EEEvSP_
    .private_segment_fixed_size: 0
    .sgpr_count:     0
    .sgpr_spill_count: 0
    .symbol:         _ZN7rocprim17ROCPRIM_400000_NS6detail17trampoline_kernelINS0_14default_configENS1_32segmented_reduce_config_selectorIdEEZNS1_21segmented_reduce_implIS3_PKdPdPKidN6hipcub16HIPCUB_304000_NS6detail27convert_result_type_wrapperIS8_S9_N2at6native12_GLOBAL__N_19CustomMinEEEEE10hipError_tPvRmT0_T1_jT2_SQ_T4_T3_P12ihipStream_tbEUlT_E_NS1_11comp_targetILNS1_3genE3ELNS1_11target_archE908ELNS1_3gpuE7ELNS1_3repE0EEENS1_30default_config_static_selectorELNS0_4arch9wavefront6targetE0EEEvSP_.kd
    .uniform_work_group_size: 1
    .uses_dynamic_stack: false
    .vgpr_count:     0
    .vgpr_spill_count: 0
    .wavefront_size: 32
    .workgroup_processor_mode: 1
  - .args:
      - .offset:         0
        .size:           56
        .value_kind:     by_value
    .group_segment_fixed_size: 0
    .kernarg_segment_align: 8
    .kernarg_segment_size: 56
    .language:       OpenCL C
    .language_version:
      - 2
      - 0
    .max_flat_workgroup_size: 256
    .name:           _ZN7rocprim17ROCPRIM_400000_NS6detail17trampoline_kernelINS0_14default_configENS1_32segmented_reduce_config_selectorIdEEZNS1_21segmented_reduce_implIS3_PKdPdPKidN6hipcub16HIPCUB_304000_NS6detail27convert_result_type_wrapperIS8_S9_N2at6native12_GLOBAL__N_19CustomMinEEEEE10hipError_tPvRmT0_T1_jT2_SQ_T4_T3_P12ihipStream_tbEUlT_E_NS1_11comp_targetILNS1_3genE2ELNS1_11target_archE906ELNS1_3gpuE6ELNS1_3repE0EEENS1_30default_config_static_selectorELNS0_4arch9wavefront6targetE0EEEvSP_
    .private_segment_fixed_size: 0
    .sgpr_count:     0
    .sgpr_spill_count: 0
    .symbol:         _ZN7rocprim17ROCPRIM_400000_NS6detail17trampoline_kernelINS0_14default_configENS1_32segmented_reduce_config_selectorIdEEZNS1_21segmented_reduce_implIS3_PKdPdPKidN6hipcub16HIPCUB_304000_NS6detail27convert_result_type_wrapperIS8_S9_N2at6native12_GLOBAL__N_19CustomMinEEEEE10hipError_tPvRmT0_T1_jT2_SQ_T4_T3_P12ihipStream_tbEUlT_E_NS1_11comp_targetILNS1_3genE2ELNS1_11target_archE906ELNS1_3gpuE6ELNS1_3repE0EEENS1_30default_config_static_selectorELNS0_4arch9wavefront6targetE0EEEvSP_.kd
    .uniform_work_group_size: 1
    .uses_dynamic_stack: false
    .vgpr_count:     0
    .vgpr_spill_count: 0
    .wavefront_size: 32
    .workgroup_processor_mode: 1
  - .args:
      - .offset:         0
        .size:           56
        .value_kind:     by_value
    .group_segment_fixed_size: 64
    .kernarg_segment_align: 8
    .kernarg_segment_size: 56
    .language:       OpenCL C
    .language_version:
      - 2
      - 0
    .max_flat_workgroup_size: 256
    .name:           _ZN7rocprim17ROCPRIM_400000_NS6detail17trampoline_kernelINS0_14default_configENS1_32segmented_reduce_config_selectorIdEEZNS1_21segmented_reduce_implIS3_PKdPdPKidN6hipcub16HIPCUB_304000_NS6detail27convert_result_type_wrapperIS8_S9_N2at6native12_GLOBAL__N_19CustomMinEEEEE10hipError_tPvRmT0_T1_jT2_SQ_T4_T3_P12ihipStream_tbEUlT_E_NS1_11comp_targetILNS1_3genE9ELNS1_11target_archE1100ELNS1_3gpuE3ELNS1_3repE0EEENS1_30default_config_static_selectorELNS0_4arch9wavefront6targetE0EEEvSP_
    .private_segment_fixed_size: 0
    .sgpr_count:     20
    .sgpr_spill_count: 0
    .symbol:         _ZN7rocprim17ROCPRIM_400000_NS6detail17trampoline_kernelINS0_14default_configENS1_32segmented_reduce_config_selectorIdEEZNS1_21segmented_reduce_implIS3_PKdPdPKidN6hipcub16HIPCUB_304000_NS6detail27convert_result_type_wrapperIS8_S9_N2at6native12_GLOBAL__N_19CustomMinEEEEE10hipError_tPvRmT0_T1_jT2_SQ_T4_T3_P12ihipStream_tbEUlT_E_NS1_11comp_targetILNS1_3genE9ELNS1_11target_archE1100ELNS1_3gpuE3ELNS1_3repE0EEENS1_30default_config_static_selectorELNS0_4arch9wavefront6targetE0EEEvSP_.kd
    .uniform_work_group_size: 1
    .uses_dynamic_stack: false
    .vgpr_count:     50
    .vgpr_spill_count: 0
    .wavefront_size: 32
    .workgroup_processor_mode: 1
  - .args:
      - .offset:         0
        .size:           56
        .value_kind:     by_value
    .group_segment_fixed_size: 0
    .kernarg_segment_align: 8
    .kernarg_segment_size: 56
    .language:       OpenCL C
    .language_version:
      - 2
      - 0
    .max_flat_workgroup_size: 256
    .name:           _ZN7rocprim17ROCPRIM_400000_NS6detail17trampoline_kernelINS0_14default_configENS1_32segmented_reduce_config_selectorIdEEZNS1_21segmented_reduce_implIS3_PKdPdPKidN6hipcub16HIPCUB_304000_NS6detail27convert_result_type_wrapperIS8_S9_N2at6native12_GLOBAL__N_19CustomMinEEEEE10hipError_tPvRmT0_T1_jT2_SQ_T4_T3_P12ihipStream_tbEUlT_E_NS1_11comp_targetILNS1_3genE8ELNS1_11target_archE1030ELNS1_3gpuE2ELNS1_3repE0EEENS1_30default_config_static_selectorELNS0_4arch9wavefront6targetE0EEEvSP_
    .private_segment_fixed_size: 0
    .sgpr_count:     0
    .sgpr_spill_count: 0
    .symbol:         _ZN7rocprim17ROCPRIM_400000_NS6detail17trampoline_kernelINS0_14default_configENS1_32segmented_reduce_config_selectorIdEEZNS1_21segmented_reduce_implIS3_PKdPdPKidN6hipcub16HIPCUB_304000_NS6detail27convert_result_type_wrapperIS8_S9_N2at6native12_GLOBAL__N_19CustomMinEEEEE10hipError_tPvRmT0_T1_jT2_SQ_T4_T3_P12ihipStream_tbEUlT_E_NS1_11comp_targetILNS1_3genE8ELNS1_11target_archE1030ELNS1_3gpuE2ELNS1_3repE0EEENS1_30default_config_static_selectorELNS0_4arch9wavefront6targetE0EEEvSP_.kd
    .uniform_work_group_size: 1
    .uses_dynamic_stack: false
    .vgpr_count:     0
    .vgpr_spill_count: 0
    .wavefront_size: 32
    .workgroup_processor_mode: 1
  - .args:
      - .offset:         0
        .size:           56
        .value_kind:     by_value
    .group_segment_fixed_size: 0
    .kernarg_segment_align: 8
    .kernarg_segment_size: 56
    .language:       OpenCL C
    .language_version:
      - 2
      - 0
    .max_flat_workgroup_size: 256
    .name:           _ZN7rocprim17ROCPRIM_400000_NS6detail17trampoline_kernelINS0_14default_configENS1_32segmented_reduce_config_selectorIdEEZNS1_21segmented_reduce_implIS3_PKdPdPKidN6hipcub16HIPCUB_304000_NS6detail27convert_result_type_wrapperIS8_S9_N2at6native12_GLOBAL__N_110CustomProdEEEEE10hipError_tPvRmT0_T1_jT2_SQ_T4_T3_P12ihipStream_tbEUlT_E_NS1_11comp_targetILNS1_3genE0ELNS1_11target_archE4294967295ELNS1_3gpuE0ELNS1_3repE0EEENS1_30default_config_static_selectorELNS0_4arch9wavefront6targetE0EEEvSP_
    .private_segment_fixed_size: 0
    .sgpr_count:     0
    .sgpr_spill_count: 0
    .symbol:         _ZN7rocprim17ROCPRIM_400000_NS6detail17trampoline_kernelINS0_14default_configENS1_32segmented_reduce_config_selectorIdEEZNS1_21segmented_reduce_implIS3_PKdPdPKidN6hipcub16HIPCUB_304000_NS6detail27convert_result_type_wrapperIS8_S9_N2at6native12_GLOBAL__N_110CustomProdEEEEE10hipError_tPvRmT0_T1_jT2_SQ_T4_T3_P12ihipStream_tbEUlT_E_NS1_11comp_targetILNS1_3genE0ELNS1_11target_archE4294967295ELNS1_3gpuE0ELNS1_3repE0EEENS1_30default_config_static_selectorELNS0_4arch9wavefront6targetE0EEEvSP_.kd
    .uniform_work_group_size: 1
    .uses_dynamic_stack: false
    .vgpr_count:     0
    .vgpr_spill_count: 0
    .wavefront_size: 32
    .workgroup_processor_mode: 1
  - .args:
      - .offset:         0
        .size:           56
        .value_kind:     by_value
    .group_segment_fixed_size: 0
    .kernarg_segment_align: 8
    .kernarg_segment_size: 56
    .language:       OpenCL C
    .language_version:
      - 2
      - 0
    .max_flat_workgroup_size: 256
    .name:           _ZN7rocprim17ROCPRIM_400000_NS6detail17trampoline_kernelINS0_14default_configENS1_32segmented_reduce_config_selectorIdEEZNS1_21segmented_reduce_implIS3_PKdPdPKidN6hipcub16HIPCUB_304000_NS6detail27convert_result_type_wrapperIS8_S9_N2at6native12_GLOBAL__N_110CustomProdEEEEE10hipError_tPvRmT0_T1_jT2_SQ_T4_T3_P12ihipStream_tbEUlT_E_NS1_11comp_targetILNS1_3genE5ELNS1_11target_archE942ELNS1_3gpuE9ELNS1_3repE0EEENS1_30default_config_static_selectorELNS0_4arch9wavefront6targetE0EEEvSP_
    .private_segment_fixed_size: 0
    .sgpr_count:     0
    .sgpr_spill_count: 0
    .symbol:         _ZN7rocprim17ROCPRIM_400000_NS6detail17trampoline_kernelINS0_14default_configENS1_32segmented_reduce_config_selectorIdEEZNS1_21segmented_reduce_implIS3_PKdPdPKidN6hipcub16HIPCUB_304000_NS6detail27convert_result_type_wrapperIS8_S9_N2at6native12_GLOBAL__N_110CustomProdEEEEE10hipError_tPvRmT0_T1_jT2_SQ_T4_T3_P12ihipStream_tbEUlT_E_NS1_11comp_targetILNS1_3genE5ELNS1_11target_archE942ELNS1_3gpuE9ELNS1_3repE0EEENS1_30default_config_static_selectorELNS0_4arch9wavefront6targetE0EEEvSP_.kd
    .uniform_work_group_size: 1
    .uses_dynamic_stack: false
    .vgpr_count:     0
    .vgpr_spill_count: 0
    .wavefront_size: 32
    .workgroup_processor_mode: 1
  - .args:
      - .offset:         0
        .size:           56
        .value_kind:     by_value
    .group_segment_fixed_size: 0
    .kernarg_segment_align: 8
    .kernarg_segment_size: 56
    .language:       OpenCL C
    .language_version:
      - 2
      - 0
    .max_flat_workgroup_size: 256
    .name:           _ZN7rocprim17ROCPRIM_400000_NS6detail17trampoline_kernelINS0_14default_configENS1_32segmented_reduce_config_selectorIdEEZNS1_21segmented_reduce_implIS3_PKdPdPKidN6hipcub16HIPCUB_304000_NS6detail27convert_result_type_wrapperIS8_S9_N2at6native12_GLOBAL__N_110CustomProdEEEEE10hipError_tPvRmT0_T1_jT2_SQ_T4_T3_P12ihipStream_tbEUlT_E_NS1_11comp_targetILNS1_3genE10ELNS1_11target_archE1201ELNS1_3gpuE5ELNS1_3repE0EEENS1_30default_config_static_selectorELNS0_4arch9wavefront6targetE0EEEvSP_
    .private_segment_fixed_size: 0
    .sgpr_count:     0
    .sgpr_spill_count: 0
    .symbol:         _ZN7rocprim17ROCPRIM_400000_NS6detail17trampoline_kernelINS0_14default_configENS1_32segmented_reduce_config_selectorIdEEZNS1_21segmented_reduce_implIS3_PKdPdPKidN6hipcub16HIPCUB_304000_NS6detail27convert_result_type_wrapperIS8_S9_N2at6native12_GLOBAL__N_110CustomProdEEEEE10hipError_tPvRmT0_T1_jT2_SQ_T4_T3_P12ihipStream_tbEUlT_E_NS1_11comp_targetILNS1_3genE10ELNS1_11target_archE1201ELNS1_3gpuE5ELNS1_3repE0EEENS1_30default_config_static_selectorELNS0_4arch9wavefront6targetE0EEEvSP_.kd
    .uniform_work_group_size: 1
    .uses_dynamic_stack: false
    .vgpr_count:     0
    .vgpr_spill_count: 0
    .wavefront_size: 32
    .workgroup_processor_mode: 1
  - .args:
      - .offset:         0
        .size:           56
        .value_kind:     by_value
    .group_segment_fixed_size: 0
    .kernarg_segment_align: 8
    .kernarg_segment_size: 56
    .language:       OpenCL C
    .language_version:
      - 2
      - 0
    .max_flat_workgroup_size: 256
    .name:           _ZN7rocprim17ROCPRIM_400000_NS6detail17trampoline_kernelINS0_14default_configENS1_32segmented_reduce_config_selectorIdEEZNS1_21segmented_reduce_implIS3_PKdPdPKidN6hipcub16HIPCUB_304000_NS6detail27convert_result_type_wrapperIS8_S9_N2at6native12_GLOBAL__N_110CustomProdEEEEE10hipError_tPvRmT0_T1_jT2_SQ_T4_T3_P12ihipStream_tbEUlT_E_NS1_11comp_targetILNS1_3genE4ELNS1_11target_archE910ELNS1_3gpuE8ELNS1_3repE0EEENS1_30default_config_static_selectorELNS0_4arch9wavefront6targetE0EEEvSP_
    .private_segment_fixed_size: 0
    .sgpr_count:     0
    .sgpr_spill_count: 0
    .symbol:         _ZN7rocprim17ROCPRIM_400000_NS6detail17trampoline_kernelINS0_14default_configENS1_32segmented_reduce_config_selectorIdEEZNS1_21segmented_reduce_implIS3_PKdPdPKidN6hipcub16HIPCUB_304000_NS6detail27convert_result_type_wrapperIS8_S9_N2at6native12_GLOBAL__N_110CustomProdEEEEE10hipError_tPvRmT0_T1_jT2_SQ_T4_T3_P12ihipStream_tbEUlT_E_NS1_11comp_targetILNS1_3genE4ELNS1_11target_archE910ELNS1_3gpuE8ELNS1_3repE0EEENS1_30default_config_static_selectorELNS0_4arch9wavefront6targetE0EEEvSP_.kd
    .uniform_work_group_size: 1
    .uses_dynamic_stack: false
    .vgpr_count:     0
    .vgpr_spill_count: 0
    .wavefront_size: 32
    .workgroup_processor_mode: 1
  - .args:
      - .offset:         0
        .size:           56
        .value_kind:     by_value
    .group_segment_fixed_size: 0
    .kernarg_segment_align: 8
    .kernarg_segment_size: 56
    .language:       OpenCL C
    .language_version:
      - 2
      - 0
    .max_flat_workgroup_size: 256
    .name:           _ZN7rocprim17ROCPRIM_400000_NS6detail17trampoline_kernelINS0_14default_configENS1_32segmented_reduce_config_selectorIdEEZNS1_21segmented_reduce_implIS3_PKdPdPKidN6hipcub16HIPCUB_304000_NS6detail27convert_result_type_wrapperIS8_S9_N2at6native12_GLOBAL__N_110CustomProdEEEEE10hipError_tPvRmT0_T1_jT2_SQ_T4_T3_P12ihipStream_tbEUlT_E_NS1_11comp_targetILNS1_3genE3ELNS1_11target_archE908ELNS1_3gpuE7ELNS1_3repE0EEENS1_30default_config_static_selectorELNS0_4arch9wavefront6targetE0EEEvSP_
    .private_segment_fixed_size: 0
    .sgpr_count:     0
    .sgpr_spill_count: 0
    .symbol:         _ZN7rocprim17ROCPRIM_400000_NS6detail17trampoline_kernelINS0_14default_configENS1_32segmented_reduce_config_selectorIdEEZNS1_21segmented_reduce_implIS3_PKdPdPKidN6hipcub16HIPCUB_304000_NS6detail27convert_result_type_wrapperIS8_S9_N2at6native12_GLOBAL__N_110CustomProdEEEEE10hipError_tPvRmT0_T1_jT2_SQ_T4_T3_P12ihipStream_tbEUlT_E_NS1_11comp_targetILNS1_3genE3ELNS1_11target_archE908ELNS1_3gpuE7ELNS1_3repE0EEENS1_30default_config_static_selectorELNS0_4arch9wavefront6targetE0EEEvSP_.kd
    .uniform_work_group_size: 1
    .uses_dynamic_stack: false
    .vgpr_count:     0
    .vgpr_spill_count: 0
    .wavefront_size: 32
    .workgroup_processor_mode: 1
  - .args:
      - .offset:         0
        .size:           56
        .value_kind:     by_value
    .group_segment_fixed_size: 0
    .kernarg_segment_align: 8
    .kernarg_segment_size: 56
    .language:       OpenCL C
    .language_version:
      - 2
      - 0
    .max_flat_workgroup_size: 256
    .name:           _ZN7rocprim17ROCPRIM_400000_NS6detail17trampoline_kernelINS0_14default_configENS1_32segmented_reduce_config_selectorIdEEZNS1_21segmented_reduce_implIS3_PKdPdPKidN6hipcub16HIPCUB_304000_NS6detail27convert_result_type_wrapperIS8_S9_N2at6native12_GLOBAL__N_110CustomProdEEEEE10hipError_tPvRmT0_T1_jT2_SQ_T4_T3_P12ihipStream_tbEUlT_E_NS1_11comp_targetILNS1_3genE2ELNS1_11target_archE906ELNS1_3gpuE6ELNS1_3repE0EEENS1_30default_config_static_selectorELNS0_4arch9wavefront6targetE0EEEvSP_
    .private_segment_fixed_size: 0
    .sgpr_count:     0
    .sgpr_spill_count: 0
    .symbol:         _ZN7rocprim17ROCPRIM_400000_NS6detail17trampoline_kernelINS0_14default_configENS1_32segmented_reduce_config_selectorIdEEZNS1_21segmented_reduce_implIS3_PKdPdPKidN6hipcub16HIPCUB_304000_NS6detail27convert_result_type_wrapperIS8_S9_N2at6native12_GLOBAL__N_110CustomProdEEEEE10hipError_tPvRmT0_T1_jT2_SQ_T4_T3_P12ihipStream_tbEUlT_E_NS1_11comp_targetILNS1_3genE2ELNS1_11target_archE906ELNS1_3gpuE6ELNS1_3repE0EEENS1_30default_config_static_selectorELNS0_4arch9wavefront6targetE0EEEvSP_.kd
    .uniform_work_group_size: 1
    .uses_dynamic_stack: false
    .vgpr_count:     0
    .vgpr_spill_count: 0
    .wavefront_size: 32
    .workgroup_processor_mode: 1
  - .args:
      - .offset:         0
        .size:           56
        .value_kind:     by_value
    .group_segment_fixed_size: 64
    .kernarg_segment_align: 8
    .kernarg_segment_size: 56
    .language:       OpenCL C
    .language_version:
      - 2
      - 0
    .max_flat_workgroup_size: 256
    .name:           _ZN7rocprim17ROCPRIM_400000_NS6detail17trampoline_kernelINS0_14default_configENS1_32segmented_reduce_config_selectorIdEEZNS1_21segmented_reduce_implIS3_PKdPdPKidN6hipcub16HIPCUB_304000_NS6detail27convert_result_type_wrapperIS8_S9_N2at6native12_GLOBAL__N_110CustomProdEEEEE10hipError_tPvRmT0_T1_jT2_SQ_T4_T3_P12ihipStream_tbEUlT_E_NS1_11comp_targetILNS1_3genE9ELNS1_11target_archE1100ELNS1_3gpuE3ELNS1_3repE0EEENS1_30default_config_static_selectorELNS0_4arch9wavefront6targetE0EEEvSP_
    .private_segment_fixed_size: 0
    .sgpr_count:     33
    .sgpr_spill_count: 0
    .symbol:         _ZN7rocprim17ROCPRIM_400000_NS6detail17trampoline_kernelINS0_14default_configENS1_32segmented_reduce_config_selectorIdEEZNS1_21segmented_reduce_implIS3_PKdPdPKidN6hipcub16HIPCUB_304000_NS6detail27convert_result_type_wrapperIS8_S9_N2at6native12_GLOBAL__N_110CustomProdEEEEE10hipError_tPvRmT0_T1_jT2_SQ_T4_T3_P12ihipStream_tbEUlT_E_NS1_11comp_targetILNS1_3genE9ELNS1_11target_archE1100ELNS1_3gpuE3ELNS1_3repE0EEENS1_30default_config_static_selectorELNS0_4arch9wavefront6targetE0EEEvSP_.kd
    .uniform_work_group_size: 1
    .uses_dynamic_stack: false
    .vgpr_count:     40
    .vgpr_spill_count: 0
    .wavefront_size: 32
    .workgroup_processor_mode: 1
  - .args:
      - .offset:         0
        .size:           56
        .value_kind:     by_value
    .group_segment_fixed_size: 0
    .kernarg_segment_align: 8
    .kernarg_segment_size: 56
    .language:       OpenCL C
    .language_version:
      - 2
      - 0
    .max_flat_workgroup_size: 256
    .name:           _ZN7rocprim17ROCPRIM_400000_NS6detail17trampoline_kernelINS0_14default_configENS1_32segmented_reduce_config_selectorIdEEZNS1_21segmented_reduce_implIS3_PKdPdPKidN6hipcub16HIPCUB_304000_NS6detail27convert_result_type_wrapperIS8_S9_N2at6native12_GLOBAL__N_110CustomProdEEEEE10hipError_tPvRmT0_T1_jT2_SQ_T4_T3_P12ihipStream_tbEUlT_E_NS1_11comp_targetILNS1_3genE8ELNS1_11target_archE1030ELNS1_3gpuE2ELNS1_3repE0EEENS1_30default_config_static_selectorELNS0_4arch9wavefront6targetE0EEEvSP_
    .private_segment_fixed_size: 0
    .sgpr_count:     0
    .sgpr_spill_count: 0
    .symbol:         _ZN7rocprim17ROCPRIM_400000_NS6detail17trampoline_kernelINS0_14default_configENS1_32segmented_reduce_config_selectorIdEEZNS1_21segmented_reduce_implIS3_PKdPdPKidN6hipcub16HIPCUB_304000_NS6detail27convert_result_type_wrapperIS8_S9_N2at6native12_GLOBAL__N_110CustomProdEEEEE10hipError_tPvRmT0_T1_jT2_SQ_T4_T3_P12ihipStream_tbEUlT_E_NS1_11comp_targetILNS1_3genE8ELNS1_11target_archE1030ELNS1_3gpuE2ELNS1_3repE0EEENS1_30default_config_static_selectorELNS0_4arch9wavefront6targetE0EEEvSP_.kd
    .uniform_work_group_size: 1
    .uses_dynamic_stack: false
    .vgpr_count:     0
    .vgpr_spill_count: 0
    .wavefront_size: 32
    .workgroup_processor_mode: 1
  - .args:
      - .offset:         0
        .size:           4
        .value_kind:     by_value
      - .address_space:  global
        .offset:         8
        .size:           8
        .value_kind:     global_buffer
      - .address_space:  global
        .offset:         16
        .size:           8
        .value_kind:     global_buffer
      - .address_space:  global
        .offset:         24
        .size:           8
        .value_kind:     global_buffer
      - .address_space:  global
        .offset:         32
        .size:           8
        .value_kind:     global_buffer
      - .offset:         40
        .size:           8
        .value_kind:     by_value
      - .offset:         48
        .size:           8
        .value_kind:     by_value
      - .offset:         56
        .size:           1
        .value_kind:     by_value
      - .offset:         60
        .size:           4
        .value_kind:     by_value
      - .offset:         64
        .size:           8
        .value_kind:     by_value
      - .offset:         72
        .size:           8
        .value_kind:     by_value
      - .offset:         80
        .size:           8
        .value_kind:     by_value
      - .offset:         88
        .size:           8
        .value_kind:     by_value
      - .offset:         96
        .size:           8
        .value_kind:     by_value
      - .offset:         104
        .size:           8
        .value_kind:     by_value
      - .offset:         112
        .size:           8
        .value_kind:     by_value
      - .offset:         120
        .size:           4
        .value_kind:     hidden_block_count_x
      - .offset:         124
        .size:           4
        .value_kind:     hidden_block_count_y
      - .offset:         128
        .size:           4
        .value_kind:     hidden_block_count_z
      - .offset:         132
        .size:           2
        .value_kind:     hidden_group_size_x
      - .offset:         134
        .size:           2
        .value_kind:     hidden_group_size_y
      - .offset:         136
        .size:           2
        .value_kind:     hidden_group_size_z
      - .offset:         138
        .size:           2
        .value_kind:     hidden_remainder_x
      - .offset:         140
        .size:           2
        .value_kind:     hidden_remainder_y
      - .offset:         142
        .size:           2
        .value_kind:     hidden_remainder_z
      - .offset:         160
        .size:           8
        .value_kind:     hidden_global_offset_x
      - .offset:         168
        .size:           8
        .value_kind:     hidden_global_offset_y
      - .offset:         176
        .size:           8
        .value_kind:     hidden_global_offset_z
      - .offset:         184
        .size:           2
        .value_kind:     hidden_grid_dims
    .group_segment_fixed_size: 0
    .kernarg_segment_align: 8
    .kernarg_segment_size: 376
    .language:       OpenCL C
    .language_version:
      - 2
      - 0
    .max_flat_workgroup_size: 1024
    .name:           _ZN2at6native12_GLOBAL__N_129segment_reduce_forward_kernelIfiEEvNS0_13ReductionTypeEPT_PKS4_PKT0_SA_llbS4_lllllll
    .private_segment_fixed_size: 0
    .sgpr_count:     34
    .sgpr_spill_count: 0
    .symbol:         _ZN2at6native12_GLOBAL__N_129segment_reduce_forward_kernelIfiEEvNS0_13ReductionTypeEPT_PKS4_PKT0_SA_llbS4_lllllll.kd
    .uniform_work_group_size: 1
    .uses_dynamic_stack: false
    .vgpr_count:     21
    .vgpr_spill_count: 0
    .wavefront_size: 32
    .workgroup_processor_mode: 1
  - .args:
      - .offset:         0
        .size:           48
        .value_kind:     by_value
    .group_segment_fixed_size: 0
    .kernarg_segment_align: 8
    .kernarg_segment_size: 48
    .language:       OpenCL C
    .language_version:
      - 2
      - 0
    .max_flat_workgroup_size: 256
    .name:           _ZN7rocprim17ROCPRIM_400000_NS6detail17trampoline_kernelINS0_14default_configENS1_32segmented_reduce_config_selectorIfEEZNS1_21segmented_reduce_implIS3_PKfPfPKifN6hipcub16HIPCUB_304000_NS6detail27convert_result_type_wrapperIS8_S9_N2at6native12_GLOBAL__N_19CustomMaxEEEEE10hipError_tPvRmT0_T1_jT2_SQ_T4_T3_P12ihipStream_tbEUlT_E_NS1_11comp_targetILNS1_3genE0ELNS1_11target_archE4294967295ELNS1_3gpuE0ELNS1_3repE0EEENS1_30default_config_static_selectorELNS0_4arch9wavefront6targetE0EEEvSP_
    .private_segment_fixed_size: 0
    .sgpr_count:     0
    .sgpr_spill_count: 0
    .symbol:         _ZN7rocprim17ROCPRIM_400000_NS6detail17trampoline_kernelINS0_14default_configENS1_32segmented_reduce_config_selectorIfEEZNS1_21segmented_reduce_implIS3_PKfPfPKifN6hipcub16HIPCUB_304000_NS6detail27convert_result_type_wrapperIS8_S9_N2at6native12_GLOBAL__N_19CustomMaxEEEEE10hipError_tPvRmT0_T1_jT2_SQ_T4_T3_P12ihipStream_tbEUlT_E_NS1_11comp_targetILNS1_3genE0ELNS1_11target_archE4294967295ELNS1_3gpuE0ELNS1_3repE0EEENS1_30default_config_static_selectorELNS0_4arch9wavefront6targetE0EEEvSP_.kd
    .uniform_work_group_size: 1
    .uses_dynamic_stack: false
    .vgpr_count:     0
    .vgpr_spill_count: 0
    .wavefront_size: 32
    .workgroup_processor_mode: 1
  - .args:
      - .offset:         0
        .size:           48
        .value_kind:     by_value
    .group_segment_fixed_size: 0
    .kernarg_segment_align: 8
    .kernarg_segment_size: 48
    .language:       OpenCL C
    .language_version:
      - 2
      - 0
    .max_flat_workgroup_size: 256
    .name:           _ZN7rocprim17ROCPRIM_400000_NS6detail17trampoline_kernelINS0_14default_configENS1_32segmented_reduce_config_selectorIfEEZNS1_21segmented_reduce_implIS3_PKfPfPKifN6hipcub16HIPCUB_304000_NS6detail27convert_result_type_wrapperIS8_S9_N2at6native12_GLOBAL__N_19CustomMaxEEEEE10hipError_tPvRmT0_T1_jT2_SQ_T4_T3_P12ihipStream_tbEUlT_E_NS1_11comp_targetILNS1_3genE5ELNS1_11target_archE942ELNS1_3gpuE9ELNS1_3repE0EEENS1_30default_config_static_selectorELNS0_4arch9wavefront6targetE0EEEvSP_
    .private_segment_fixed_size: 0
    .sgpr_count:     0
    .sgpr_spill_count: 0
    .symbol:         _ZN7rocprim17ROCPRIM_400000_NS6detail17trampoline_kernelINS0_14default_configENS1_32segmented_reduce_config_selectorIfEEZNS1_21segmented_reduce_implIS3_PKfPfPKifN6hipcub16HIPCUB_304000_NS6detail27convert_result_type_wrapperIS8_S9_N2at6native12_GLOBAL__N_19CustomMaxEEEEE10hipError_tPvRmT0_T1_jT2_SQ_T4_T3_P12ihipStream_tbEUlT_E_NS1_11comp_targetILNS1_3genE5ELNS1_11target_archE942ELNS1_3gpuE9ELNS1_3repE0EEENS1_30default_config_static_selectorELNS0_4arch9wavefront6targetE0EEEvSP_.kd
    .uniform_work_group_size: 1
    .uses_dynamic_stack: false
    .vgpr_count:     0
    .vgpr_spill_count: 0
    .wavefront_size: 32
    .workgroup_processor_mode: 1
  - .args:
      - .offset:         0
        .size:           48
        .value_kind:     by_value
    .group_segment_fixed_size: 0
    .kernarg_segment_align: 8
    .kernarg_segment_size: 48
    .language:       OpenCL C
    .language_version:
      - 2
      - 0
    .max_flat_workgroup_size: 256
    .name:           _ZN7rocprim17ROCPRIM_400000_NS6detail17trampoline_kernelINS0_14default_configENS1_32segmented_reduce_config_selectorIfEEZNS1_21segmented_reduce_implIS3_PKfPfPKifN6hipcub16HIPCUB_304000_NS6detail27convert_result_type_wrapperIS8_S9_N2at6native12_GLOBAL__N_19CustomMaxEEEEE10hipError_tPvRmT0_T1_jT2_SQ_T4_T3_P12ihipStream_tbEUlT_E_NS1_11comp_targetILNS1_3genE10ELNS1_11target_archE1201ELNS1_3gpuE5ELNS1_3repE0EEENS1_30default_config_static_selectorELNS0_4arch9wavefront6targetE0EEEvSP_
    .private_segment_fixed_size: 0
    .sgpr_count:     0
    .sgpr_spill_count: 0
    .symbol:         _ZN7rocprim17ROCPRIM_400000_NS6detail17trampoline_kernelINS0_14default_configENS1_32segmented_reduce_config_selectorIfEEZNS1_21segmented_reduce_implIS3_PKfPfPKifN6hipcub16HIPCUB_304000_NS6detail27convert_result_type_wrapperIS8_S9_N2at6native12_GLOBAL__N_19CustomMaxEEEEE10hipError_tPvRmT0_T1_jT2_SQ_T4_T3_P12ihipStream_tbEUlT_E_NS1_11comp_targetILNS1_3genE10ELNS1_11target_archE1201ELNS1_3gpuE5ELNS1_3repE0EEENS1_30default_config_static_selectorELNS0_4arch9wavefront6targetE0EEEvSP_.kd
    .uniform_work_group_size: 1
    .uses_dynamic_stack: false
    .vgpr_count:     0
    .vgpr_spill_count: 0
    .wavefront_size: 32
    .workgroup_processor_mode: 1
  - .args:
      - .offset:         0
        .size:           48
        .value_kind:     by_value
    .group_segment_fixed_size: 0
    .kernarg_segment_align: 8
    .kernarg_segment_size: 48
    .language:       OpenCL C
    .language_version:
      - 2
      - 0
    .max_flat_workgroup_size: 256
    .name:           _ZN7rocprim17ROCPRIM_400000_NS6detail17trampoline_kernelINS0_14default_configENS1_32segmented_reduce_config_selectorIfEEZNS1_21segmented_reduce_implIS3_PKfPfPKifN6hipcub16HIPCUB_304000_NS6detail27convert_result_type_wrapperIS8_S9_N2at6native12_GLOBAL__N_19CustomMaxEEEEE10hipError_tPvRmT0_T1_jT2_SQ_T4_T3_P12ihipStream_tbEUlT_E_NS1_11comp_targetILNS1_3genE4ELNS1_11target_archE910ELNS1_3gpuE8ELNS1_3repE0EEENS1_30default_config_static_selectorELNS0_4arch9wavefront6targetE0EEEvSP_
    .private_segment_fixed_size: 0
    .sgpr_count:     0
    .sgpr_spill_count: 0
    .symbol:         _ZN7rocprim17ROCPRIM_400000_NS6detail17trampoline_kernelINS0_14default_configENS1_32segmented_reduce_config_selectorIfEEZNS1_21segmented_reduce_implIS3_PKfPfPKifN6hipcub16HIPCUB_304000_NS6detail27convert_result_type_wrapperIS8_S9_N2at6native12_GLOBAL__N_19CustomMaxEEEEE10hipError_tPvRmT0_T1_jT2_SQ_T4_T3_P12ihipStream_tbEUlT_E_NS1_11comp_targetILNS1_3genE4ELNS1_11target_archE910ELNS1_3gpuE8ELNS1_3repE0EEENS1_30default_config_static_selectorELNS0_4arch9wavefront6targetE0EEEvSP_.kd
    .uniform_work_group_size: 1
    .uses_dynamic_stack: false
    .vgpr_count:     0
    .vgpr_spill_count: 0
    .wavefront_size: 32
    .workgroup_processor_mode: 1
  - .args:
      - .offset:         0
        .size:           48
        .value_kind:     by_value
    .group_segment_fixed_size: 0
    .kernarg_segment_align: 8
    .kernarg_segment_size: 48
    .language:       OpenCL C
    .language_version:
      - 2
      - 0
    .max_flat_workgroup_size: 256
    .name:           _ZN7rocprim17ROCPRIM_400000_NS6detail17trampoline_kernelINS0_14default_configENS1_32segmented_reduce_config_selectorIfEEZNS1_21segmented_reduce_implIS3_PKfPfPKifN6hipcub16HIPCUB_304000_NS6detail27convert_result_type_wrapperIS8_S9_N2at6native12_GLOBAL__N_19CustomMaxEEEEE10hipError_tPvRmT0_T1_jT2_SQ_T4_T3_P12ihipStream_tbEUlT_E_NS1_11comp_targetILNS1_3genE3ELNS1_11target_archE908ELNS1_3gpuE7ELNS1_3repE0EEENS1_30default_config_static_selectorELNS0_4arch9wavefront6targetE0EEEvSP_
    .private_segment_fixed_size: 0
    .sgpr_count:     0
    .sgpr_spill_count: 0
    .symbol:         _ZN7rocprim17ROCPRIM_400000_NS6detail17trampoline_kernelINS0_14default_configENS1_32segmented_reduce_config_selectorIfEEZNS1_21segmented_reduce_implIS3_PKfPfPKifN6hipcub16HIPCUB_304000_NS6detail27convert_result_type_wrapperIS8_S9_N2at6native12_GLOBAL__N_19CustomMaxEEEEE10hipError_tPvRmT0_T1_jT2_SQ_T4_T3_P12ihipStream_tbEUlT_E_NS1_11comp_targetILNS1_3genE3ELNS1_11target_archE908ELNS1_3gpuE7ELNS1_3repE0EEENS1_30default_config_static_selectorELNS0_4arch9wavefront6targetE0EEEvSP_.kd
    .uniform_work_group_size: 1
    .uses_dynamic_stack: false
    .vgpr_count:     0
    .vgpr_spill_count: 0
    .wavefront_size: 32
    .workgroup_processor_mode: 1
  - .args:
      - .offset:         0
        .size:           48
        .value_kind:     by_value
    .group_segment_fixed_size: 0
    .kernarg_segment_align: 8
    .kernarg_segment_size: 48
    .language:       OpenCL C
    .language_version:
      - 2
      - 0
    .max_flat_workgroup_size: 256
    .name:           _ZN7rocprim17ROCPRIM_400000_NS6detail17trampoline_kernelINS0_14default_configENS1_32segmented_reduce_config_selectorIfEEZNS1_21segmented_reduce_implIS3_PKfPfPKifN6hipcub16HIPCUB_304000_NS6detail27convert_result_type_wrapperIS8_S9_N2at6native12_GLOBAL__N_19CustomMaxEEEEE10hipError_tPvRmT0_T1_jT2_SQ_T4_T3_P12ihipStream_tbEUlT_E_NS1_11comp_targetILNS1_3genE2ELNS1_11target_archE906ELNS1_3gpuE6ELNS1_3repE0EEENS1_30default_config_static_selectorELNS0_4arch9wavefront6targetE0EEEvSP_
    .private_segment_fixed_size: 0
    .sgpr_count:     0
    .sgpr_spill_count: 0
    .symbol:         _ZN7rocprim17ROCPRIM_400000_NS6detail17trampoline_kernelINS0_14default_configENS1_32segmented_reduce_config_selectorIfEEZNS1_21segmented_reduce_implIS3_PKfPfPKifN6hipcub16HIPCUB_304000_NS6detail27convert_result_type_wrapperIS8_S9_N2at6native12_GLOBAL__N_19CustomMaxEEEEE10hipError_tPvRmT0_T1_jT2_SQ_T4_T3_P12ihipStream_tbEUlT_E_NS1_11comp_targetILNS1_3genE2ELNS1_11target_archE906ELNS1_3gpuE6ELNS1_3repE0EEENS1_30default_config_static_selectorELNS0_4arch9wavefront6targetE0EEEvSP_.kd
    .uniform_work_group_size: 1
    .uses_dynamic_stack: false
    .vgpr_count:     0
    .vgpr_spill_count: 0
    .wavefront_size: 32
    .workgroup_processor_mode: 1
  - .args:
      - .offset:         0
        .size:           48
        .value_kind:     by_value
    .group_segment_fixed_size: 32
    .kernarg_segment_align: 8
    .kernarg_segment_size: 48
    .language:       OpenCL C
    .language_version:
      - 2
      - 0
    .max_flat_workgroup_size: 256
    .name:           _ZN7rocprim17ROCPRIM_400000_NS6detail17trampoline_kernelINS0_14default_configENS1_32segmented_reduce_config_selectorIfEEZNS1_21segmented_reduce_implIS3_PKfPfPKifN6hipcub16HIPCUB_304000_NS6detail27convert_result_type_wrapperIS8_S9_N2at6native12_GLOBAL__N_19CustomMaxEEEEE10hipError_tPvRmT0_T1_jT2_SQ_T4_T3_P12ihipStream_tbEUlT_E_NS1_11comp_targetILNS1_3genE9ELNS1_11target_archE1100ELNS1_3gpuE3ELNS1_3repE0EEENS1_30default_config_static_selectorELNS0_4arch9wavefront6targetE0EEEvSP_
    .private_segment_fixed_size: 0
    .sgpr_count:     20
    .sgpr_spill_count: 0
    .symbol:         _ZN7rocprim17ROCPRIM_400000_NS6detail17trampoline_kernelINS0_14default_configENS1_32segmented_reduce_config_selectorIfEEZNS1_21segmented_reduce_implIS3_PKfPfPKifN6hipcub16HIPCUB_304000_NS6detail27convert_result_type_wrapperIS8_S9_N2at6native12_GLOBAL__N_19CustomMaxEEEEE10hipError_tPvRmT0_T1_jT2_SQ_T4_T3_P12ihipStream_tbEUlT_E_NS1_11comp_targetILNS1_3genE9ELNS1_11target_archE1100ELNS1_3gpuE3ELNS1_3repE0EEENS1_30default_config_static_selectorELNS0_4arch9wavefront6targetE0EEEvSP_.kd
    .uniform_work_group_size: 1
    .uses_dynamic_stack: false
    .vgpr_count:     33
    .vgpr_spill_count: 0
    .wavefront_size: 32
    .workgroup_processor_mode: 1
  - .args:
      - .offset:         0
        .size:           48
        .value_kind:     by_value
    .group_segment_fixed_size: 0
    .kernarg_segment_align: 8
    .kernarg_segment_size: 48
    .language:       OpenCL C
    .language_version:
      - 2
      - 0
    .max_flat_workgroup_size: 256
    .name:           _ZN7rocprim17ROCPRIM_400000_NS6detail17trampoline_kernelINS0_14default_configENS1_32segmented_reduce_config_selectorIfEEZNS1_21segmented_reduce_implIS3_PKfPfPKifN6hipcub16HIPCUB_304000_NS6detail27convert_result_type_wrapperIS8_S9_N2at6native12_GLOBAL__N_19CustomMaxEEEEE10hipError_tPvRmT0_T1_jT2_SQ_T4_T3_P12ihipStream_tbEUlT_E_NS1_11comp_targetILNS1_3genE8ELNS1_11target_archE1030ELNS1_3gpuE2ELNS1_3repE0EEENS1_30default_config_static_selectorELNS0_4arch9wavefront6targetE0EEEvSP_
    .private_segment_fixed_size: 0
    .sgpr_count:     0
    .sgpr_spill_count: 0
    .symbol:         _ZN7rocprim17ROCPRIM_400000_NS6detail17trampoline_kernelINS0_14default_configENS1_32segmented_reduce_config_selectorIfEEZNS1_21segmented_reduce_implIS3_PKfPfPKifN6hipcub16HIPCUB_304000_NS6detail27convert_result_type_wrapperIS8_S9_N2at6native12_GLOBAL__N_19CustomMaxEEEEE10hipError_tPvRmT0_T1_jT2_SQ_T4_T3_P12ihipStream_tbEUlT_E_NS1_11comp_targetILNS1_3genE8ELNS1_11target_archE1030ELNS1_3gpuE2ELNS1_3repE0EEENS1_30default_config_static_selectorELNS0_4arch9wavefront6targetE0EEEvSP_.kd
    .uniform_work_group_size: 1
    .uses_dynamic_stack: false
    .vgpr_count:     0
    .vgpr_spill_count: 0
    .wavefront_size: 32
    .workgroup_processor_mode: 1
  - .args:
      - .offset:         0
        .size:           48
        .value_kind:     by_value
    .group_segment_fixed_size: 0
    .kernarg_segment_align: 8
    .kernarg_segment_size: 48
    .language:       OpenCL C
    .language_version:
      - 2
      - 0
    .max_flat_workgroup_size: 256
    .name:           _ZN7rocprim17ROCPRIM_400000_NS6detail17trampoline_kernelINS0_14default_configENS1_32segmented_reduce_config_selectorIfEEZNS1_21segmented_reduce_implIS3_PKfPfPKifN6hipcub16HIPCUB_304000_NS6detail27convert_result_type_wrapperIS8_S9_N2at6native12_GLOBAL__N_19CustomSumEEEEE10hipError_tPvRmT0_T1_jT2_SQ_T4_T3_P12ihipStream_tbEUlT_E_NS1_11comp_targetILNS1_3genE0ELNS1_11target_archE4294967295ELNS1_3gpuE0ELNS1_3repE0EEENS1_30default_config_static_selectorELNS0_4arch9wavefront6targetE0EEEvSP_
    .private_segment_fixed_size: 0
    .sgpr_count:     0
    .sgpr_spill_count: 0
    .symbol:         _ZN7rocprim17ROCPRIM_400000_NS6detail17trampoline_kernelINS0_14default_configENS1_32segmented_reduce_config_selectorIfEEZNS1_21segmented_reduce_implIS3_PKfPfPKifN6hipcub16HIPCUB_304000_NS6detail27convert_result_type_wrapperIS8_S9_N2at6native12_GLOBAL__N_19CustomSumEEEEE10hipError_tPvRmT0_T1_jT2_SQ_T4_T3_P12ihipStream_tbEUlT_E_NS1_11comp_targetILNS1_3genE0ELNS1_11target_archE4294967295ELNS1_3gpuE0ELNS1_3repE0EEENS1_30default_config_static_selectorELNS0_4arch9wavefront6targetE0EEEvSP_.kd
    .uniform_work_group_size: 1
    .uses_dynamic_stack: false
    .vgpr_count:     0
    .vgpr_spill_count: 0
    .wavefront_size: 32
    .workgroup_processor_mode: 1
  - .args:
      - .offset:         0
        .size:           48
        .value_kind:     by_value
    .group_segment_fixed_size: 0
    .kernarg_segment_align: 8
    .kernarg_segment_size: 48
    .language:       OpenCL C
    .language_version:
      - 2
      - 0
    .max_flat_workgroup_size: 256
    .name:           _ZN7rocprim17ROCPRIM_400000_NS6detail17trampoline_kernelINS0_14default_configENS1_32segmented_reduce_config_selectorIfEEZNS1_21segmented_reduce_implIS3_PKfPfPKifN6hipcub16HIPCUB_304000_NS6detail27convert_result_type_wrapperIS8_S9_N2at6native12_GLOBAL__N_19CustomSumEEEEE10hipError_tPvRmT0_T1_jT2_SQ_T4_T3_P12ihipStream_tbEUlT_E_NS1_11comp_targetILNS1_3genE5ELNS1_11target_archE942ELNS1_3gpuE9ELNS1_3repE0EEENS1_30default_config_static_selectorELNS0_4arch9wavefront6targetE0EEEvSP_
    .private_segment_fixed_size: 0
    .sgpr_count:     0
    .sgpr_spill_count: 0
    .symbol:         _ZN7rocprim17ROCPRIM_400000_NS6detail17trampoline_kernelINS0_14default_configENS1_32segmented_reduce_config_selectorIfEEZNS1_21segmented_reduce_implIS3_PKfPfPKifN6hipcub16HIPCUB_304000_NS6detail27convert_result_type_wrapperIS8_S9_N2at6native12_GLOBAL__N_19CustomSumEEEEE10hipError_tPvRmT0_T1_jT2_SQ_T4_T3_P12ihipStream_tbEUlT_E_NS1_11comp_targetILNS1_3genE5ELNS1_11target_archE942ELNS1_3gpuE9ELNS1_3repE0EEENS1_30default_config_static_selectorELNS0_4arch9wavefront6targetE0EEEvSP_.kd
    .uniform_work_group_size: 1
    .uses_dynamic_stack: false
    .vgpr_count:     0
    .vgpr_spill_count: 0
    .wavefront_size: 32
    .workgroup_processor_mode: 1
  - .args:
      - .offset:         0
        .size:           48
        .value_kind:     by_value
    .group_segment_fixed_size: 0
    .kernarg_segment_align: 8
    .kernarg_segment_size: 48
    .language:       OpenCL C
    .language_version:
      - 2
      - 0
    .max_flat_workgroup_size: 256
    .name:           _ZN7rocprim17ROCPRIM_400000_NS6detail17trampoline_kernelINS0_14default_configENS1_32segmented_reduce_config_selectorIfEEZNS1_21segmented_reduce_implIS3_PKfPfPKifN6hipcub16HIPCUB_304000_NS6detail27convert_result_type_wrapperIS8_S9_N2at6native12_GLOBAL__N_19CustomSumEEEEE10hipError_tPvRmT0_T1_jT2_SQ_T4_T3_P12ihipStream_tbEUlT_E_NS1_11comp_targetILNS1_3genE10ELNS1_11target_archE1201ELNS1_3gpuE5ELNS1_3repE0EEENS1_30default_config_static_selectorELNS0_4arch9wavefront6targetE0EEEvSP_
    .private_segment_fixed_size: 0
    .sgpr_count:     0
    .sgpr_spill_count: 0
    .symbol:         _ZN7rocprim17ROCPRIM_400000_NS6detail17trampoline_kernelINS0_14default_configENS1_32segmented_reduce_config_selectorIfEEZNS1_21segmented_reduce_implIS3_PKfPfPKifN6hipcub16HIPCUB_304000_NS6detail27convert_result_type_wrapperIS8_S9_N2at6native12_GLOBAL__N_19CustomSumEEEEE10hipError_tPvRmT0_T1_jT2_SQ_T4_T3_P12ihipStream_tbEUlT_E_NS1_11comp_targetILNS1_3genE10ELNS1_11target_archE1201ELNS1_3gpuE5ELNS1_3repE0EEENS1_30default_config_static_selectorELNS0_4arch9wavefront6targetE0EEEvSP_.kd
    .uniform_work_group_size: 1
    .uses_dynamic_stack: false
    .vgpr_count:     0
    .vgpr_spill_count: 0
    .wavefront_size: 32
    .workgroup_processor_mode: 1
  - .args:
      - .offset:         0
        .size:           48
        .value_kind:     by_value
    .group_segment_fixed_size: 0
    .kernarg_segment_align: 8
    .kernarg_segment_size: 48
    .language:       OpenCL C
    .language_version:
      - 2
      - 0
    .max_flat_workgroup_size: 256
    .name:           _ZN7rocprim17ROCPRIM_400000_NS6detail17trampoline_kernelINS0_14default_configENS1_32segmented_reduce_config_selectorIfEEZNS1_21segmented_reduce_implIS3_PKfPfPKifN6hipcub16HIPCUB_304000_NS6detail27convert_result_type_wrapperIS8_S9_N2at6native12_GLOBAL__N_19CustomSumEEEEE10hipError_tPvRmT0_T1_jT2_SQ_T4_T3_P12ihipStream_tbEUlT_E_NS1_11comp_targetILNS1_3genE4ELNS1_11target_archE910ELNS1_3gpuE8ELNS1_3repE0EEENS1_30default_config_static_selectorELNS0_4arch9wavefront6targetE0EEEvSP_
    .private_segment_fixed_size: 0
    .sgpr_count:     0
    .sgpr_spill_count: 0
    .symbol:         _ZN7rocprim17ROCPRIM_400000_NS6detail17trampoline_kernelINS0_14default_configENS1_32segmented_reduce_config_selectorIfEEZNS1_21segmented_reduce_implIS3_PKfPfPKifN6hipcub16HIPCUB_304000_NS6detail27convert_result_type_wrapperIS8_S9_N2at6native12_GLOBAL__N_19CustomSumEEEEE10hipError_tPvRmT0_T1_jT2_SQ_T4_T3_P12ihipStream_tbEUlT_E_NS1_11comp_targetILNS1_3genE4ELNS1_11target_archE910ELNS1_3gpuE8ELNS1_3repE0EEENS1_30default_config_static_selectorELNS0_4arch9wavefront6targetE0EEEvSP_.kd
    .uniform_work_group_size: 1
    .uses_dynamic_stack: false
    .vgpr_count:     0
    .vgpr_spill_count: 0
    .wavefront_size: 32
    .workgroup_processor_mode: 1
  - .args:
      - .offset:         0
        .size:           48
        .value_kind:     by_value
    .group_segment_fixed_size: 0
    .kernarg_segment_align: 8
    .kernarg_segment_size: 48
    .language:       OpenCL C
    .language_version:
      - 2
      - 0
    .max_flat_workgroup_size: 256
    .name:           _ZN7rocprim17ROCPRIM_400000_NS6detail17trampoline_kernelINS0_14default_configENS1_32segmented_reduce_config_selectorIfEEZNS1_21segmented_reduce_implIS3_PKfPfPKifN6hipcub16HIPCUB_304000_NS6detail27convert_result_type_wrapperIS8_S9_N2at6native12_GLOBAL__N_19CustomSumEEEEE10hipError_tPvRmT0_T1_jT2_SQ_T4_T3_P12ihipStream_tbEUlT_E_NS1_11comp_targetILNS1_3genE3ELNS1_11target_archE908ELNS1_3gpuE7ELNS1_3repE0EEENS1_30default_config_static_selectorELNS0_4arch9wavefront6targetE0EEEvSP_
    .private_segment_fixed_size: 0
    .sgpr_count:     0
    .sgpr_spill_count: 0
    .symbol:         _ZN7rocprim17ROCPRIM_400000_NS6detail17trampoline_kernelINS0_14default_configENS1_32segmented_reduce_config_selectorIfEEZNS1_21segmented_reduce_implIS3_PKfPfPKifN6hipcub16HIPCUB_304000_NS6detail27convert_result_type_wrapperIS8_S9_N2at6native12_GLOBAL__N_19CustomSumEEEEE10hipError_tPvRmT0_T1_jT2_SQ_T4_T3_P12ihipStream_tbEUlT_E_NS1_11comp_targetILNS1_3genE3ELNS1_11target_archE908ELNS1_3gpuE7ELNS1_3repE0EEENS1_30default_config_static_selectorELNS0_4arch9wavefront6targetE0EEEvSP_.kd
    .uniform_work_group_size: 1
    .uses_dynamic_stack: false
    .vgpr_count:     0
    .vgpr_spill_count: 0
    .wavefront_size: 32
    .workgroup_processor_mode: 1
  - .args:
      - .offset:         0
        .size:           48
        .value_kind:     by_value
    .group_segment_fixed_size: 0
    .kernarg_segment_align: 8
    .kernarg_segment_size: 48
    .language:       OpenCL C
    .language_version:
      - 2
      - 0
    .max_flat_workgroup_size: 256
    .name:           _ZN7rocprim17ROCPRIM_400000_NS6detail17trampoline_kernelINS0_14default_configENS1_32segmented_reduce_config_selectorIfEEZNS1_21segmented_reduce_implIS3_PKfPfPKifN6hipcub16HIPCUB_304000_NS6detail27convert_result_type_wrapperIS8_S9_N2at6native12_GLOBAL__N_19CustomSumEEEEE10hipError_tPvRmT0_T1_jT2_SQ_T4_T3_P12ihipStream_tbEUlT_E_NS1_11comp_targetILNS1_3genE2ELNS1_11target_archE906ELNS1_3gpuE6ELNS1_3repE0EEENS1_30default_config_static_selectorELNS0_4arch9wavefront6targetE0EEEvSP_
    .private_segment_fixed_size: 0
    .sgpr_count:     0
    .sgpr_spill_count: 0
    .symbol:         _ZN7rocprim17ROCPRIM_400000_NS6detail17trampoline_kernelINS0_14default_configENS1_32segmented_reduce_config_selectorIfEEZNS1_21segmented_reduce_implIS3_PKfPfPKifN6hipcub16HIPCUB_304000_NS6detail27convert_result_type_wrapperIS8_S9_N2at6native12_GLOBAL__N_19CustomSumEEEEE10hipError_tPvRmT0_T1_jT2_SQ_T4_T3_P12ihipStream_tbEUlT_E_NS1_11comp_targetILNS1_3genE2ELNS1_11target_archE906ELNS1_3gpuE6ELNS1_3repE0EEENS1_30default_config_static_selectorELNS0_4arch9wavefront6targetE0EEEvSP_.kd
    .uniform_work_group_size: 1
    .uses_dynamic_stack: false
    .vgpr_count:     0
    .vgpr_spill_count: 0
    .wavefront_size: 32
    .workgroup_processor_mode: 1
  - .args:
      - .offset:         0
        .size:           48
        .value_kind:     by_value
    .group_segment_fixed_size: 32
    .kernarg_segment_align: 8
    .kernarg_segment_size: 48
    .language:       OpenCL C
    .language_version:
      - 2
      - 0
    .max_flat_workgroup_size: 256
    .name:           _ZN7rocprim17ROCPRIM_400000_NS6detail17trampoline_kernelINS0_14default_configENS1_32segmented_reduce_config_selectorIfEEZNS1_21segmented_reduce_implIS3_PKfPfPKifN6hipcub16HIPCUB_304000_NS6detail27convert_result_type_wrapperIS8_S9_N2at6native12_GLOBAL__N_19CustomSumEEEEE10hipError_tPvRmT0_T1_jT2_SQ_T4_T3_P12ihipStream_tbEUlT_E_NS1_11comp_targetILNS1_3genE9ELNS1_11target_archE1100ELNS1_3gpuE3ELNS1_3repE0EEENS1_30default_config_static_selectorELNS0_4arch9wavefront6targetE0EEEvSP_
    .private_segment_fixed_size: 0
    .sgpr_count:     32
    .sgpr_spill_count: 0
    .symbol:         _ZN7rocprim17ROCPRIM_400000_NS6detail17trampoline_kernelINS0_14default_configENS1_32segmented_reduce_config_selectorIfEEZNS1_21segmented_reduce_implIS3_PKfPfPKifN6hipcub16HIPCUB_304000_NS6detail27convert_result_type_wrapperIS8_S9_N2at6native12_GLOBAL__N_19CustomSumEEEEE10hipError_tPvRmT0_T1_jT2_SQ_T4_T3_P12ihipStream_tbEUlT_E_NS1_11comp_targetILNS1_3genE9ELNS1_11target_archE1100ELNS1_3gpuE3ELNS1_3repE0EEENS1_30default_config_static_selectorELNS0_4arch9wavefront6targetE0EEEvSP_.kd
    .uniform_work_group_size: 1
    .uses_dynamic_stack: false
    .vgpr_count:     23
    .vgpr_spill_count: 0
    .wavefront_size: 32
    .workgroup_processor_mode: 1
  - .args:
      - .offset:         0
        .size:           48
        .value_kind:     by_value
    .group_segment_fixed_size: 0
    .kernarg_segment_align: 8
    .kernarg_segment_size: 48
    .language:       OpenCL C
    .language_version:
      - 2
      - 0
    .max_flat_workgroup_size: 256
    .name:           _ZN7rocprim17ROCPRIM_400000_NS6detail17trampoline_kernelINS0_14default_configENS1_32segmented_reduce_config_selectorIfEEZNS1_21segmented_reduce_implIS3_PKfPfPKifN6hipcub16HIPCUB_304000_NS6detail27convert_result_type_wrapperIS8_S9_N2at6native12_GLOBAL__N_19CustomSumEEEEE10hipError_tPvRmT0_T1_jT2_SQ_T4_T3_P12ihipStream_tbEUlT_E_NS1_11comp_targetILNS1_3genE8ELNS1_11target_archE1030ELNS1_3gpuE2ELNS1_3repE0EEENS1_30default_config_static_selectorELNS0_4arch9wavefront6targetE0EEEvSP_
    .private_segment_fixed_size: 0
    .sgpr_count:     0
    .sgpr_spill_count: 0
    .symbol:         _ZN7rocprim17ROCPRIM_400000_NS6detail17trampoline_kernelINS0_14default_configENS1_32segmented_reduce_config_selectorIfEEZNS1_21segmented_reduce_implIS3_PKfPfPKifN6hipcub16HIPCUB_304000_NS6detail27convert_result_type_wrapperIS8_S9_N2at6native12_GLOBAL__N_19CustomSumEEEEE10hipError_tPvRmT0_T1_jT2_SQ_T4_T3_P12ihipStream_tbEUlT_E_NS1_11comp_targetILNS1_3genE8ELNS1_11target_archE1030ELNS1_3gpuE2ELNS1_3repE0EEENS1_30default_config_static_selectorELNS0_4arch9wavefront6targetE0EEEvSP_.kd
    .uniform_work_group_size: 1
    .uses_dynamic_stack: false
    .vgpr_count:     0
    .vgpr_spill_count: 0
    .wavefront_size: 32
    .workgroup_processor_mode: 1
  - .args:
      - .address_space:  global
        .offset:         0
        .size:           8
        .value_kind:     global_buffer
      - .address_space:  global
        .offset:         8
        .size:           8
        .value_kind:     global_buffer
      - .offset:         16
        .size:           8
        .value_kind:     by_value
      - .offset:         24
        .size:           1
        .value_kind:     by_value
      - .offset:         28
        .size:           4
        .value_kind:     by_value
      - .offset:         32
        .size:           4
        .value_kind:     hidden_block_count_x
      - .offset:         36
        .size:           4
        .value_kind:     hidden_block_count_y
      - .offset:         40
        .size:           4
        .value_kind:     hidden_block_count_z
      - .offset:         44
        .size:           2
        .value_kind:     hidden_group_size_x
      - .offset:         46
        .size:           2
        .value_kind:     hidden_group_size_y
      - .offset:         48
        .size:           2
        .value_kind:     hidden_group_size_z
      - .offset:         50
        .size:           2
        .value_kind:     hidden_remainder_x
      - .offset:         52
        .size:           2
        .value_kind:     hidden_remainder_y
      - .offset:         54
        .size:           2
        .value_kind:     hidden_remainder_z
      - .offset:         72
        .size:           8
        .value_kind:     hidden_global_offset_x
      - .offset:         80
        .size:           8
        .value_kind:     hidden_global_offset_y
      - .offset:         88
        .size:           8
        .value_kind:     hidden_global_offset_z
      - .offset:         96
        .size:           2
        .value_kind:     hidden_grid_dims
    .group_segment_fixed_size: 0
    .kernarg_segment_align: 8
    .kernarg_segment_size: 288
    .language:       OpenCL C
    .language_version:
      - 2
      - 0
    .max_flat_workgroup_size: 1024
    .name:           _ZN2at6native12_GLOBAL__N_119post_sum_div_kernelIfiEEvPT_PKT0_lbS3_
    .private_segment_fixed_size: 0
    .sgpr_count:     18
    .sgpr_spill_count: 0
    .symbol:         _ZN2at6native12_GLOBAL__N_119post_sum_div_kernelIfiEEvPT_PKT0_lbS3_.kd
    .uniform_work_group_size: 1
    .uses_dynamic_stack: false
    .vgpr_count:     14
    .vgpr_spill_count: 0
    .wavefront_size: 32
    .workgroup_processor_mode: 1
  - .args:
      - .offset:         0
        .size:           48
        .value_kind:     by_value
    .group_segment_fixed_size: 0
    .kernarg_segment_align: 8
    .kernarg_segment_size: 48
    .language:       OpenCL C
    .language_version:
      - 2
      - 0
    .max_flat_workgroup_size: 256
    .name:           _ZN7rocprim17ROCPRIM_400000_NS6detail17trampoline_kernelINS0_14default_configENS1_32segmented_reduce_config_selectorIfEEZNS1_21segmented_reduce_implIS3_PKfPfPKifN6hipcub16HIPCUB_304000_NS6detail27convert_result_type_wrapperIS8_S9_N2at6native12_GLOBAL__N_19CustomMinEEEEE10hipError_tPvRmT0_T1_jT2_SQ_T4_T3_P12ihipStream_tbEUlT_E_NS1_11comp_targetILNS1_3genE0ELNS1_11target_archE4294967295ELNS1_3gpuE0ELNS1_3repE0EEENS1_30default_config_static_selectorELNS0_4arch9wavefront6targetE0EEEvSP_
    .private_segment_fixed_size: 0
    .sgpr_count:     0
    .sgpr_spill_count: 0
    .symbol:         _ZN7rocprim17ROCPRIM_400000_NS6detail17trampoline_kernelINS0_14default_configENS1_32segmented_reduce_config_selectorIfEEZNS1_21segmented_reduce_implIS3_PKfPfPKifN6hipcub16HIPCUB_304000_NS6detail27convert_result_type_wrapperIS8_S9_N2at6native12_GLOBAL__N_19CustomMinEEEEE10hipError_tPvRmT0_T1_jT2_SQ_T4_T3_P12ihipStream_tbEUlT_E_NS1_11comp_targetILNS1_3genE0ELNS1_11target_archE4294967295ELNS1_3gpuE0ELNS1_3repE0EEENS1_30default_config_static_selectorELNS0_4arch9wavefront6targetE0EEEvSP_.kd
    .uniform_work_group_size: 1
    .uses_dynamic_stack: false
    .vgpr_count:     0
    .vgpr_spill_count: 0
    .wavefront_size: 32
    .workgroup_processor_mode: 1
  - .args:
      - .offset:         0
        .size:           48
        .value_kind:     by_value
    .group_segment_fixed_size: 0
    .kernarg_segment_align: 8
    .kernarg_segment_size: 48
    .language:       OpenCL C
    .language_version:
      - 2
      - 0
    .max_flat_workgroup_size: 256
    .name:           _ZN7rocprim17ROCPRIM_400000_NS6detail17trampoline_kernelINS0_14default_configENS1_32segmented_reduce_config_selectorIfEEZNS1_21segmented_reduce_implIS3_PKfPfPKifN6hipcub16HIPCUB_304000_NS6detail27convert_result_type_wrapperIS8_S9_N2at6native12_GLOBAL__N_19CustomMinEEEEE10hipError_tPvRmT0_T1_jT2_SQ_T4_T3_P12ihipStream_tbEUlT_E_NS1_11comp_targetILNS1_3genE5ELNS1_11target_archE942ELNS1_3gpuE9ELNS1_3repE0EEENS1_30default_config_static_selectorELNS0_4arch9wavefront6targetE0EEEvSP_
    .private_segment_fixed_size: 0
    .sgpr_count:     0
    .sgpr_spill_count: 0
    .symbol:         _ZN7rocprim17ROCPRIM_400000_NS6detail17trampoline_kernelINS0_14default_configENS1_32segmented_reduce_config_selectorIfEEZNS1_21segmented_reduce_implIS3_PKfPfPKifN6hipcub16HIPCUB_304000_NS6detail27convert_result_type_wrapperIS8_S9_N2at6native12_GLOBAL__N_19CustomMinEEEEE10hipError_tPvRmT0_T1_jT2_SQ_T4_T3_P12ihipStream_tbEUlT_E_NS1_11comp_targetILNS1_3genE5ELNS1_11target_archE942ELNS1_3gpuE9ELNS1_3repE0EEENS1_30default_config_static_selectorELNS0_4arch9wavefront6targetE0EEEvSP_.kd
    .uniform_work_group_size: 1
    .uses_dynamic_stack: false
    .vgpr_count:     0
    .vgpr_spill_count: 0
    .wavefront_size: 32
    .workgroup_processor_mode: 1
  - .args:
      - .offset:         0
        .size:           48
        .value_kind:     by_value
    .group_segment_fixed_size: 0
    .kernarg_segment_align: 8
    .kernarg_segment_size: 48
    .language:       OpenCL C
    .language_version:
      - 2
      - 0
    .max_flat_workgroup_size: 256
    .name:           _ZN7rocprim17ROCPRIM_400000_NS6detail17trampoline_kernelINS0_14default_configENS1_32segmented_reduce_config_selectorIfEEZNS1_21segmented_reduce_implIS3_PKfPfPKifN6hipcub16HIPCUB_304000_NS6detail27convert_result_type_wrapperIS8_S9_N2at6native12_GLOBAL__N_19CustomMinEEEEE10hipError_tPvRmT0_T1_jT2_SQ_T4_T3_P12ihipStream_tbEUlT_E_NS1_11comp_targetILNS1_3genE10ELNS1_11target_archE1201ELNS1_3gpuE5ELNS1_3repE0EEENS1_30default_config_static_selectorELNS0_4arch9wavefront6targetE0EEEvSP_
    .private_segment_fixed_size: 0
    .sgpr_count:     0
    .sgpr_spill_count: 0
    .symbol:         _ZN7rocprim17ROCPRIM_400000_NS6detail17trampoline_kernelINS0_14default_configENS1_32segmented_reduce_config_selectorIfEEZNS1_21segmented_reduce_implIS3_PKfPfPKifN6hipcub16HIPCUB_304000_NS6detail27convert_result_type_wrapperIS8_S9_N2at6native12_GLOBAL__N_19CustomMinEEEEE10hipError_tPvRmT0_T1_jT2_SQ_T4_T3_P12ihipStream_tbEUlT_E_NS1_11comp_targetILNS1_3genE10ELNS1_11target_archE1201ELNS1_3gpuE5ELNS1_3repE0EEENS1_30default_config_static_selectorELNS0_4arch9wavefront6targetE0EEEvSP_.kd
    .uniform_work_group_size: 1
    .uses_dynamic_stack: false
    .vgpr_count:     0
    .vgpr_spill_count: 0
    .wavefront_size: 32
    .workgroup_processor_mode: 1
  - .args:
      - .offset:         0
        .size:           48
        .value_kind:     by_value
    .group_segment_fixed_size: 0
    .kernarg_segment_align: 8
    .kernarg_segment_size: 48
    .language:       OpenCL C
    .language_version:
      - 2
      - 0
    .max_flat_workgroup_size: 256
    .name:           _ZN7rocprim17ROCPRIM_400000_NS6detail17trampoline_kernelINS0_14default_configENS1_32segmented_reduce_config_selectorIfEEZNS1_21segmented_reduce_implIS3_PKfPfPKifN6hipcub16HIPCUB_304000_NS6detail27convert_result_type_wrapperIS8_S9_N2at6native12_GLOBAL__N_19CustomMinEEEEE10hipError_tPvRmT0_T1_jT2_SQ_T4_T3_P12ihipStream_tbEUlT_E_NS1_11comp_targetILNS1_3genE4ELNS1_11target_archE910ELNS1_3gpuE8ELNS1_3repE0EEENS1_30default_config_static_selectorELNS0_4arch9wavefront6targetE0EEEvSP_
    .private_segment_fixed_size: 0
    .sgpr_count:     0
    .sgpr_spill_count: 0
    .symbol:         _ZN7rocprim17ROCPRIM_400000_NS6detail17trampoline_kernelINS0_14default_configENS1_32segmented_reduce_config_selectorIfEEZNS1_21segmented_reduce_implIS3_PKfPfPKifN6hipcub16HIPCUB_304000_NS6detail27convert_result_type_wrapperIS8_S9_N2at6native12_GLOBAL__N_19CustomMinEEEEE10hipError_tPvRmT0_T1_jT2_SQ_T4_T3_P12ihipStream_tbEUlT_E_NS1_11comp_targetILNS1_3genE4ELNS1_11target_archE910ELNS1_3gpuE8ELNS1_3repE0EEENS1_30default_config_static_selectorELNS0_4arch9wavefront6targetE0EEEvSP_.kd
    .uniform_work_group_size: 1
    .uses_dynamic_stack: false
    .vgpr_count:     0
    .vgpr_spill_count: 0
    .wavefront_size: 32
    .workgroup_processor_mode: 1
  - .args:
      - .offset:         0
        .size:           48
        .value_kind:     by_value
    .group_segment_fixed_size: 0
    .kernarg_segment_align: 8
    .kernarg_segment_size: 48
    .language:       OpenCL C
    .language_version:
      - 2
      - 0
    .max_flat_workgroup_size: 256
    .name:           _ZN7rocprim17ROCPRIM_400000_NS6detail17trampoline_kernelINS0_14default_configENS1_32segmented_reduce_config_selectorIfEEZNS1_21segmented_reduce_implIS3_PKfPfPKifN6hipcub16HIPCUB_304000_NS6detail27convert_result_type_wrapperIS8_S9_N2at6native12_GLOBAL__N_19CustomMinEEEEE10hipError_tPvRmT0_T1_jT2_SQ_T4_T3_P12ihipStream_tbEUlT_E_NS1_11comp_targetILNS1_3genE3ELNS1_11target_archE908ELNS1_3gpuE7ELNS1_3repE0EEENS1_30default_config_static_selectorELNS0_4arch9wavefront6targetE0EEEvSP_
    .private_segment_fixed_size: 0
    .sgpr_count:     0
    .sgpr_spill_count: 0
    .symbol:         _ZN7rocprim17ROCPRIM_400000_NS6detail17trampoline_kernelINS0_14default_configENS1_32segmented_reduce_config_selectorIfEEZNS1_21segmented_reduce_implIS3_PKfPfPKifN6hipcub16HIPCUB_304000_NS6detail27convert_result_type_wrapperIS8_S9_N2at6native12_GLOBAL__N_19CustomMinEEEEE10hipError_tPvRmT0_T1_jT2_SQ_T4_T3_P12ihipStream_tbEUlT_E_NS1_11comp_targetILNS1_3genE3ELNS1_11target_archE908ELNS1_3gpuE7ELNS1_3repE0EEENS1_30default_config_static_selectorELNS0_4arch9wavefront6targetE0EEEvSP_.kd
    .uniform_work_group_size: 1
    .uses_dynamic_stack: false
    .vgpr_count:     0
    .vgpr_spill_count: 0
    .wavefront_size: 32
    .workgroup_processor_mode: 1
  - .args:
      - .offset:         0
        .size:           48
        .value_kind:     by_value
    .group_segment_fixed_size: 0
    .kernarg_segment_align: 8
    .kernarg_segment_size: 48
    .language:       OpenCL C
    .language_version:
      - 2
      - 0
    .max_flat_workgroup_size: 256
    .name:           _ZN7rocprim17ROCPRIM_400000_NS6detail17trampoline_kernelINS0_14default_configENS1_32segmented_reduce_config_selectorIfEEZNS1_21segmented_reduce_implIS3_PKfPfPKifN6hipcub16HIPCUB_304000_NS6detail27convert_result_type_wrapperIS8_S9_N2at6native12_GLOBAL__N_19CustomMinEEEEE10hipError_tPvRmT0_T1_jT2_SQ_T4_T3_P12ihipStream_tbEUlT_E_NS1_11comp_targetILNS1_3genE2ELNS1_11target_archE906ELNS1_3gpuE6ELNS1_3repE0EEENS1_30default_config_static_selectorELNS0_4arch9wavefront6targetE0EEEvSP_
    .private_segment_fixed_size: 0
    .sgpr_count:     0
    .sgpr_spill_count: 0
    .symbol:         _ZN7rocprim17ROCPRIM_400000_NS6detail17trampoline_kernelINS0_14default_configENS1_32segmented_reduce_config_selectorIfEEZNS1_21segmented_reduce_implIS3_PKfPfPKifN6hipcub16HIPCUB_304000_NS6detail27convert_result_type_wrapperIS8_S9_N2at6native12_GLOBAL__N_19CustomMinEEEEE10hipError_tPvRmT0_T1_jT2_SQ_T4_T3_P12ihipStream_tbEUlT_E_NS1_11comp_targetILNS1_3genE2ELNS1_11target_archE906ELNS1_3gpuE6ELNS1_3repE0EEENS1_30default_config_static_selectorELNS0_4arch9wavefront6targetE0EEEvSP_.kd
    .uniform_work_group_size: 1
    .uses_dynamic_stack: false
    .vgpr_count:     0
    .vgpr_spill_count: 0
    .wavefront_size: 32
    .workgroup_processor_mode: 1
  - .args:
      - .offset:         0
        .size:           48
        .value_kind:     by_value
    .group_segment_fixed_size: 32
    .kernarg_segment_align: 8
    .kernarg_segment_size: 48
    .language:       OpenCL C
    .language_version:
      - 2
      - 0
    .max_flat_workgroup_size: 256
    .name:           _ZN7rocprim17ROCPRIM_400000_NS6detail17trampoline_kernelINS0_14default_configENS1_32segmented_reduce_config_selectorIfEEZNS1_21segmented_reduce_implIS3_PKfPfPKifN6hipcub16HIPCUB_304000_NS6detail27convert_result_type_wrapperIS8_S9_N2at6native12_GLOBAL__N_19CustomMinEEEEE10hipError_tPvRmT0_T1_jT2_SQ_T4_T3_P12ihipStream_tbEUlT_E_NS1_11comp_targetILNS1_3genE9ELNS1_11target_archE1100ELNS1_3gpuE3ELNS1_3repE0EEENS1_30default_config_static_selectorELNS0_4arch9wavefront6targetE0EEEvSP_
    .private_segment_fixed_size: 0
    .sgpr_count:     20
    .sgpr_spill_count: 0
    .symbol:         _ZN7rocprim17ROCPRIM_400000_NS6detail17trampoline_kernelINS0_14default_configENS1_32segmented_reduce_config_selectorIfEEZNS1_21segmented_reduce_implIS3_PKfPfPKifN6hipcub16HIPCUB_304000_NS6detail27convert_result_type_wrapperIS8_S9_N2at6native12_GLOBAL__N_19CustomMinEEEEE10hipError_tPvRmT0_T1_jT2_SQ_T4_T3_P12ihipStream_tbEUlT_E_NS1_11comp_targetILNS1_3genE9ELNS1_11target_archE1100ELNS1_3gpuE3ELNS1_3repE0EEENS1_30default_config_static_selectorELNS0_4arch9wavefront6targetE0EEEvSP_.kd
    .uniform_work_group_size: 1
    .uses_dynamic_stack: false
    .vgpr_count:     33
    .vgpr_spill_count: 0
    .wavefront_size: 32
    .workgroup_processor_mode: 1
  - .args:
      - .offset:         0
        .size:           48
        .value_kind:     by_value
    .group_segment_fixed_size: 0
    .kernarg_segment_align: 8
    .kernarg_segment_size: 48
    .language:       OpenCL C
    .language_version:
      - 2
      - 0
    .max_flat_workgroup_size: 256
    .name:           _ZN7rocprim17ROCPRIM_400000_NS6detail17trampoline_kernelINS0_14default_configENS1_32segmented_reduce_config_selectorIfEEZNS1_21segmented_reduce_implIS3_PKfPfPKifN6hipcub16HIPCUB_304000_NS6detail27convert_result_type_wrapperIS8_S9_N2at6native12_GLOBAL__N_19CustomMinEEEEE10hipError_tPvRmT0_T1_jT2_SQ_T4_T3_P12ihipStream_tbEUlT_E_NS1_11comp_targetILNS1_3genE8ELNS1_11target_archE1030ELNS1_3gpuE2ELNS1_3repE0EEENS1_30default_config_static_selectorELNS0_4arch9wavefront6targetE0EEEvSP_
    .private_segment_fixed_size: 0
    .sgpr_count:     0
    .sgpr_spill_count: 0
    .symbol:         _ZN7rocprim17ROCPRIM_400000_NS6detail17trampoline_kernelINS0_14default_configENS1_32segmented_reduce_config_selectorIfEEZNS1_21segmented_reduce_implIS3_PKfPfPKifN6hipcub16HIPCUB_304000_NS6detail27convert_result_type_wrapperIS8_S9_N2at6native12_GLOBAL__N_19CustomMinEEEEE10hipError_tPvRmT0_T1_jT2_SQ_T4_T3_P12ihipStream_tbEUlT_E_NS1_11comp_targetILNS1_3genE8ELNS1_11target_archE1030ELNS1_3gpuE2ELNS1_3repE0EEENS1_30default_config_static_selectorELNS0_4arch9wavefront6targetE0EEEvSP_.kd
    .uniform_work_group_size: 1
    .uses_dynamic_stack: false
    .vgpr_count:     0
    .vgpr_spill_count: 0
    .wavefront_size: 32
    .workgroup_processor_mode: 1
  - .args:
      - .offset:         0
        .size:           48
        .value_kind:     by_value
    .group_segment_fixed_size: 0
    .kernarg_segment_align: 8
    .kernarg_segment_size: 48
    .language:       OpenCL C
    .language_version:
      - 2
      - 0
    .max_flat_workgroup_size: 256
    .name:           _ZN7rocprim17ROCPRIM_400000_NS6detail17trampoline_kernelINS0_14default_configENS1_32segmented_reduce_config_selectorIfEEZNS1_21segmented_reduce_implIS3_PKfPfPKifN6hipcub16HIPCUB_304000_NS6detail27convert_result_type_wrapperIS8_S9_N2at6native12_GLOBAL__N_110CustomProdEEEEE10hipError_tPvRmT0_T1_jT2_SQ_T4_T3_P12ihipStream_tbEUlT_E_NS1_11comp_targetILNS1_3genE0ELNS1_11target_archE4294967295ELNS1_3gpuE0ELNS1_3repE0EEENS1_30default_config_static_selectorELNS0_4arch9wavefront6targetE0EEEvSP_
    .private_segment_fixed_size: 0
    .sgpr_count:     0
    .sgpr_spill_count: 0
    .symbol:         _ZN7rocprim17ROCPRIM_400000_NS6detail17trampoline_kernelINS0_14default_configENS1_32segmented_reduce_config_selectorIfEEZNS1_21segmented_reduce_implIS3_PKfPfPKifN6hipcub16HIPCUB_304000_NS6detail27convert_result_type_wrapperIS8_S9_N2at6native12_GLOBAL__N_110CustomProdEEEEE10hipError_tPvRmT0_T1_jT2_SQ_T4_T3_P12ihipStream_tbEUlT_E_NS1_11comp_targetILNS1_3genE0ELNS1_11target_archE4294967295ELNS1_3gpuE0ELNS1_3repE0EEENS1_30default_config_static_selectorELNS0_4arch9wavefront6targetE0EEEvSP_.kd
    .uniform_work_group_size: 1
    .uses_dynamic_stack: false
    .vgpr_count:     0
    .vgpr_spill_count: 0
    .wavefront_size: 32
    .workgroup_processor_mode: 1
  - .args:
      - .offset:         0
        .size:           48
        .value_kind:     by_value
    .group_segment_fixed_size: 0
    .kernarg_segment_align: 8
    .kernarg_segment_size: 48
    .language:       OpenCL C
    .language_version:
      - 2
      - 0
    .max_flat_workgroup_size: 256
    .name:           _ZN7rocprim17ROCPRIM_400000_NS6detail17trampoline_kernelINS0_14default_configENS1_32segmented_reduce_config_selectorIfEEZNS1_21segmented_reduce_implIS3_PKfPfPKifN6hipcub16HIPCUB_304000_NS6detail27convert_result_type_wrapperIS8_S9_N2at6native12_GLOBAL__N_110CustomProdEEEEE10hipError_tPvRmT0_T1_jT2_SQ_T4_T3_P12ihipStream_tbEUlT_E_NS1_11comp_targetILNS1_3genE5ELNS1_11target_archE942ELNS1_3gpuE9ELNS1_3repE0EEENS1_30default_config_static_selectorELNS0_4arch9wavefront6targetE0EEEvSP_
    .private_segment_fixed_size: 0
    .sgpr_count:     0
    .sgpr_spill_count: 0
    .symbol:         _ZN7rocprim17ROCPRIM_400000_NS6detail17trampoline_kernelINS0_14default_configENS1_32segmented_reduce_config_selectorIfEEZNS1_21segmented_reduce_implIS3_PKfPfPKifN6hipcub16HIPCUB_304000_NS6detail27convert_result_type_wrapperIS8_S9_N2at6native12_GLOBAL__N_110CustomProdEEEEE10hipError_tPvRmT0_T1_jT2_SQ_T4_T3_P12ihipStream_tbEUlT_E_NS1_11comp_targetILNS1_3genE5ELNS1_11target_archE942ELNS1_3gpuE9ELNS1_3repE0EEENS1_30default_config_static_selectorELNS0_4arch9wavefront6targetE0EEEvSP_.kd
    .uniform_work_group_size: 1
    .uses_dynamic_stack: false
    .vgpr_count:     0
    .vgpr_spill_count: 0
    .wavefront_size: 32
    .workgroup_processor_mode: 1
  - .args:
      - .offset:         0
        .size:           48
        .value_kind:     by_value
    .group_segment_fixed_size: 0
    .kernarg_segment_align: 8
    .kernarg_segment_size: 48
    .language:       OpenCL C
    .language_version:
      - 2
      - 0
    .max_flat_workgroup_size: 256
    .name:           _ZN7rocprim17ROCPRIM_400000_NS6detail17trampoline_kernelINS0_14default_configENS1_32segmented_reduce_config_selectorIfEEZNS1_21segmented_reduce_implIS3_PKfPfPKifN6hipcub16HIPCUB_304000_NS6detail27convert_result_type_wrapperIS8_S9_N2at6native12_GLOBAL__N_110CustomProdEEEEE10hipError_tPvRmT0_T1_jT2_SQ_T4_T3_P12ihipStream_tbEUlT_E_NS1_11comp_targetILNS1_3genE10ELNS1_11target_archE1201ELNS1_3gpuE5ELNS1_3repE0EEENS1_30default_config_static_selectorELNS0_4arch9wavefront6targetE0EEEvSP_
    .private_segment_fixed_size: 0
    .sgpr_count:     0
    .sgpr_spill_count: 0
    .symbol:         _ZN7rocprim17ROCPRIM_400000_NS6detail17trampoline_kernelINS0_14default_configENS1_32segmented_reduce_config_selectorIfEEZNS1_21segmented_reduce_implIS3_PKfPfPKifN6hipcub16HIPCUB_304000_NS6detail27convert_result_type_wrapperIS8_S9_N2at6native12_GLOBAL__N_110CustomProdEEEEE10hipError_tPvRmT0_T1_jT2_SQ_T4_T3_P12ihipStream_tbEUlT_E_NS1_11comp_targetILNS1_3genE10ELNS1_11target_archE1201ELNS1_3gpuE5ELNS1_3repE0EEENS1_30default_config_static_selectorELNS0_4arch9wavefront6targetE0EEEvSP_.kd
    .uniform_work_group_size: 1
    .uses_dynamic_stack: false
    .vgpr_count:     0
    .vgpr_spill_count: 0
    .wavefront_size: 32
    .workgroup_processor_mode: 1
  - .args:
      - .offset:         0
        .size:           48
        .value_kind:     by_value
    .group_segment_fixed_size: 0
    .kernarg_segment_align: 8
    .kernarg_segment_size: 48
    .language:       OpenCL C
    .language_version:
      - 2
      - 0
    .max_flat_workgroup_size: 256
    .name:           _ZN7rocprim17ROCPRIM_400000_NS6detail17trampoline_kernelINS0_14default_configENS1_32segmented_reduce_config_selectorIfEEZNS1_21segmented_reduce_implIS3_PKfPfPKifN6hipcub16HIPCUB_304000_NS6detail27convert_result_type_wrapperIS8_S9_N2at6native12_GLOBAL__N_110CustomProdEEEEE10hipError_tPvRmT0_T1_jT2_SQ_T4_T3_P12ihipStream_tbEUlT_E_NS1_11comp_targetILNS1_3genE4ELNS1_11target_archE910ELNS1_3gpuE8ELNS1_3repE0EEENS1_30default_config_static_selectorELNS0_4arch9wavefront6targetE0EEEvSP_
    .private_segment_fixed_size: 0
    .sgpr_count:     0
    .sgpr_spill_count: 0
    .symbol:         _ZN7rocprim17ROCPRIM_400000_NS6detail17trampoline_kernelINS0_14default_configENS1_32segmented_reduce_config_selectorIfEEZNS1_21segmented_reduce_implIS3_PKfPfPKifN6hipcub16HIPCUB_304000_NS6detail27convert_result_type_wrapperIS8_S9_N2at6native12_GLOBAL__N_110CustomProdEEEEE10hipError_tPvRmT0_T1_jT2_SQ_T4_T3_P12ihipStream_tbEUlT_E_NS1_11comp_targetILNS1_3genE4ELNS1_11target_archE910ELNS1_3gpuE8ELNS1_3repE0EEENS1_30default_config_static_selectorELNS0_4arch9wavefront6targetE0EEEvSP_.kd
    .uniform_work_group_size: 1
    .uses_dynamic_stack: false
    .vgpr_count:     0
    .vgpr_spill_count: 0
    .wavefront_size: 32
    .workgroup_processor_mode: 1
  - .args:
      - .offset:         0
        .size:           48
        .value_kind:     by_value
    .group_segment_fixed_size: 0
    .kernarg_segment_align: 8
    .kernarg_segment_size: 48
    .language:       OpenCL C
    .language_version:
      - 2
      - 0
    .max_flat_workgroup_size: 256
    .name:           _ZN7rocprim17ROCPRIM_400000_NS6detail17trampoline_kernelINS0_14default_configENS1_32segmented_reduce_config_selectorIfEEZNS1_21segmented_reduce_implIS3_PKfPfPKifN6hipcub16HIPCUB_304000_NS6detail27convert_result_type_wrapperIS8_S9_N2at6native12_GLOBAL__N_110CustomProdEEEEE10hipError_tPvRmT0_T1_jT2_SQ_T4_T3_P12ihipStream_tbEUlT_E_NS1_11comp_targetILNS1_3genE3ELNS1_11target_archE908ELNS1_3gpuE7ELNS1_3repE0EEENS1_30default_config_static_selectorELNS0_4arch9wavefront6targetE0EEEvSP_
    .private_segment_fixed_size: 0
    .sgpr_count:     0
    .sgpr_spill_count: 0
    .symbol:         _ZN7rocprim17ROCPRIM_400000_NS6detail17trampoline_kernelINS0_14default_configENS1_32segmented_reduce_config_selectorIfEEZNS1_21segmented_reduce_implIS3_PKfPfPKifN6hipcub16HIPCUB_304000_NS6detail27convert_result_type_wrapperIS8_S9_N2at6native12_GLOBAL__N_110CustomProdEEEEE10hipError_tPvRmT0_T1_jT2_SQ_T4_T3_P12ihipStream_tbEUlT_E_NS1_11comp_targetILNS1_3genE3ELNS1_11target_archE908ELNS1_3gpuE7ELNS1_3repE0EEENS1_30default_config_static_selectorELNS0_4arch9wavefront6targetE0EEEvSP_.kd
    .uniform_work_group_size: 1
    .uses_dynamic_stack: false
    .vgpr_count:     0
    .vgpr_spill_count: 0
    .wavefront_size: 32
    .workgroup_processor_mode: 1
  - .args:
      - .offset:         0
        .size:           48
        .value_kind:     by_value
    .group_segment_fixed_size: 0
    .kernarg_segment_align: 8
    .kernarg_segment_size: 48
    .language:       OpenCL C
    .language_version:
      - 2
      - 0
    .max_flat_workgroup_size: 256
    .name:           _ZN7rocprim17ROCPRIM_400000_NS6detail17trampoline_kernelINS0_14default_configENS1_32segmented_reduce_config_selectorIfEEZNS1_21segmented_reduce_implIS3_PKfPfPKifN6hipcub16HIPCUB_304000_NS6detail27convert_result_type_wrapperIS8_S9_N2at6native12_GLOBAL__N_110CustomProdEEEEE10hipError_tPvRmT0_T1_jT2_SQ_T4_T3_P12ihipStream_tbEUlT_E_NS1_11comp_targetILNS1_3genE2ELNS1_11target_archE906ELNS1_3gpuE6ELNS1_3repE0EEENS1_30default_config_static_selectorELNS0_4arch9wavefront6targetE0EEEvSP_
    .private_segment_fixed_size: 0
    .sgpr_count:     0
    .sgpr_spill_count: 0
    .symbol:         _ZN7rocprim17ROCPRIM_400000_NS6detail17trampoline_kernelINS0_14default_configENS1_32segmented_reduce_config_selectorIfEEZNS1_21segmented_reduce_implIS3_PKfPfPKifN6hipcub16HIPCUB_304000_NS6detail27convert_result_type_wrapperIS8_S9_N2at6native12_GLOBAL__N_110CustomProdEEEEE10hipError_tPvRmT0_T1_jT2_SQ_T4_T3_P12ihipStream_tbEUlT_E_NS1_11comp_targetILNS1_3genE2ELNS1_11target_archE906ELNS1_3gpuE6ELNS1_3repE0EEENS1_30default_config_static_selectorELNS0_4arch9wavefront6targetE0EEEvSP_.kd
    .uniform_work_group_size: 1
    .uses_dynamic_stack: false
    .vgpr_count:     0
    .vgpr_spill_count: 0
    .wavefront_size: 32
    .workgroup_processor_mode: 1
  - .args:
      - .offset:         0
        .size:           48
        .value_kind:     by_value
    .group_segment_fixed_size: 32
    .kernarg_segment_align: 8
    .kernarg_segment_size: 48
    .language:       OpenCL C
    .language_version:
      - 2
      - 0
    .max_flat_workgroup_size: 256
    .name:           _ZN7rocprim17ROCPRIM_400000_NS6detail17trampoline_kernelINS0_14default_configENS1_32segmented_reduce_config_selectorIfEEZNS1_21segmented_reduce_implIS3_PKfPfPKifN6hipcub16HIPCUB_304000_NS6detail27convert_result_type_wrapperIS8_S9_N2at6native12_GLOBAL__N_110CustomProdEEEEE10hipError_tPvRmT0_T1_jT2_SQ_T4_T3_P12ihipStream_tbEUlT_E_NS1_11comp_targetILNS1_3genE9ELNS1_11target_archE1100ELNS1_3gpuE3ELNS1_3repE0EEENS1_30default_config_static_selectorELNS0_4arch9wavefront6targetE0EEEvSP_
    .private_segment_fixed_size: 0
    .sgpr_count:     32
    .sgpr_spill_count: 0
    .symbol:         _ZN7rocprim17ROCPRIM_400000_NS6detail17trampoline_kernelINS0_14default_configENS1_32segmented_reduce_config_selectorIfEEZNS1_21segmented_reduce_implIS3_PKfPfPKifN6hipcub16HIPCUB_304000_NS6detail27convert_result_type_wrapperIS8_S9_N2at6native12_GLOBAL__N_110CustomProdEEEEE10hipError_tPvRmT0_T1_jT2_SQ_T4_T3_P12ihipStream_tbEUlT_E_NS1_11comp_targetILNS1_3genE9ELNS1_11target_archE1100ELNS1_3gpuE3ELNS1_3repE0EEENS1_30default_config_static_selectorELNS0_4arch9wavefront6targetE0EEEvSP_.kd
    .uniform_work_group_size: 1
    .uses_dynamic_stack: false
    .vgpr_count:     23
    .vgpr_spill_count: 0
    .wavefront_size: 32
    .workgroup_processor_mode: 1
  - .args:
      - .offset:         0
        .size:           48
        .value_kind:     by_value
    .group_segment_fixed_size: 0
    .kernarg_segment_align: 8
    .kernarg_segment_size: 48
    .language:       OpenCL C
    .language_version:
      - 2
      - 0
    .max_flat_workgroup_size: 256
    .name:           _ZN7rocprim17ROCPRIM_400000_NS6detail17trampoline_kernelINS0_14default_configENS1_32segmented_reduce_config_selectorIfEEZNS1_21segmented_reduce_implIS3_PKfPfPKifN6hipcub16HIPCUB_304000_NS6detail27convert_result_type_wrapperIS8_S9_N2at6native12_GLOBAL__N_110CustomProdEEEEE10hipError_tPvRmT0_T1_jT2_SQ_T4_T3_P12ihipStream_tbEUlT_E_NS1_11comp_targetILNS1_3genE8ELNS1_11target_archE1030ELNS1_3gpuE2ELNS1_3repE0EEENS1_30default_config_static_selectorELNS0_4arch9wavefront6targetE0EEEvSP_
    .private_segment_fixed_size: 0
    .sgpr_count:     0
    .sgpr_spill_count: 0
    .symbol:         _ZN7rocprim17ROCPRIM_400000_NS6detail17trampoline_kernelINS0_14default_configENS1_32segmented_reduce_config_selectorIfEEZNS1_21segmented_reduce_implIS3_PKfPfPKifN6hipcub16HIPCUB_304000_NS6detail27convert_result_type_wrapperIS8_S9_N2at6native12_GLOBAL__N_110CustomProdEEEEE10hipError_tPvRmT0_T1_jT2_SQ_T4_T3_P12ihipStream_tbEUlT_E_NS1_11comp_targetILNS1_3genE8ELNS1_11target_archE1030ELNS1_3gpuE2ELNS1_3repE0EEENS1_30default_config_static_selectorELNS0_4arch9wavefront6targetE0EEEvSP_.kd
    .uniform_work_group_size: 1
    .uses_dynamic_stack: false
    .vgpr_count:     0
    .vgpr_spill_count: 0
    .wavefront_size: 32
    .workgroup_processor_mode: 1
  - .args:
      - .offset:         0
        .size:           4
        .value_kind:     by_value
      - .address_space:  global
        .offset:         8
        .size:           8
        .value_kind:     global_buffer
      - .address_space:  global
        .offset:         16
        .size:           8
        .value_kind:     global_buffer
      - .address_space:  global
        .offset:         24
        .size:           8
        .value_kind:     global_buffer
      - .address_space:  global
        .offset:         32
        .size:           8
        .value_kind:     global_buffer
      - .offset:         40
        .size:           8
        .value_kind:     by_value
      - .offset:         48
        .size:           8
        .value_kind:     by_value
      - .offset:         56
        .size:           1
        .value_kind:     by_value
      - .offset:         58
        .size:           2
        .value_kind:     by_value
      - .offset:         64
        .size:           8
        .value_kind:     by_value
      - .offset:         72
        .size:           8
        .value_kind:     by_value
      - .offset:         80
        .size:           8
        .value_kind:     by_value
      - .offset:         88
        .size:           8
        .value_kind:     by_value
      - .offset:         96
        .size:           8
        .value_kind:     by_value
      - .offset:         104
        .size:           8
        .value_kind:     by_value
      - .offset:         112
        .size:           8
        .value_kind:     by_value
      - .offset:         120
        .size:           4
        .value_kind:     hidden_block_count_x
      - .offset:         124
        .size:           4
        .value_kind:     hidden_block_count_y
      - .offset:         128
        .size:           4
        .value_kind:     hidden_block_count_z
      - .offset:         132
        .size:           2
        .value_kind:     hidden_group_size_x
      - .offset:         134
        .size:           2
        .value_kind:     hidden_group_size_y
      - .offset:         136
        .size:           2
        .value_kind:     hidden_group_size_z
      - .offset:         138
        .size:           2
        .value_kind:     hidden_remainder_x
      - .offset:         140
        .size:           2
        .value_kind:     hidden_remainder_y
      - .offset:         142
        .size:           2
        .value_kind:     hidden_remainder_z
      - .offset:         160
        .size:           8
        .value_kind:     hidden_global_offset_x
      - .offset:         168
        .size:           8
        .value_kind:     hidden_global_offset_y
      - .offset:         176
        .size:           8
        .value_kind:     hidden_global_offset_z
      - .offset:         184
        .size:           2
        .value_kind:     hidden_grid_dims
    .group_segment_fixed_size: 0
    .kernarg_segment_align: 8
    .kernarg_segment_size: 376
    .language:       OpenCL C
    .language_version:
      - 2
      - 0
    .max_flat_workgroup_size: 1024
    .name:           _ZN2at6native12_GLOBAL__N_129segment_reduce_forward_kernelIN3c104HalfEiEEvNS0_13ReductionTypeEPT_PKS6_PKT0_SC_llbS6_lllllll
    .private_segment_fixed_size: 0
    .sgpr_count:     34
    .sgpr_spill_count: 0
    .symbol:         _ZN2at6native12_GLOBAL__N_129segment_reduce_forward_kernelIN3c104HalfEiEEvNS0_13ReductionTypeEPT_PKS6_PKT0_SC_llbS6_lllllll.kd
    .uniform_work_group_size: 1
    .uses_dynamic_stack: false
    .vgpr_count:     21
    .vgpr_spill_count: 0
    .wavefront_size: 32
    .workgroup_processor_mode: 1
  - .args:
      - .offset:         0
        .size:           48
        .value_kind:     by_value
    .group_segment_fixed_size: 0
    .kernarg_segment_align: 8
    .kernarg_segment_size: 48
    .language:       OpenCL C
    .language_version:
      - 2
      - 0
    .max_flat_workgroup_size: 256
    .name:           _ZN7rocprim17ROCPRIM_400000_NS6detail17trampoline_kernelINS0_14default_configENS1_32segmented_reduce_config_selectorIN3c104HalfEEEZNS1_21segmented_reduce_implIS3_PKS6_PS6_PKiS6_N6hipcub16HIPCUB_304000_NS6detail27convert_result_type_wrapperISA_SB_N2at6native12_GLOBAL__N_19CustomMaxEEEEE10hipError_tPvRmT0_T1_jT2_SS_T4_T3_P12ihipStream_tbEUlT_E_NS1_11comp_targetILNS1_3genE0ELNS1_11target_archE4294967295ELNS1_3gpuE0ELNS1_3repE0EEENS1_30default_config_static_selectorELNS0_4arch9wavefront6targetE0EEEvSR_
    .private_segment_fixed_size: 0
    .sgpr_count:     0
    .sgpr_spill_count: 0
    .symbol:         _ZN7rocprim17ROCPRIM_400000_NS6detail17trampoline_kernelINS0_14default_configENS1_32segmented_reduce_config_selectorIN3c104HalfEEEZNS1_21segmented_reduce_implIS3_PKS6_PS6_PKiS6_N6hipcub16HIPCUB_304000_NS6detail27convert_result_type_wrapperISA_SB_N2at6native12_GLOBAL__N_19CustomMaxEEEEE10hipError_tPvRmT0_T1_jT2_SS_T4_T3_P12ihipStream_tbEUlT_E_NS1_11comp_targetILNS1_3genE0ELNS1_11target_archE4294967295ELNS1_3gpuE0ELNS1_3repE0EEENS1_30default_config_static_selectorELNS0_4arch9wavefront6targetE0EEEvSR_.kd
    .uniform_work_group_size: 1
    .uses_dynamic_stack: false
    .vgpr_count:     0
    .vgpr_spill_count: 0
    .wavefront_size: 32
    .workgroup_processor_mode: 1
  - .args:
      - .offset:         0
        .size:           48
        .value_kind:     by_value
    .group_segment_fixed_size: 0
    .kernarg_segment_align: 8
    .kernarg_segment_size: 48
    .language:       OpenCL C
    .language_version:
      - 2
      - 0
    .max_flat_workgroup_size: 256
    .name:           _ZN7rocprim17ROCPRIM_400000_NS6detail17trampoline_kernelINS0_14default_configENS1_32segmented_reduce_config_selectorIN3c104HalfEEEZNS1_21segmented_reduce_implIS3_PKS6_PS6_PKiS6_N6hipcub16HIPCUB_304000_NS6detail27convert_result_type_wrapperISA_SB_N2at6native12_GLOBAL__N_19CustomMaxEEEEE10hipError_tPvRmT0_T1_jT2_SS_T4_T3_P12ihipStream_tbEUlT_E_NS1_11comp_targetILNS1_3genE5ELNS1_11target_archE942ELNS1_3gpuE9ELNS1_3repE0EEENS1_30default_config_static_selectorELNS0_4arch9wavefront6targetE0EEEvSR_
    .private_segment_fixed_size: 0
    .sgpr_count:     0
    .sgpr_spill_count: 0
    .symbol:         _ZN7rocprim17ROCPRIM_400000_NS6detail17trampoline_kernelINS0_14default_configENS1_32segmented_reduce_config_selectorIN3c104HalfEEEZNS1_21segmented_reduce_implIS3_PKS6_PS6_PKiS6_N6hipcub16HIPCUB_304000_NS6detail27convert_result_type_wrapperISA_SB_N2at6native12_GLOBAL__N_19CustomMaxEEEEE10hipError_tPvRmT0_T1_jT2_SS_T4_T3_P12ihipStream_tbEUlT_E_NS1_11comp_targetILNS1_3genE5ELNS1_11target_archE942ELNS1_3gpuE9ELNS1_3repE0EEENS1_30default_config_static_selectorELNS0_4arch9wavefront6targetE0EEEvSR_.kd
    .uniform_work_group_size: 1
    .uses_dynamic_stack: false
    .vgpr_count:     0
    .vgpr_spill_count: 0
    .wavefront_size: 32
    .workgroup_processor_mode: 1
  - .args:
      - .offset:         0
        .size:           48
        .value_kind:     by_value
    .group_segment_fixed_size: 0
    .kernarg_segment_align: 8
    .kernarg_segment_size: 48
    .language:       OpenCL C
    .language_version:
      - 2
      - 0
    .max_flat_workgroup_size: 256
    .name:           _ZN7rocprim17ROCPRIM_400000_NS6detail17trampoline_kernelINS0_14default_configENS1_32segmented_reduce_config_selectorIN3c104HalfEEEZNS1_21segmented_reduce_implIS3_PKS6_PS6_PKiS6_N6hipcub16HIPCUB_304000_NS6detail27convert_result_type_wrapperISA_SB_N2at6native12_GLOBAL__N_19CustomMaxEEEEE10hipError_tPvRmT0_T1_jT2_SS_T4_T3_P12ihipStream_tbEUlT_E_NS1_11comp_targetILNS1_3genE10ELNS1_11target_archE1201ELNS1_3gpuE5ELNS1_3repE0EEENS1_30default_config_static_selectorELNS0_4arch9wavefront6targetE0EEEvSR_
    .private_segment_fixed_size: 0
    .sgpr_count:     0
    .sgpr_spill_count: 0
    .symbol:         _ZN7rocprim17ROCPRIM_400000_NS6detail17trampoline_kernelINS0_14default_configENS1_32segmented_reduce_config_selectorIN3c104HalfEEEZNS1_21segmented_reduce_implIS3_PKS6_PS6_PKiS6_N6hipcub16HIPCUB_304000_NS6detail27convert_result_type_wrapperISA_SB_N2at6native12_GLOBAL__N_19CustomMaxEEEEE10hipError_tPvRmT0_T1_jT2_SS_T4_T3_P12ihipStream_tbEUlT_E_NS1_11comp_targetILNS1_3genE10ELNS1_11target_archE1201ELNS1_3gpuE5ELNS1_3repE0EEENS1_30default_config_static_selectorELNS0_4arch9wavefront6targetE0EEEvSR_.kd
    .uniform_work_group_size: 1
    .uses_dynamic_stack: false
    .vgpr_count:     0
    .vgpr_spill_count: 0
    .wavefront_size: 32
    .workgroup_processor_mode: 1
  - .args:
      - .offset:         0
        .size:           48
        .value_kind:     by_value
    .group_segment_fixed_size: 0
    .kernarg_segment_align: 8
    .kernarg_segment_size: 48
    .language:       OpenCL C
    .language_version:
      - 2
      - 0
    .max_flat_workgroup_size: 256
    .name:           _ZN7rocprim17ROCPRIM_400000_NS6detail17trampoline_kernelINS0_14default_configENS1_32segmented_reduce_config_selectorIN3c104HalfEEEZNS1_21segmented_reduce_implIS3_PKS6_PS6_PKiS6_N6hipcub16HIPCUB_304000_NS6detail27convert_result_type_wrapperISA_SB_N2at6native12_GLOBAL__N_19CustomMaxEEEEE10hipError_tPvRmT0_T1_jT2_SS_T4_T3_P12ihipStream_tbEUlT_E_NS1_11comp_targetILNS1_3genE4ELNS1_11target_archE910ELNS1_3gpuE8ELNS1_3repE0EEENS1_30default_config_static_selectorELNS0_4arch9wavefront6targetE0EEEvSR_
    .private_segment_fixed_size: 0
    .sgpr_count:     0
    .sgpr_spill_count: 0
    .symbol:         _ZN7rocprim17ROCPRIM_400000_NS6detail17trampoline_kernelINS0_14default_configENS1_32segmented_reduce_config_selectorIN3c104HalfEEEZNS1_21segmented_reduce_implIS3_PKS6_PS6_PKiS6_N6hipcub16HIPCUB_304000_NS6detail27convert_result_type_wrapperISA_SB_N2at6native12_GLOBAL__N_19CustomMaxEEEEE10hipError_tPvRmT0_T1_jT2_SS_T4_T3_P12ihipStream_tbEUlT_E_NS1_11comp_targetILNS1_3genE4ELNS1_11target_archE910ELNS1_3gpuE8ELNS1_3repE0EEENS1_30default_config_static_selectorELNS0_4arch9wavefront6targetE0EEEvSR_.kd
    .uniform_work_group_size: 1
    .uses_dynamic_stack: false
    .vgpr_count:     0
    .vgpr_spill_count: 0
    .wavefront_size: 32
    .workgroup_processor_mode: 1
  - .args:
      - .offset:         0
        .size:           48
        .value_kind:     by_value
    .group_segment_fixed_size: 0
    .kernarg_segment_align: 8
    .kernarg_segment_size: 48
    .language:       OpenCL C
    .language_version:
      - 2
      - 0
    .max_flat_workgroup_size: 256
    .name:           _ZN7rocprim17ROCPRIM_400000_NS6detail17trampoline_kernelINS0_14default_configENS1_32segmented_reduce_config_selectorIN3c104HalfEEEZNS1_21segmented_reduce_implIS3_PKS6_PS6_PKiS6_N6hipcub16HIPCUB_304000_NS6detail27convert_result_type_wrapperISA_SB_N2at6native12_GLOBAL__N_19CustomMaxEEEEE10hipError_tPvRmT0_T1_jT2_SS_T4_T3_P12ihipStream_tbEUlT_E_NS1_11comp_targetILNS1_3genE3ELNS1_11target_archE908ELNS1_3gpuE7ELNS1_3repE0EEENS1_30default_config_static_selectorELNS0_4arch9wavefront6targetE0EEEvSR_
    .private_segment_fixed_size: 0
    .sgpr_count:     0
    .sgpr_spill_count: 0
    .symbol:         _ZN7rocprim17ROCPRIM_400000_NS6detail17trampoline_kernelINS0_14default_configENS1_32segmented_reduce_config_selectorIN3c104HalfEEEZNS1_21segmented_reduce_implIS3_PKS6_PS6_PKiS6_N6hipcub16HIPCUB_304000_NS6detail27convert_result_type_wrapperISA_SB_N2at6native12_GLOBAL__N_19CustomMaxEEEEE10hipError_tPvRmT0_T1_jT2_SS_T4_T3_P12ihipStream_tbEUlT_E_NS1_11comp_targetILNS1_3genE3ELNS1_11target_archE908ELNS1_3gpuE7ELNS1_3repE0EEENS1_30default_config_static_selectorELNS0_4arch9wavefront6targetE0EEEvSR_.kd
    .uniform_work_group_size: 1
    .uses_dynamic_stack: false
    .vgpr_count:     0
    .vgpr_spill_count: 0
    .wavefront_size: 32
    .workgroup_processor_mode: 1
  - .args:
      - .offset:         0
        .size:           48
        .value_kind:     by_value
    .group_segment_fixed_size: 0
    .kernarg_segment_align: 8
    .kernarg_segment_size: 48
    .language:       OpenCL C
    .language_version:
      - 2
      - 0
    .max_flat_workgroup_size: 256
    .name:           _ZN7rocprim17ROCPRIM_400000_NS6detail17trampoline_kernelINS0_14default_configENS1_32segmented_reduce_config_selectorIN3c104HalfEEEZNS1_21segmented_reduce_implIS3_PKS6_PS6_PKiS6_N6hipcub16HIPCUB_304000_NS6detail27convert_result_type_wrapperISA_SB_N2at6native12_GLOBAL__N_19CustomMaxEEEEE10hipError_tPvRmT0_T1_jT2_SS_T4_T3_P12ihipStream_tbEUlT_E_NS1_11comp_targetILNS1_3genE2ELNS1_11target_archE906ELNS1_3gpuE6ELNS1_3repE0EEENS1_30default_config_static_selectorELNS0_4arch9wavefront6targetE0EEEvSR_
    .private_segment_fixed_size: 0
    .sgpr_count:     0
    .sgpr_spill_count: 0
    .symbol:         _ZN7rocprim17ROCPRIM_400000_NS6detail17trampoline_kernelINS0_14default_configENS1_32segmented_reduce_config_selectorIN3c104HalfEEEZNS1_21segmented_reduce_implIS3_PKS6_PS6_PKiS6_N6hipcub16HIPCUB_304000_NS6detail27convert_result_type_wrapperISA_SB_N2at6native12_GLOBAL__N_19CustomMaxEEEEE10hipError_tPvRmT0_T1_jT2_SS_T4_T3_P12ihipStream_tbEUlT_E_NS1_11comp_targetILNS1_3genE2ELNS1_11target_archE906ELNS1_3gpuE6ELNS1_3repE0EEENS1_30default_config_static_selectorELNS0_4arch9wavefront6targetE0EEEvSR_.kd
    .uniform_work_group_size: 1
    .uses_dynamic_stack: false
    .vgpr_count:     0
    .vgpr_spill_count: 0
    .wavefront_size: 32
    .workgroup_processor_mode: 1
  - .args:
      - .offset:         0
        .size:           48
        .value_kind:     by_value
    .group_segment_fixed_size: 16
    .kernarg_segment_align: 8
    .kernarg_segment_size: 48
    .language:       OpenCL C
    .language_version:
      - 2
      - 0
    .max_flat_workgroup_size: 256
    .name:           _ZN7rocprim17ROCPRIM_400000_NS6detail17trampoline_kernelINS0_14default_configENS1_32segmented_reduce_config_selectorIN3c104HalfEEEZNS1_21segmented_reduce_implIS3_PKS6_PS6_PKiS6_N6hipcub16HIPCUB_304000_NS6detail27convert_result_type_wrapperISA_SB_N2at6native12_GLOBAL__N_19CustomMaxEEEEE10hipError_tPvRmT0_T1_jT2_SS_T4_T3_P12ihipStream_tbEUlT_E_NS1_11comp_targetILNS1_3genE9ELNS1_11target_archE1100ELNS1_3gpuE3ELNS1_3repE0EEENS1_30default_config_static_selectorELNS0_4arch9wavefront6targetE0EEEvSR_
    .private_segment_fixed_size: 0
    .sgpr_count:     33
    .sgpr_spill_count: 0
    .symbol:         _ZN7rocprim17ROCPRIM_400000_NS6detail17trampoline_kernelINS0_14default_configENS1_32segmented_reduce_config_selectorIN3c104HalfEEEZNS1_21segmented_reduce_implIS3_PKS6_PS6_PKiS6_N6hipcub16HIPCUB_304000_NS6detail27convert_result_type_wrapperISA_SB_N2at6native12_GLOBAL__N_19CustomMaxEEEEE10hipError_tPvRmT0_T1_jT2_SS_T4_T3_P12ihipStream_tbEUlT_E_NS1_11comp_targetILNS1_3genE9ELNS1_11target_archE1100ELNS1_3gpuE3ELNS1_3repE0EEENS1_30default_config_static_selectorELNS0_4arch9wavefront6targetE0EEEvSR_.kd
    .uniform_work_group_size: 1
    .uses_dynamic_stack: false
    .vgpr_count:     23
    .vgpr_spill_count: 0
    .wavefront_size: 32
    .workgroup_processor_mode: 1
  - .args:
      - .offset:         0
        .size:           48
        .value_kind:     by_value
    .group_segment_fixed_size: 0
    .kernarg_segment_align: 8
    .kernarg_segment_size: 48
    .language:       OpenCL C
    .language_version:
      - 2
      - 0
    .max_flat_workgroup_size: 256
    .name:           _ZN7rocprim17ROCPRIM_400000_NS6detail17trampoline_kernelINS0_14default_configENS1_32segmented_reduce_config_selectorIN3c104HalfEEEZNS1_21segmented_reduce_implIS3_PKS6_PS6_PKiS6_N6hipcub16HIPCUB_304000_NS6detail27convert_result_type_wrapperISA_SB_N2at6native12_GLOBAL__N_19CustomMaxEEEEE10hipError_tPvRmT0_T1_jT2_SS_T4_T3_P12ihipStream_tbEUlT_E_NS1_11comp_targetILNS1_3genE8ELNS1_11target_archE1030ELNS1_3gpuE2ELNS1_3repE0EEENS1_30default_config_static_selectorELNS0_4arch9wavefront6targetE0EEEvSR_
    .private_segment_fixed_size: 0
    .sgpr_count:     0
    .sgpr_spill_count: 0
    .symbol:         _ZN7rocprim17ROCPRIM_400000_NS6detail17trampoline_kernelINS0_14default_configENS1_32segmented_reduce_config_selectorIN3c104HalfEEEZNS1_21segmented_reduce_implIS3_PKS6_PS6_PKiS6_N6hipcub16HIPCUB_304000_NS6detail27convert_result_type_wrapperISA_SB_N2at6native12_GLOBAL__N_19CustomMaxEEEEE10hipError_tPvRmT0_T1_jT2_SS_T4_T3_P12ihipStream_tbEUlT_E_NS1_11comp_targetILNS1_3genE8ELNS1_11target_archE1030ELNS1_3gpuE2ELNS1_3repE0EEENS1_30default_config_static_selectorELNS0_4arch9wavefront6targetE0EEEvSR_.kd
    .uniform_work_group_size: 1
    .uses_dynamic_stack: false
    .vgpr_count:     0
    .vgpr_spill_count: 0
    .wavefront_size: 32
    .workgroup_processor_mode: 1
  - .args:
      - .offset:         0
        .size:           48
        .value_kind:     by_value
    .group_segment_fixed_size: 0
    .kernarg_segment_align: 8
    .kernarg_segment_size: 48
    .language:       OpenCL C
    .language_version:
      - 2
      - 0
    .max_flat_workgroup_size: 256
    .name:           _ZN7rocprim17ROCPRIM_400000_NS6detail17trampoline_kernelINS0_14default_configENS1_32segmented_reduce_config_selectorIN3c104HalfEEEZNS1_21segmented_reduce_implIS3_PKS6_PS6_PKiS6_N6hipcub16HIPCUB_304000_NS6detail27convert_result_type_wrapperISA_SB_N2at6native12_GLOBAL__N_19CustomSumEEEEE10hipError_tPvRmT0_T1_jT2_SS_T4_T3_P12ihipStream_tbEUlT_E_NS1_11comp_targetILNS1_3genE0ELNS1_11target_archE4294967295ELNS1_3gpuE0ELNS1_3repE0EEENS1_30default_config_static_selectorELNS0_4arch9wavefront6targetE0EEEvSR_
    .private_segment_fixed_size: 0
    .sgpr_count:     0
    .sgpr_spill_count: 0
    .symbol:         _ZN7rocprim17ROCPRIM_400000_NS6detail17trampoline_kernelINS0_14default_configENS1_32segmented_reduce_config_selectorIN3c104HalfEEEZNS1_21segmented_reduce_implIS3_PKS6_PS6_PKiS6_N6hipcub16HIPCUB_304000_NS6detail27convert_result_type_wrapperISA_SB_N2at6native12_GLOBAL__N_19CustomSumEEEEE10hipError_tPvRmT0_T1_jT2_SS_T4_T3_P12ihipStream_tbEUlT_E_NS1_11comp_targetILNS1_3genE0ELNS1_11target_archE4294967295ELNS1_3gpuE0ELNS1_3repE0EEENS1_30default_config_static_selectorELNS0_4arch9wavefront6targetE0EEEvSR_.kd
    .uniform_work_group_size: 1
    .uses_dynamic_stack: false
    .vgpr_count:     0
    .vgpr_spill_count: 0
    .wavefront_size: 32
    .workgroup_processor_mode: 1
  - .args:
      - .offset:         0
        .size:           48
        .value_kind:     by_value
    .group_segment_fixed_size: 0
    .kernarg_segment_align: 8
    .kernarg_segment_size: 48
    .language:       OpenCL C
    .language_version:
      - 2
      - 0
    .max_flat_workgroup_size: 256
    .name:           _ZN7rocprim17ROCPRIM_400000_NS6detail17trampoline_kernelINS0_14default_configENS1_32segmented_reduce_config_selectorIN3c104HalfEEEZNS1_21segmented_reduce_implIS3_PKS6_PS6_PKiS6_N6hipcub16HIPCUB_304000_NS6detail27convert_result_type_wrapperISA_SB_N2at6native12_GLOBAL__N_19CustomSumEEEEE10hipError_tPvRmT0_T1_jT2_SS_T4_T3_P12ihipStream_tbEUlT_E_NS1_11comp_targetILNS1_3genE5ELNS1_11target_archE942ELNS1_3gpuE9ELNS1_3repE0EEENS1_30default_config_static_selectorELNS0_4arch9wavefront6targetE0EEEvSR_
    .private_segment_fixed_size: 0
    .sgpr_count:     0
    .sgpr_spill_count: 0
    .symbol:         _ZN7rocprim17ROCPRIM_400000_NS6detail17trampoline_kernelINS0_14default_configENS1_32segmented_reduce_config_selectorIN3c104HalfEEEZNS1_21segmented_reduce_implIS3_PKS6_PS6_PKiS6_N6hipcub16HIPCUB_304000_NS6detail27convert_result_type_wrapperISA_SB_N2at6native12_GLOBAL__N_19CustomSumEEEEE10hipError_tPvRmT0_T1_jT2_SS_T4_T3_P12ihipStream_tbEUlT_E_NS1_11comp_targetILNS1_3genE5ELNS1_11target_archE942ELNS1_3gpuE9ELNS1_3repE0EEENS1_30default_config_static_selectorELNS0_4arch9wavefront6targetE0EEEvSR_.kd
    .uniform_work_group_size: 1
    .uses_dynamic_stack: false
    .vgpr_count:     0
    .vgpr_spill_count: 0
    .wavefront_size: 32
    .workgroup_processor_mode: 1
  - .args:
      - .offset:         0
        .size:           48
        .value_kind:     by_value
    .group_segment_fixed_size: 0
    .kernarg_segment_align: 8
    .kernarg_segment_size: 48
    .language:       OpenCL C
    .language_version:
      - 2
      - 0
    .max_flat_workgroup_size: 256
    .name:           _ZN7rocprim17ROCPRIM_400000_NS6detail17trampoline_kernelINS0_14default_configENS1_32segmented_reduce_config_selectorIN3c104HalfEEEZNS1_21segmented_reduce_implIS3_PKS6_PS6_PKiS6_N6hipcub16HIPCUB_304000_NS6detail27convert_result_type_wrapperISA_SB_N2at6native12_GLOBAL__N_19CustomSumEEEEE10hipError_tPvRmT0_T1_jT2_SS_T4_T3_P12ihipStream_tbEUlT_E_NS1_11comp_targetILNS1_3genE10ELNS1_11target_archE1201ELNS1_3gpuE5ELNS1_3repE0EEENS1_30default_config_static_selectorELNS0_4arch9wavefront6targetE0EEEvSR_
    .private_segment_fixed_size: 0
    .sgpr_count:     0
    .sgpr_spill_count: 0
    .symbol:         _ZN7rocprim17ROCPRIM_400000_NS6detail17trampoline_kernelINS0_14default_configENS1_32segmented_reduce_config_selectorIN3c104HalfEEEZNS1_21segmented_reduce_implIS3_PKS6_PS6_PKiS6_N6hipcub16HIPCUB_304000_NS6detail27convert_result_type_wrapperISA_SB_N2at6native12_GLOBAL__N_19CustomSumEEEEE10hipError_tPvRmT0_T1_jT2_SS_T4_T3_P12ihipStream_tbEUlT_E_NS1_11comp_targetILNS1_3genE10ELNS1_11target_archE1201ELNS1_3gpuE5ELNS1_3repE0EEENS1_30default_config_static_selectorELNS0_4arch9wavefront6targetE0EEEvSR_.kd
    .uniform_work_group_size: 1
    .uses_dynamic_stack: false
    .vgpr_count:     0
    .vgpr_spill_count: 0
    .wavefront_size: 32
    .workgroup_processor_mode: 1
  - .args:
      - .offset:         0
        .size:           48
        .value_kind:     by_value
    .group_segment_fixed_size: 0
    .kernarg_segment_align: 8
    .kernarg_segment_size: 48
    .language:       OpenCL C
    .language_version:
      - 2
      - 0
    .max_flat_workgroup_size: 256
    .name:           _ZN7rocprim17ROCPRIM_400000_NS6detail17trampoline_kernelINS0_14default_configENS1_32segmented_reduce_config_selectorIN3c104HalfEEEZNS1_21segmented_reduce_implIS3_PKS6_PS6_PKiS6_N6hipcub16HIPCUB_304000_NS6detail27convert_result_type_wrapperISA_SB_N2at6native12_GLOBAL__N_19CustomSumEEEEE10hipError_tPvRmT0_T1_jT2_SS_T4_T3_P12ihipStream_tbEUlT_E_NS1_11comp_targetILNS1_3genE4ELNS1_11target_archE910ELNS1_3gpuE8ELNS1_3repE0EEENS1_30default_config_static_selectorELNS0_4arch9wavefront6targetE0EEEvSR_
    .private_segment_fixed_size: 0
    .sgpr_count:     0
    .sgpr_spill_count: 0
    .symbol:         _ZN7rocprim17ROCPRIM_400000_NS6detail17trampoline_kernelINS0_14default_configENS1_32segmented_reduce_config_selectorIN3c104HalfEEEZNS1_21segmented_reduce_implIS3_PKS6_PS6_PKiS6_N6hipcub16HIPCUB_304000_NS6detail27convert_result_type_wrapperISA_SB_N2at6native12_GLOBAL__N_19CustomSumEEEEE10hipError_tPvRmT0_T1_jT2_SS_T4_T3_P12ihipStream_tbEUlT_E_NS1_11comp_targetILNS1_3genE4ELNS1_11target_archE910ELNS1_3gpuE8ELNS1_3repE0EEENS1_30default_config_static_selectorELNS0_4arch9wavefront6targetE0EEEvSR_.kd
    .uniform_work_group_size: 1
    .uses_dynamic_stack: false
    .vgpr_count:     0
    .vgpr_spill_count: 0
    .wavefront_size: 32
    .workgroup_processor_mode: 1
  - .args:
      - .offset:         0
        .size:           48
        .value_kind:     by_value
    .group_segment_fixed_size: 0
    .kernarg_segment_align: 8
    .kernarg_segment_size: 48
    .language:       OpenCL C
    .language_version:
      - 2
      - 0
    .max_flat_workgroup_size: 256
    .name:           _ZN7rocprim17ROCPRIM_400000_NS6detail17trampoline_kernelINS0_14default_configENS1_32segmented_reduce_config_selectorIN3c104HalfEEEZNS1_21segmented_reduce_implIS3_PKS6_PS6_PKiS6_N6hipcub16HIPCUB_304000_NS6detail27convert_result_type_wrapperISA_SB_N2at6native12_GLOBAL__N_19CustomSumEEEEE10hipError_tPvRmT0_T1_jT2_SS_T4_T3_P12ihipStream_tbEUlT_E_NS1_11comp_targetILNS1_3genE3ELNS1_11target_archE908ELNS1_3gpuE7ELNS1_3repE0EEENS1_30default_config_static_selectorELNS0_4arch9wavefront6targetE0EEEvSR_
    .private_segment_fixed_size: 0
    .sgpr_count:     0
    .sgpr_spill_count: 0
    .symbol:         _ZN7rocprim17ROCPRIM_400000_NS6detail17trampoline_kernelINS0_14default_configENS1_32segmented_reduce_config_selectorIN3c104HalfEEEZNS1_21segmented_reduce_implIS3_PKS6_PS6_PKiS6_N6hipcub16HIPCUB_304000_NS6detail27convert_result_type_wrapperISA_SB_N2at6native12_GLOBAL__N_19CustomSumEEEEE10hipError_tPvRmT0_T1_jT2_SS_T4_T3_P12ihipStream_tbEUlT_E_NS1_11comp_targetILNS1_3genE3ELNS1_11target_archE908ELNS1_3gpuE7ELNS1_3repE0EEENS1_30default_config_static_selectorELNS0_4arch9wavefront6targetE0EEEvSR_.kd
    .uniform_work_group_size: 1
    .uses_dynamic_stack: false
    .vgpr_count:     0
    .vgpr_spill_count: 0
    .wavefront_size: 32
    .workgroup_processor_mode: 1
  - .args:
      - .offset:         0
        .size:           48
        .value_kind:     by_value
    .group_segment_fixed_size: 0
    .kernarg_segment_align: 8
    .kernarg_segment_size: 48
    .language:       OpenCL C
    .language_version:
      - 2
      - 0
    .max_flat_workgroup_size: 256
    .name:           _ZN7rocprim17ROCPRIM_400000_NS6detail17trampoline_kernelINS0_14default_configENS1_32segmented_reduce_config_selectorIN3c104HalfEEEZNS1_21segmented_reduce_implIS3_PKS6_PS6_PKiS6_N6hipcub16HIPCUB_304000_NS6detail27convert_result_type_wrapperISA_SB_N2at6native12_GLOBAL__N_19CustomSumEEEEE10hipError_tPvRmT0_T1_jT2_SS_T4_T3_P12ihipStream_tbEUlT_E_NS1_11comp_targetILNS1_3genE2ELNS1_11target_archE906ELNS1_3gpuE6ELNS1_3repE0EEENS1_30default_config_static_selectorELNS0_4arch9wavefront6targetE0EEEvSR_
    .private_segment_fixed_size: 0
    .sgpr_count:     0
    .sgpr_spill_count: 0
    .symbol:         _ZN7rocprim17ROCPRIM_400000_NS6detail17trampoline_kernelINS0_14default_configENS1_32segmented_reduce_config_selectorIN3c104HalfEEEZNS1_21segmented_reduce_implIS3_PKS6_PS6_PKiS6_N6hipcub16HIPCUB_304000_NS6detail27convert_result_type_wrapperISA_SB_N2at6native12_GLOBAL__N_19CustomSumEEEEE10hipError_tPvRmT0_T1_jT2_SS_T4_T3_P12ihipStream_tbEUlT_E_NS1_11comp_targetILNS1_3genE2ELNS1_11target_archE906ELNS1_3gpuE6ELNS1_3repE0EEENS1_30default_config_static_selectorELNS0_4arch9wavefront6targetE0EEEvSR_.kd
    .uniform_work_group_size: 1
    .uses_dynamic_stack: false
    .vgpr_count:     0
    .vgpr_spill_count: 0
    .wavefront_size: 32
    .workgroup_processor_mode: 1
  - .args:
      - .offset:         0
        .size:           48
        .value_kind:     by_value
    .group_segment_fixed_size: 16
    .kernarg_segment_align: 8
    .kernarg_segment_size: 48
    .language:       OpenCL C
    .language_version:
      - 2
      - 0
    .max_flat_workgroup_size: 256
    .name:           _ZN7rocprim17ROCPRIM_400000_NS6detail17trampoline_kernelINS0_14default_configENS1_32segmented_reduce_config_selectorIN3c104HalfEEEZNS1_21segmented_reduce_implIS3_PKS6_PS6_PKiS6_N6hipcub16HIPCUB_304000_NS6detail27convert_result_type_wrapperISA_SB_N2at6native12_GLOBAL__N_19CustomSumEEEEE10hipError_tPvRmT0_T1_jT2_SS_T4_T3_P12ihipStream_tbEUlT_E_NS1_11comp_targetILNS1_3genE9ELNS1_11target_archE1100ELNS1_3gpuE3ELNS1_3repE0EEENS1_30default_config_static_selectorELNS0_4arch9wavefront6targetE0EEEvSR_
    .private_segment_fixed_size: 0
    .sgpr_count:     30
    .sgpr_spill_count: 0
    .symbol:         _ZN7rocprim17ROCPRIM_400000_NS6detail17trampoline_kernelINS0_14default_configENS1_32segmented_reduce_config_selectorIN3c104HalfEEEZNS1_21segmented_reduce_implIS3_PKS6_PS6_PKiS6_N6hipcub16HIPCUB_304000_NS6detail27convert_result_type_wrapperISA_SB_N2at6native12_GLOBAL__N_19CustomSumEEEEE10hipError_tPvRmT0_T1_jT2_SS_T4_T3_P12ihipStream_tbEUlT_E_NS1_11comp_targetILNS1_3genE9ELNS1_11target_archE1100ELNS1_3gpuE3ELNS1_3repE0EEENS1_30default_config_static_selectorELNS0_4arch9wavefront6targetE0EEEvSR_.kd
    .uniform_work_group_size: 1
    .uses_dynamic_stack: false
    .vgpr_count:     23
    .vgpr_spill_count: 0
    .wavefront_size: 32
    .workgroup_processor_mode: 1
  - .args:
      - .offset:         0
        .size:           48
        .value_kind:     by_value
    .group_segment_fixed_size: 0
    .kernarg_segment_align: 8
    .kernarg_segment_size: 48
    .language:       OpenCL C
    .language_version:
      - 2
      - 0
    .max_flat_workgroup_size: 256
    .name:           _ZN7rocprim17ROCPRIM_400000_NS6detail17trampoline_kernelINS0_14default_configENS1_32segmented_reduce_config_selectorIN3c104HalfEEEZNS1_21segmented_reduce_implIS3_PKS6_PS6_PKiS6_N6hipcub16HIPCUB_304000_NS6detail27convert_result_type_wrapperISA_SB_N2at6native12_GLOBAL__N_19CustomSumEEEEE10hipError_tPvRmT0_T1_jT2_SS_T4_T3_P12ihipStream_tbEUlT_E_NS1_11comp_targetILNS1_3genE8ELNS1_11target_archE1030ELNS1_3gpuE2ELNS1_3repE0EEENS1_30default_config_static_selectorELNS0_4arch9wavefront6targetE0EEEvSR_
    .private_segment_fixed_size: 0
    .sgpr_count:     0
    .sgpr_spill_count: 0
    .symbol:         _ZN7rocprim17ROCPRIM_400000_NS6detail17trampoline_kernelINS0_14default_configENS1_32segmented_reduce_config_selectorIN3c104HalfEEEZNS1_21segmented_reduce_implIS3_PKS6_PS6_PKiS6_N6hipcub16HIPCUB_304000_NS6detail27convert_result_type_wrapperISA_SB_N2at6native12_GLOBAL__N_19CustomSumEEEEE10hipError_tPvRmT0_T1_jT2_SS_T4_T3_P12ihipStream_tbEUlT_E_NS1_11comp_targetILNS1_3genE8ELNS1_11target_archE1030ELNS1_3gpuE2ELNS1_3repE0EEENS1_30default_config_static_selectorELNS0_4arch9wavefront6targetE0EEEvSR_.kd
    .uniform_work_group_size: 1
    .uses_dynamic_stack: false
    .vgpr_count:     0
    .vgpr_spill_count: 0
    .wavefront_size: 32
    .workgroup_processor_mode: 1
  - .args:
      - .address_space:  global
        .offset:         0
        .size:           8
        .value_kind:     global_buffer
      - .address_space:  global
        .offset:         8
        .size:           8
        .value_kind:     global_buffer
      - .offset:         16
        .size:           8
        .value_kind:     by_value
      - .offset:         24
        .size:           1
        .value_kind:     by_value
      - .offset:         26
        .size:           2
        .value_kind:     by_value
      - .offset:         32
        .size:           4
        .value_kind:     hidden_block_count_x
      - .offset:         36
        .size:           4
        .value_kind:     hidden_block_count_y
      - .offset:         40
        .size:           4
        .value_kind:     hidden_block_count_z
      - .offset:         44
        .size:           2
        .value_kind:     hidden_group_size_x
      - .offset:         46
        .size:           2
        .value_kind:     hidden_group_size_y
      - .offset:         48
        .size:           2
        .value_kind:     hidden_group_size_z
      - .offset:         50
        .size:           2
        .value_kind:     hidden_remainder_x
      - .offset:         52
        .size:           2
        .value_kind:     hidden_remainder_y
      - .offset:         54
        .size:           2
        .value_kind:     hidden_remainder_z
      - .offset:         72
        .size:           8
        .value_kind:     hidden_global_offset_x
      - .offset:         80
        .size:           8
        .value_kind:     hidden_global_offset_y
      - .offset:         88
        .size:           8
        .value_kind:     hidden_global_offset_z
      - .offset:         96
        .size:           2
        .value_kind:     hidden_grid_dims
    .group_segment_fixed_size: 0
    .kernarg_segment_align: 8
    .kernarg_segment_size: 288
    .language:       OpenCL C
    .language_version:
      - 2
      - 0
    .max_flat_workgroup_size: 1024
    .name:           _ZN2at6native12_GLOBAL__N_119post_sum_div_kernelIN3c104HalfEiEEvPT_PKT0_lbS5_
    .private_segment_fixed_size: 0
    .sgpr_count:     19
    .sgpr_spill_count: 0
    .symbol:         _ZN2at6native12_GLOBAL__N_119post_sum_div_kernelIN3c104HalfEiEEvPT_PKT0_lbS5_.kd
    .uniform_work_group_size: 1
    .uses_dynamic_stack: false
    .vgpr_count:     12
    .vgpr_spill_count: 0
    .wavefront_size: 32
    .workgroup_processor_mode: 1
  - .args:
      - .offset:         0
        .size:           48
        .value_kind:     by_value
    .group_segment_fixed_size: 0
    .kernarg_segment_align: 8
    .kernarg_segment_size: 48
    .language:       OpenCL C
    .language_version:
      - 2
      - 0
    .max_flat_workgroup_size: 256
    .name:           _ZN7rocprim17ROCPRIM_400000_NS6detail17trampoline_kernelINS0_14default_configENS1_32segmented_reduce_config_selectorIN3c104HalfEEEZNS1_21segmented_reduce_implIS3_PKS6_PS6_PKiS6_N6hipcub16HIPCUB_304000_NS6detail27convert_result_type_wrapperISA_SB_N2at6native12_GLOBAL__N_19CustomMinEEEEE10hipError_tPvRmT0_T1_jT2_SS_T4_T3_P12ihipStream_tbEUlT_E_NS1_11comp_targetILNS1_3genE0ELNS1_11target_archE4294967295ELNS1_3gpuE0ELNS1_3repE0EEENS1_30default_config_static_selectorELNS0_4arch9wavefront6targetE0EEEvSR_
    .private_segment_fixed_size: 0
    .sgpr_count:     0
    .sgpr_spill_count: 0
    .symbol:         _ZN7rocprim17ROCPRIM_400000_NS6detail17trampoline_kernelINS0_14default_configENS1_32segmented_reduce_config_selectorIN3c104HalfEEEZNS1_21segmented_reduce_implIS3_PKS6_PS6_PKiS6_N6hipcub16HIPCUB_304000_NS6detail27convert_result_type_wrapperISA_SB_N2at6native12_GLOBAL__N_19CustomMinEEEEE10hipError_tPvRmT0_T1_jT2_SS_T4_T3_P12ihipStream_tbEUlT_E_NS1_11comp_targetILNS1_3genE0ELNS1_11target_archE4294967295ELNS1_3gpuE0ELNS1_3repE0EEENS1_30default_config_static_selectorELNS0_4arch9wavefront6targetE0EEEvSR_.kd
    .uniform_work_group_size: 1
    .uses_dynamic_stack: false
    .vgpr_count:     0
    .vgpr_spill_count: 0
    .wavefront_size: 32
    .workgroup_processor_mode: 1
  - .args:
      - .offset:         0
        .size:           48
        .value_kind:     by_value
    .group_segment_fixed_size: 0
    .kernarg_segment_align: 8
    .kernarg_segment_size: 48
    .language:       OpenCL C
    .language_version:
      - 2
      - 0
    .max_flat_workgroup_size: 256
    .name:           _ZN7rocprim17ROCPRIM_400000_NS6detail17trampoline_kernelINS0_14default_configENS1_32segmented_reduce_config_selectorIN3c104HalfEEEZNS1_21segmented_reduce_implIS3_PKS6_PS6_PKiS6_N6hipcub16HIPCUB_304000_NS6detail27convert_result_type_wrapperISA_SB_N2at6native12_GLOBAL__N_19CustomMinEEEEE10hipError_tPvRmT0_T1_jT2_SS_T4_T3_P12ihipStream_tbEUlT_E_NS1_11comp_targetILNS1_3genE5ELNS1_11target_archE942ELNS1_3gpuE9ELNS1_3repE0EEENS1_30default_config_static_selectorELNS0_4arch9wavefront6targetE0EEEvSR_
    .private_segment_fixed_size: 0
    .sgpr_count:     0
    .sgpr_spill_count: 0
    .symbol:         _ZN7rocprim17ROCPRIM_400000_NS6detail17trampoline_kernelINS0_14default_configENS1_32segmented_reduce_config_selectorIN3c104HalfEEEZNS1_21segmented_reduce_implIS3_PKS6_PS6_PKiS6_N6hipcub16HIPCUB_304000_NS6detail27convert_result_type_wrapperISA_SB_N2at6native12_GLOBAL__N_19CustomMinEEEEE10hipError_tPvRmT0_T1_jT2_SS_T4_T3_P12ihipStream_tbEUlT_E_NS1_11comp_targetILNS1_3genE5ELNS1_11target_archE942ELNS1_3gpuE9ELNS1_3repE0EEENS1_30default_config_static_selectorELNS0_4arch9wavefront6targetE0EEEvSR_.kd
    .uniform_work_group_size: 1
    .uses_dynamic_stack: false
    .vgpr_count:     0
    .vgpr_spill_count: 0
    .wavefront_size: 32
    .workgroup_processor_mode: 1
  - .args:
      - .offset:         0
        .size:           48
        .value_kind:     by_value
    .group_segment_fixed_size: 0
    .kernarg_segment_align: 8
    .kernarg_segment_size: 48
    .language:       OpenCL C
    .language_version:
      - 2
      - 0
    .max_flat_workgroup_size: 256
    .name:           _ZN7rocprim17ROCPRIM_400000_NS6detail17trampoline_kernelINS0_14default_configENS1_32segmented_reduce_config_selectorIN3c104HalfEEEZNS1_21segmented_reduce_implIS3_PKS6_PS6_PKiS6_N6hipcub16HIPCUB_304000_NS6detail27convert_result_type_wrapperISA_SB_N2at6native12_GLOBAL__N_19CustomMinEEEEE10hipError_tPvRmT0_T1_jT2_SS_T4_T3_P12ihipStream_tbEUlT_E_NS1_11comp_targetILNS1_3genE10ELNS1_11target_archE1201ELNS1_3gpuE5ELNS1_3repE0EEENS1_30default_config_static_selectorELNS0_4arch9wavefront6targetE0EEEvSR_
    .private_segment_fixed_size: 0
    .sgpr_count:     0
    .sgpr_spill_count: 0
    .symbol:         _ZN7rocprim17ROCPRIM_400000_NS6detail17trampoline_kernelINS0_14default_configENS1_32segmented_reduce_config_selectorIN3c104HalfEEEZNS1_21segmented_reduce_implIS3_PKS6_PS6_PKiS6_N6hipcub16HIPCUB_304000_NS6detail27convert_result_type_wrapperISA_SB_N2at6native12_GLOBAL__N_19CustomMinEEEEE10hipError_tPvRmT0_T1_jT2_SS_T4_T3_P12ihipStream_tbEUlT_E_NS1_11comp_targetILNS1_3genE10ELNS1_11target_archE1201ELNS1_3gpuE5ELNS1_3repE0EEENS1_30default_config_static_selectorELNS0_4arch9wavefront6targetE0EEEvSR_.kd
    .uniform_work_group_size: 1
    .uses_dynamic_stack: false
    .vgpr_count:     0
    .vgpr_spill_count: 0
    .wavefront_size: 32
    .workgroup_processor_mode: 1
  - .args:
      - .offset:         0
        .size:           48
        .value_kind:     by_value
    .group_segment_fixed_size: 0
    .kernarg_segment_align: 8
    .kernarg_segment_size: 48
    .language:       OpenCL C
    .language_version:
      - 2
      - 0
    .max_flat_workgroup_size: 256
    .name:           _ZN7rocprim17ROCPRIM_400000_NS6detail17trampoline_kernelINS0_14default_configENS1_32segmented_reduce_config_selectorIN3c104HalfEEEZNS1_21segmented_reduce_implIS3_PKS6_PS6_PKiS6_N6hipcub16HIPCUB_304000_NS6detail27convert_result_type_wrapperISA_SB_N2at6native12_GLOBAL__N_19CustomMinEEEEE10hipError_tPvRmT0_T1_jT2_SS_T4_T3_P12ihipStream_tbEUlT_E_NS1_11comp_targetILNS1_3genE4ELNS1_11target_archE910ELNS1_3gpuE8ELNS1_3repE0EEENS1_30default_config_static_selectorELNS0_4arch9wavefront6targetE0EEEvSR_
    .private_segment_fixed_size: 0
    .sgpr_count:     0
    .sgpr_spill_count: 0
    .symbol:         _ZN7rocprim17ROCPRIM_400000_NS6detail17trampoline_kernelINS0_14default_configENS1_32segmented_reduce_config_selectorIN3c104HalfEEEZNS1_21segmented_reduce_implIS3_PKS6_PS6_PKiS6_N6hipcub16HIPCUB_304000_NS6detail27convert_result_type_wrapperISA_SB_N2at6native12_GLOBAL__N_19CustomMinEEEEE10hipError_tPvRmT0_T1_jT2_SS_T4_T3_P12ihipStream_tbEUlT_E_NS1_11comp_targetILNS1_3genE4ELNS1_11target_archE910ELNS1_3gpuE8ELNS1_3repE0EEENS1_30default_config_static_selectorELNS0_4arch9wavefront6targetE0EEEvSR_.kd
    .uniform_work_group_size: 1
    .uses_dynamic_stack: false
    .vgpr_count:     0
    .vgpr_spill_count: 0
    .wavefront_size: 32
    .workgroup_processor_mode: 1
  - .args:
      - .offset:         0
        .size:           48
        .value_kind:     by_value
    .group_segment_fixed_size: 0
    .kernarg_segment_align: 8
    .kernarg_segment_size: 48
    .language:       OpenCL C
    .language_version:
      - 2
      - 0
    .max_flat_workgroup_size: 256
    .name:           _ZN7rocprim17ROCPRIM_400000_NS6detail17trampoline_kernelINS0_14default_configENS1_32segmented_reduce_config_selectorIN3c104HalfEEEZNS1_21segmented_reduce_implIS3_PKS6_PS6_PKiS6_N6hipcub16HIPCUB_304000_NS6detail27convert_result_type_wrapperISA_SB_N2at6native12_GLOBAL__N_19CustomMinEEEEE10hipError_tPvRmT0_T1_jT2_SS_T4_T3_P12ihipStream_tbEUlT_E_NS1_11comp_targetILNS1_3genE3ELNS1_11target_archE908ELNS1_3gpuE7ELNS1_3repE0EEENS1_30default_config_static_selectorELNS0_4arch9wavefront6targetE0EEEvSR_
    .private_segment_fixed_size: 0
    .sgpr_count:     0
    .sgpr_spill_count: 0
    .symbol:         _ZN7rocprim17ROCPRIM_400000_NS6detail17trampoline_kernelINS0_14default_configENS1_32segmented_reduce_config_selectorIN3c104HalfEEEZNS1_21segmented_reduce_implIS3_PKS6_PS6_PKiS6_N6hipcub16HIPCUB_304000_NS6detail27convert_result_type_wrapperISA_SB_N2at6native12_GLOBAL__N_19CustomMinEEEEE10hipError_tPvRmT0_T1_jT2_SS_T4_T3_P12ihipStream_tbEUlT_E_NS1_11comp_targetILNS1_3genE3ELNS1_11target_archE908ELNS1_3gpuE7ELNS1_3repE0EEENS1_30default_config_static_selectorELNS0_4arch9wavefront6targetE0EEEvSR_.kd
    .uniform_work_group_size: 1
    .uses_dynamic_stack: false
    .vgpr_count:     0
    .vgpr_spill_count: 0
    .wavefront_size: 32
    .workgroup_processor_mode: 1
  - .args:
      - .offset:         0
        .size:           48
        .value_kind:     by_value
    .group_segment_fixed_size: 0
    .kernarg_segment_align: 8
    .kernarg_segment_size: 48
    .language:       OpenCL C
    .language_version:
      - 2
      - 0
    .max_flat_workgroup_size: 256
    .name:           _ZN7rocprim17ROCPRIM_400000_NS6detail17trampoline_kernelINS0_14default_configENS1_32segmented_reduce_config_selectorIN3c104HalfEEEZNS1_21segmented_reduce_implIS3_PKS6_PS6_PKiS6_N6hipcub16HIPCUB_304000_NS6detail27convert_result_type_wrapperISA_SB_N2at6native12_GLOBAL__N_19CustomMinEEEEE10hipError_tPvRmT0_T1_jT2_SS_T4_T3_P12ihipStream_tbEUlT_E_NS1_11comp_targetILNS1_3genE2ELNS1_11target_archE906ELNS1_3gpuE6ELNS1_3repE0EEENS1_30default_config_static_selectorELNS0_4arch9wavefront6targetE0EEEvSR_
    .private_segment_fixed_size: 0
    .sgpr_count:     0
    .sgpr_spill_count: 0
    .symbol:         _ZN7rocprim17ROCPRIM_400000_NS6detail17trampoline_kernelINS0_14default_configENS1_32segmented_reduce_config_selectorIN3c104HalfEEEZNS1_21segmented_reduce_implIS3_PKS6_PS6_PKiS6_N6hipcub16HIPCUB_304000_NS6detail27convert_result_type_wrapperISA_SB_N2at6native12_GLOBAL__N_19CustomMinEEEEE10hipError_tPvRmT0_T1_jT2_SS_T4_T3_P12ihipStream_tbEUlT_E_NS1_11comp_targetILNS1_3genE2ELNS1_11target_archE906ELNS1_3gpuE6ELNS1_3repE0EEENS1_30default_config_static_selectorELNS0_4arch9wavefront6targetE0EEEvSR_.kd
    .uniform_work_group_size: 1
    .uses_dynamic_stack: false
    .vgpr_count:     0
    .vgpr_spill_count: 0
    .wavefront_size: 32
    .workgroup_processor_mode: 1
  - .args:
      - .offset:         0
        .size:           48
        .value_kind:     by_value
    .group_segment_fixed_size: 16
    .kernarg_segment_align: 8
    .kernarg_segment_size: 48
    .language:       OpenCL C
    .language_version:
      - 2
      - 0
    .max_flat_workgroup_size: 256
    .name:           _ZN7rocprim17ROCPRIM_400000_NS6detail17trampoline_kernelINS0_14default_configENS1_32segmented_reduce_config_selectorIN3c104HalfEEEZNS1_21segmented_reduce_implIS3_PKS6_PS6_PKiS6_N6hipcub16HIPCUB_304000_NS6detail27convert_result_type_wrapperISA_SB_N2at6native12_GLOBAL__N_19CustomMinEEEEE10hipError_tPvRmT0_T1_jT2_SS_T4_T3_P12ihipStream_tbEUlT_E_NS1_11comp_targetILNS1_3genE9ELNS1_11target_archE1100ELNS1_3gpuE3ELNS1_3repE0EEENS1_30default_config_static_selectorELNS0_4arch9wavefront6targetE0EEEvSR_
    .private_segment_fixed_size: 0
    .sgpr_count:     33
    .sgpr_spill_count: 0
    .symbol:         _ZN7rocprim17ROCPRIM_400000_NS6detail17trampoline_kernelINS0_14default_configENS1_32segmented_reduce_config_selectorIN3c104HalfEEEZNS1_21segmented_reduce_implIS3_PKS6_PS6_PKiS6_N6hipcub16HIPCUB_304000_NS6detail27convert_result_type_wrapperISA_SB_N2at6native12_GLOBAL__N_19CustomMinEEEEE10hipError_tPvRmT0_T1_jT2_SS_T4_T3_P12ihipStream_tbEUlT_E_NS1_11comp_targetILNS1_3genE9ELNS1_11target_archE1100ELNS1_3gpuE3ELNS1_3repE0EEENS1_30default_config_static_selectorELNS0_4arch9wavefront6targetE0EEEvSR_.kd
    .uniform_work_group_size: 1
    .uses_dynamic_stack: false
    .vgpr_count:     23
    .vgpr_spill_count: 0
    .wavefront_size: 32
    .workgroup_processor_mode: 1
  - .args:
      - .offset:         0
        .size:           48
        .value_kind:     by_value
    .group_segment_fixed_size: 0
    .kernarg_segment_align: 8
    .kernarg_segment_size: 48
    .language:       OpenCL C
    .language_version:
      - 2
      - 0
    .max_flat_workgroup_size: 256
    .name:           _ZN7rocprim17ROCPRIM_400000_NS6detail17trampoline_kernelINS0_14default_configENS1_32segmented_reduce_config_selectorIN3c104HalfEEEZNS1_21segmented_reduce_implIS3_PKS6_PS6_PKiS6_N6hipcub16HIPCUB_304000_NS6detail27convert_result_type_wrapperISA_SB_N2at6native12_GLOBAL__N_19CustomMinEEEEE10hipError_tPvRmT0_T1_jT2_SS_T4_T3_P12ihipStream_tbEUlT_E_NS1_11comp_targetILNS1_3genE8ELNS1_11target_archE1030ELNS1_3gpuE2ELNS1_3repE0EEENS1_30default_config_static_selectorELNS0_4arch9wavefront6targetE0EEEvSR_
    .private_segment_fixed_size: 0
    .sgpr_count:     0
    .sgpr_spill_count: 0
    .symbol:         _ZN7rocprim17ROCPRIM_400000_NS6detail17trampoline_kernelINS0_14default_configENS1_32segmented_reduce_config_selectorIN3c104HalfEEEZNS1_21segmented_reduce_implIS3_PKS6_PS6_PKiS6_N6hipcub16HIPCUB_304000_NS6detail27convert_result_type_wrapperISA_SB_N2at6native12_GLOBAL__N_19CustomMinEEEEE10hipError_tPvRmT0_T1_jT2_SS_T4_T3_P12ihipStream_tbEUlT_E_NS1_11comp_targetILNS1_3genE8ELNS1_11target_archE1030ELNS1_3gpuE2ELNS1_3repE0EEENS1_30default_config_static_selectorELNS0_4arch9wavefront6targetE0EEEvSR_.kd
    .uniform_work_group_size: 1
    .uses_dynamic_stack: false
    .vgpr_count:     0
    .vgpr_spill_count: 0
    .wavefront_size: 32
    .workgroup_processor_mode: 1
  - .args:
      - .offset:         0
        .size:           48
        .value_kind:     by_value
    .group_segment_fixed_size: 0
    .kernarg_segment_align: 8
    .kernarg_segment_size: 48
    .language:       OpenCL C
    .language_version:
      - 2
      - 0
    .max_flat_workgroup_size: 256
    .name:           _ZN7rocprim17ROCPRIM_400000_NS6detail17trampoline_kernelINS0_14default_configENS1_32segmented_reduce_config_selectorIN3c104HalfEEEZNS1_21segmented_reduce_implIS3_PKS6_PS6_PKiS6_N6hipcub16HIPCUB_304000_NS6detail27convert_result_type_wrapperISA_SB_N2at6native12_GLOBAL__N_110CustomProdEEEEE10hipError_tPvRmT0_T1_jT2_SS_T4_T3_P12ihipStream_tbEUlT_E_NS1_11comp_targetILNS1_3genE0ELNS1_11target_archE4294967295ELNS1_3gpuE0ELNS1_3repE0EEENS1_30default_config_static_selectorELNS0_4arch9wavefront6targetE0EEEvSR_
    .private_segment_fixed_size: 0
    .sgpr_count:     0
    .sgpr_spill_count: 0
    .symbol:         _ZN7rocprim17ROCPRIM_400000_NS6detail17trampoline_kernelINS0_14default_configENS1_32segmented_reduce_config_selectorIN3c104HalfEEEZNS1_21segmented_reduce_implIS3_PKS6_PS6_PKiS6_N6hipcub16HIPCUB_304000_NS6detail27convert_result_type_wrapperISA_SB_N2at6native12_GLOBAL__N_110CustomProdEEEEE10hipError_tPvRmT0_T1_jT2_SS_T4_T3_P12ihipStream_tbEUlT_E_NS1_11comp_targetILNS1_3genE0ELNS1_11target_archE4294967295ELNS1_3gpuE0ELNS1_3repE0EEENS1_30default_config_static_selectorELNS0_4arch9wavefront6targetE0EEEvSR_.kd
    .uniform_work_group_size: 1
    .uses_dynamic_stack: false
    .vgpr_count:     0
    .vgpr_spill_count: 0
    .wavefront_size: 32
    .workgroup_processor_mode: 1
  - .args:
      - .offset:         0
        .size:           48
        .value_kind:     by_value
    .group_segment_fixed_size: 0
    .kernarg_segment_align: 8
    .kernarg_segment_size: 48
    .language:       OpenCL C
    .language_version:
      - 2
      - 0
    .max_flat_workgroup_size: 256
    .name:           _ZN7rocprim17ROCPRIM_400000_NS6detail17trampoline_kernelINS0_14default_configENS1_32segmented_reduce_config_selectorIN3c104HalfEEEZNS1_21segmented_reduce_implIS3_PKS6_PS6_PKiS6_N6hipcub16HIPCUB_304000_NS6detail27convert_result_type_wrapperISA_SB_N2at6native12_GLOBAL__N_110CustomProdEEEEE10hipError_tPvRmT0_T1_jT2_SS_T4_T3_P12ihipStream_tbEUlT_E_NS1_11comp_targetILNS1_3genE5ELNS1_11target_archE942ELNS1_3gpuE9ELNS1_3repE0EEENS1_30default_config_static_selectorELNS0_4arch9wavefront6targetE0EEEvSR_
    .private_segment_fixed_size: 0
    .sgpr_count:     0
    .sgpr_spill_count: 0
    .symbol:         _ZN7rocprim17ROCPRIM_400000_NS6detail17trampoline_kernelINS0_14default_configENS1_32segmented_reduce_config_selectorIN3c104HalfEEEZNS1_21segmented_reduce_implIS3_PKS6_PS6_PKiS6_N6hipcub16HIPCUB_304000_NS6detail27convert_result_type_wrapperISA_SB_N2at6native12_GLOBAL__N_110CustomProdEEEEE10hipError_tPvRmT0_T1_jT2_SS_T4_T3_P12ihipStream_tbEUlT_E_NS1_11comp_targetILNS1_3genE5ELNS1_11target_archE942ELNS1_3gpuE9ELNS1_3repE0EEENS1_30default_config_static_selectorELNS0_4arch9wavefront6targetE0EEEvSR_.kd
    .uniform_work_group_size: 1
    .uses_dynamic_stack: false
    .vgpr_count:     0
    .vgpr_spill_count: 0
    .wavefront_size: 32
    .workgroup_processor_mode: 1
  - .args:
      - .offset:         0
        .size:           48
        .value_kind:     by_value
    .group_segment_fixed_size: 0
    .kernarg_segment_align: 8
    .kernarg_segment_size: 48
    .language:       OpenCL C
    .language_version:
      - 2
      - 0
    .max_flat_workgroup_size: 256
    .name:           _ZN7rocprim17ROCPRIM_400000_NS6detail17trampoline_kernelINS0_14default_configENS1_32segmented_reduce_config_selectorIN3c104HalfEEEZNS1_21segmented_reduce_implIS3_PKS6_PS6_PKiS6_N6hipcub16HIPCUB_304000_NS6detail27convert_result_type_wrapperISA_SB_N2at6native12_GLOBAL__N_110CustomProdEEEEE10hipError_tPvRmT0_T1_jT2_SS_T4_T3_P12ihipStream_tbEUlT_E_NS1_11comp_targetILNS1_3genE10ELNS1_11target_archE1201ELNS1_3gpuE5ELNS1_3repE0EEENS1_30default_config_static_selectorELNS0_4arch9wavefront6targetE0EEEvSR_
    .private_segment_fixed_size: 0
    .sgpr_count:     0
    .sgpr_spill_count: 0
    .symbol:         _ZN7rocprim17ROCPRIM_400000_NS6detail17trampoline_kernelINS0_14default_configENS1_32segmented_reduce_config_selectorIN3c104HalfEEEZNS1_21segmented_reduce_implIS3_PKS6_PS6_PKiS6_N6hipcub16HIPCUB_304000_NS6detail27convert_result_type_wrapperISA_SB_N2at6native12_GLOBAL__N_110CustomProdEEEEE10hipError_tPvRmT0_T1_jT2_SS_T4_T3_P12ihipStream_tbEUlT_E_NS1_11comp_targetILNS1_3genE10ELNS1_11target_archE1201ELNS1_3gpuE5ELNS1_3repE0EEENS1_30default_config_static_selectorELNS0_4arch9wavefront6targetE0EEEvSR_.kd
    .uniform_work_group_size: 1
    .uses_dynamic_stack: false
    .vgpr_count:     0
    .vgpr_spill_count: 0
    .wavefront_size: 32
    .workgroup_processor_mode: 1
  - .args:
      - .offset:         0
        .size:           48
        .value_kind:     by_value
    .group_segment_fixed_size: 0
    .kernarg_segment_align: 8
    .kernarg_segment_size: 48
    .language:       OpenCL C
    .language_version:
      - 2
      - 0
    .max_flat_workgroup_size: 256
    .name:           _ZN7rocprim17ROCPRIM_400000_NS6detail17trampoline_kernelINS0_14default_configENS1_32segmented_reduce_config_selectorIN3c104HalfEEEZNS1_21segmented_reduce_implIS3_PKS6_PS6_PKiS6_N6hipcub16HIPCUB_304000_NS6detail27convert_result_type_wrapperISA_SB_N2at6native12_GLOBAL__N_110CustomProdEEEEE10hipError_tPvRmT0_T1_jT2_SS_T4_T3_P12ihipStream_tbEUlT_E_NS1_11comp_targetILNS1_3genE4ELNS1_11target_archE910ELNS1_3gpuE8ELNS1_3repE0EEENS1_30default_config_static_selectorELNS0_4arch9wavefront6targetE0EEEvSR_
    .private_segment_fixed_size: 0
    .sgpr_count:     0
    .sgpr_spill_count: 0
    .symbol:         _ZN7rocprim17ROCPRIM_400000_NS6detail17trampoline_kernelINS0_14default_configENS1_32segmented_reduce_config_selectorIN3c104HalfEEEZNS1_21segmented_reduce_implIS3_PKS6_PS6_PKiS6_N6hipcub16HIPCUB_304000_NS6detail27convert_result_type_wrapperISA_SB_N2at6native12_GLOBAL__N_110CustomProdEEEEE10hipError_tPvRmT0_T1_jT2_SS_T4_T3_P12ihipStream_tbEUlT_E_NS1_11comp_targetILNS1_3genE4ELNS1_11target_archE910ELNS1_3gpuE8ELNS1_3repE0EEENS1_30default_config_static_selectorELNS0_4arch9wavefront6targetE0EEEvSR_.kd
    .uniform_work_group_size: 1
    .uses_dynamic_stack: false
    .vgpr_count:     0
    .vgpr_spill_count: 0
    .wavefront_size: 32
    .workgroup_processor_mode: 1
  - .args:
      - .offset:         0
        .size:           48
        .value_kind:     by_value
    .group_segment_fixed_size: 0
    .kernarg_segment_align: 8
    .kernarg_segment_size: 48
    .language:       OpenCL C
    .language_version:
      - 2
      - 0
    .max_flat_workgroup_size: 256
    .name:           _ZN7rocprim17ROCPRIM_400000_NS6detail17trampoline_kernelINS0_14default_configENS1_32segmented_reduce_config_selectorIN3c104HalfEEEZNS1_21segmented_reduce_implIS3_PKS6_PS6_PKiS6_N6hipcub16HIPCUB_304000_NS6detail27convert_result_type_wrapperISA_SB_N2at6native12_GLOBAL__N_110CustomProdEEEEE10hipError_tPvRmT0_T1_jT2_SS_T4_T3_P12ihipStream_tbEUlT_E_NS1_11comp_targetILNS1_3genE3ELNS1_11target_archE908ELNS1_3gpuE7ELNS1_3repE0EEENS1_30default_config_static_selectorELNS0_4arch9wavefront6targetE0EEEvSR_
    .private_segment_fixed_size: 0
    .sgpr_count:     0
    .sgpr_spill_count: 0
    .symbol:         _ZN7rocprim17ROCPRIM_400000_NS6detail17trampoline_kernelINS0_14default_configENS1_32segmented_reduce_config_selectorIN3c104HalfEEEZNS1_21segmented_reduce_implIS3_PKS6_PS6_PKiS6_N6hipcub16HIPCUB_304000_NS6detail27convert_result_type_wrapperISA_SB_N2at6native12_GLOBAL__N_110CustomProdEEEEE10hipError_tPvRmT0_T1_jT2_SS_T4_T3_P12ihipStream_tbEUlT_E_NS1_11comp_targetILNS1_3genE3ELNS1_11target_archE908ELNS1_3gpuE7ELNS1_3repE0EEENS1_30default_config_static_selectorELNS0_4arch9wavefront6targetE0EEEvSR_.kd
    .uniform_work_group_size: 1
    .uses_dynamic_stack: false
    .vgpr_count:     0
    .vgpr_spill_count: 0
    .wavefront_size: 32
    .workgroup_processor_mode: 1
  - .args:
      - .offset:         0
        .size:           48
        .value_kind:     by_value
    .group_segment_fixed_size: 0
    .kernarg_segment_align: 8
    .kernarg_segment_size: 48
    .language:       OpenCL C
    .language_version:
      - 2
      - 0
    .max_flat_workgroup_size: 256
    .name:           _ZN7rocprim17ROCPRIM_400000_NS6detail17trampoline_kernelINS0_14default_configENS1_32segmented_reduce_config_selectorIN3c104HalfEEEZNS1_21segmented_reduce_implIS3_PKS6_PS6_PKiS6_N6hipcub16HIPCUB_304000_NS6detail27convert_result_type_wrapperISA_SB_N2at6native12_GLOBAL__N_110CustomProdEEEEE10hipError_tPvRmT0_T1_jT2_SS_T4_T3_P12ihipStream_tbEUlT_E_NS1_11comp_targetILNS1_3genE2ELNS1_11target_archE906ELNS1_3gpuE6ELNS1_3repE0EEENS1_30default_config_static_selectorELNS0_4arch9wavefront6targetE0EEEvSR_
    .private_segment_fixed_size: 0
    .sgpr_count:     0
    .sgpr_spill_count: 0
    .symbol:         _ZN7rocprim17ROCPRIM_400000_NS6detail17trampoline_kernelINS0_14default_configENS1_32segmented_reduce_config_selectorIN3c104HalfEEEZNS1_21segmented_reduce_implIS3_PKS6_PS6_PKiS6_N6hipcub16HIPCUB_304000_NS6detail27convert_result_type_wrapperISA_SB_N2at6native12_GLOBAL__N_110CustomProdEEEEE10hipError_tPvRmT0_T1_jT2_SS_T4_T3_P12ihipStream_tbEUlT_E_NS1_11comp_targetILNS1_3genE2ELNS1_11target_archE906ELNS1_3gpuE6ELNS1_3repE0EEENS1_30default_config_static_selectorELNS0_4arch9wavefront6targetE0EEEvSR_.kd
    .uniform_work_group_size: 1
    .uses_dynamic_stack: false
    .vgpr_count:     0
    .vgpr_spill_count: 0
    .wavefront_size: 32
    .workgroup_processor_mode: 1
  - .args:
      - .offset:         0
        .size:           48
        .value_kind:     by_value
    .group_segment_fixed_size: 16
    .kernarg_segment_align: 8
    .kernarg_segment_size: 48
    .language:       OpenCL C
    .language_version:
      - 2
      - 0
    .max_flat_workgroup_size: 256
    .name:           _ZN7rocprim17ROCPRIM_400000_NS6detail17trampoline_kernelINS0_14default_configENS1_32segmented_reduce_config_selectorIN3c104HalfEEEZNS1_21segmented_reduce_implIS3_PKS6_PS6_PKiS6_N6hipcub16HIPCUB_304000_NS6detail27convert_result_type_wrapperISA_SB_N2at6native12_GLOBAL__N_110CustomProdEEEEE10hipError_tPvRmT0_T1_jT2_SS_T4_T3_P12ihipStream_tbEUlT_E_NS1_11comp_targetILNS1_3genE9ELNS1_11target_archE1100ELNS1_3gpuE3ELNS1_3repE0EEENS1_30default_config_static_selectorELNS0_4arch9wavefront6targetE0EEEvSR_
    .private_segment_fixed_size: 0
    .sgpr_count:     30
    .sgpr_spill_count: 0
    .symbol:         _ZN7rocprim17ROCPRIM_400000_NS6detail17trampoline_kernelINS0_14default_configENS1_32segmented_reduce_config_selectorIN3c104HalfEEEZNS1_21segmented_reduce_implIS3_PKS6_PS6_PKiS6_N6hipcub16HIPCUB_304000_NS6detail27convert_result_type_wrapperISA_SB_N2at6native12_GLOBAL__N_110CustomProdEEEEE10hipError_tPvRmT0_T1_jT2_SS_T4_T3_P12ihipStream_tbEUlT_E_NS1_11comp_targetILNS1_3genE9ELNS1_11target_archE1100ELNS1_3gpuE3ELNS1_3repE0EEENS1_30default_config_static_selectorELNS0_4arch9wavefront6targetE0EEEvSR_.kd
    .uniform_work_group_size: 1
    .uses_dynamic_stack: false
    .vgpr_count:     23
    .vgpr_spill_count: 0
    .wavefront_size: 32
    .workgroup_processor_mode: 1
  - .args:
      - .offset:         0
        .size:           48
        .value_kind:     by_value
    .group_segment_fixed_size: 0
    .kernarg_segment_align: 8
    .kernarg_segment_size: 48
    .language:       OpenCL C
    .language_version:
      - 2
      - 0
    .max_flat_workgroup_size: 256
    .name:           _ZN7rocprim17ROCPRIM_400000_NS6detail17trampoline_kernelINS0_14default_configENS1_32segmented_reduce_config_selectorIN3c104HalfEEEZNS1_21segmented_reduce_implIS3_PKS6_PS6_PKiS6_N6hipcub16HIPCUB_304000_NS6detail27convert_result_type_wrapperISA_SB_N2at6native12_GLOBAL__N_110CustomProdEEEEE10hipError_tPvRmT0_T1_jT2_SS_T4_T3_P12ihipStream_tbEUlT_E_NS1_11comp_targetILNS1_3genE8ELNS1_11target_archE1030ELNS1_3gpuE2ELNS1_3repE0EEENS1_30default_config_static_selectorELNS0_4arch9wavefront6targetE0EEEvSR_
    .private_segment_fixed_size: 0
    .sgpr_count:     0
    .sgpr_spill_count: 0
    .symbol:         _ZN7rocprim17ROCPRIM_400000_NS6detail17trampoline_kernelINS0_14default_configENS1_32segmented_reduce_config_selectorIN3c104HalfEEEZNS1_21segmented_reduce_implIS3_PKS6_PS6_PKiS6_N6hipcub16HIPCUB_304000_NS6detail27convert_result_type_wrapperISA_SB_N2at6native12_GLOBAL__N_110CustomProdEEEEE10hipError_tPvRmT0_T1_jT2_SS_T4_T3_P12ihipStream_tbEUlT_E_NS1_11comp_targetILNS1_3genE8ELNS1_11target_archE1030ELNS1_3gpuE2ELNS1_3repE0EEENS1_30default_config_static_selectorELNS0_4arch9wavefront6targetE0EEEvSR_.kd
    .uniform_work_group_size: 1
    .uses_dynamic_stack: false
    .vgpr_count:     0
    .vgpr_spill_count: 0
    .wavefront_size: 32
    .workgroup_processor_mode: 1
  - .args:
      - .offset:         0
        .size:           4
        .value_kind:     by_value
      - .address_space:  global
        .offset:         8
        .size:           8
        .value_kind:     global_buffer
      - .address_space:  global
        .offset:         16
        .size:           8
        .value_kind:     global_buffer
      - .address_space:  global
        .offset:         24
        .size:           8
        .value_kind:     global_buffer
      - .address_space:  global
        .offset:         32
        .size:           8
        .value_kind:     global_buffer
      - .offset:         40
        .size:           8
        .value_kind:     by_value
      - .offset:         48
        .size:           8
        .value_kind:     by_value
      - .offset:         56
        .size:           1
        .value_kind:     by_value
      - .offset:         58
        .size:           2
        .value_kind:     by_value
      - .offset:         64
        .size:           8
        .value_kind:     by_value
      - .offset:         72
        .size:           8
        .value_kind:     by_value
      - .offset:         80
        .size:           8
        .value_kind:     by_value
      - .offset:         88
        .size:           8
        .value_kind:     by_value
      - .offset:         96
        .size:           8
        .value_kind:     by_value
      - .offset:         104
        .size:           8
        .value_kind:     by_value
      - .offset:         112
        .size:           8
        .value_kind:     by_value
      - .offset:         120
        .size:           4
        .value_kind:     hidden_block_count_x
      - .offset:         124
        .size:           4
        .value_kind:     hidden_block_count_y
      - .offset:         128
        .size:           4
        .value_kind:     hidden_block_count_z
      - .offset:         132
        .size:           2
        .value_kind:     hidden_group_size_x
      - .offset:         134
        .size:           2
        .value_kind:     hidden_group_size_y
      - .offset:         136
        .size:           2
        .value_kind:     hidden_group_size_z
      - .offset:         138
        .size:           2
        .value_kind:     hidden_remainder_x
      - .offset:         140
        .size:           2
        .value_kind:     hidden_remainder_y
      - .offset:         142
        .size:           2
        .value_kind:     hidden_remainder_z
      - .offset:         160
        .size:           8
        .value_kind:     hidden_global_offset_x
      - .offset:         168
        .size:           8
        .value_kind:     hidden_global_offset_y
      - .offset:         176
        .size:           8
        .value_kind:     hidden_global_offset_z
      - .offset:         184
        .size:           2
        .value_kind:     hidden_grid_dims
    .group_segment_fixed_size: 0
    .kernarg_segment_align: 8
    .kernarg_segment_size: 376
    .language:       OpenCL C
    .language_version:
      - 2
      - 0
    .max_flat_workgroup_size: 1024
    .name:           _ZN2at6native12_GLOBAL__N_129segment_reduce_forward_kernelIN3c108BFloat16EiEEvNS0_13ReductionTypeEPT_PKS6_PKT0_SC_llbS6_lllllll
    .private_segment_fixed_size: 0
    .sgpr_count:     34
    .sgpr_spill_count: 0
    .symbol:         _ZN2at6native12_GLOBAL__N_129segment_reduce_forward_kernelIN3c108BFloat16EiEEvNS0_13ReductionTypeEPT_PKS6_PKT0_SC_llbS6_lllllll.kd
    .uniform_work_group_size: 1
    .uses_dynamic_stack: false
    .vgpr_count:     22
    .vgpr_spill_count: 0
    .wavefront_size: 32
    .workgroup_processor_mode: 1
  - .args:
      - .offset:         0
        .size:           48
        .value_kind:     by_value
    .group_segment_fixed_size: 0
    .kernarg_segment_align: 8
    .kernarg_segment_size: 48
    .language:       OpenCL C
    .language_version:
      - 2
      - 0
    .max_flat_workgroup_size: 256
    .name:           _ZN7rocprim17ROCPRIM_400000_NS6detail17trampoline_kernelINS0_14default_configENS1_32segmented_reduce_config_selectorIN3c108BFloat16EEEZNS1_21segmented_reduce_implIS3_PKS6_PS6_PKiS6_N6hipcub16HIPCUB_304000_NS6detail27convert_result_type_wrapperISA_SB_N2at6native12_GLOBAL__N_19CustomMaxEEEEE10hipError_tPvRmT0_T1_jT2_SS_T4_T3_P12ihipStream_tbEUlT_E_NS1_11comp_targetILNS1_3genE0ELNS1_11target_archE4294967295ELNS1_3gpuE0ELNS1_3repE0EEENS1_30default_config_static_selectorELNS0_4arch9wavefront6targetE0EEEvSR_
    .private_segment_fixed_size: 0
    .sgpr_count:     0
    .sgpr_spill_count: 0
    .symbol:         _ZN7rocprim17ROCPRIM_400000_NS6detail17trampoline_kernelINS0_14default_configENS1_32segmented_reduce_config_selectorIN3c108BFloat16EEEZNS1_21segmented_reduce_implIS3_PKS6_PS6_PKiS6_N6hipcub16HIPCUB_304000_NS6detail27convert_result_type_wrapperISA_SB_N2at6native12_GLOBAL__N_19CustomMaxEEEEE10hipError_tPvRmT0_T1_jT2_SS_T4_T3_P12ihipStream_tbEUlT_E_NS1_11comp_targetILNS1_3genE0ELNS1_11target_archE4294967295ELNS1_3gpuE0ELNS1_3repE0EEENS1_30default_config_static_selectorELNS0_4arch9wavefront6targetE0EEEvSR_.kd
    .uniform_work_group_size: 1
    .uses_dynamic_stack: false
    .vgpr_count:     0
    .vgpr_spill_count: 0
    .wavefront_size: 32
    .workgroup_processor_mode: 1
  - .args:
      - .offset:         0
        .size:           48
        .value_kind:     by_value
    .group_segment_fixed_size: 0
    .kernarg_segment_align: 8
    .kernarg_segment_size: 48
    .language:       OpenCL C
    .language_version:
      - 2
      - 0
    .max_flat_workgroup_size: 256
    .name:           _ZN7rocprim17ROCPRIM_400000_NS6detail17trampoline_kernelINS0_14default_configENS1_32segmented_reduce_config_selectorIN3c108BFloat16EEEZNS1_21segmented_reduce_implIS3_PKS6_PS6_PKiS6_N6hipcub16HIPCUB_304000_NS6detail27convert_result_type_wrapperISA_SB_N2at6native12_GLOBAL__N_19CustomMaxEEEEE10hipError_tPvRmT0_T1_jT2_SS_T4_T3_P12ihipStream_tbEUlT_E_NS1_11comp_targetILNS1_3genE5ELNS1_11target_archE942ELNS1_3gpuE9ELNS1_3repE0EEENS1_30default_config_static_selectorELNS0_4arch9wavefront6targetE0EEEvSR_
    .private_segment_fixed_size: 0
    .sgpr_count:     0
    .sgpr_spill_count: 0
    .symbol:         _ZN7rocprim17ROCPRIM_400000_NS6detail17trampoline_kernelINS0_14default_configENS1_32segmented_reduce_config_selectorIN3c108BFloat16EEEZNS1_21segmented_reduce_implIS3_PKS6_PS6_PKiS6_N6hipcub16HIPCUB_304000_NS6detail27convert_result_type_wrapperISA_SB_N2at6native12_GLOBAL__N_19CustomMaxEEEEE10hipError_tPvRmT0_T1_jT2_SS_T4_T3_P12ihipStream_tbEUlT_E_NS1_11comp_targetILNS1_3genE5ELNS1_11target_archE942ELNS1_3gpuE9ELNS1_3repE0EEENS1_30default_config_static_selectorELNS0_4arch9wavefront6targetE0EEEvSR_.kd
    .uniform_work_group_size: 1
    .uses_dynamic_stack: false
    .vgpr_count:     0
    .vgpr_spill_count: 0
    .wavefront_size: 32
    .workgroup_processor_mode: 1
  - .args:
      - .offset:         0
        .size:           48
        .value_kind:     by_value
    .group_segment_fixed_size: 0
    .kernarg_segment_align: 8
    .kernarg_segment_size: 48
    .language:       OpenCL C
    .language_version:
      - 2
      - 0
    .max_flat_workgroup_size: 256
    .name:           _ZN7rocprim17ROCPRIM_400000_NS6detail17trampoline_kernelINS0_14default_configENS1_32segmented_reduce_config_selectorIN3c108BFloat16EEEZNS1_21segmented_reduce_implIS3_PKS6_PS6_PKiS6_N6hipcub16HIPCUB_304000_NS6detail27convert_result_type_wrapperISA_SB_N2at6native12_GLOBAL__N_19CustomMaxEEEEE10hipError_tPvRmT0_T1_jT2_SS_T4_T3_P12ihipStream_tbEUlT_E_NS1_11comp_targetILNS1_3genE10ELNS1_11target_archE1201ELNS1_3gpuE5ELNS1_3repE0EEENS1_30default_config_static_selectorELNS0_4arch9wavefront6targetE0EEEvSR_
    .private_segment_fixed_size: 0
    .sgpr_count:     0
    .sgpr_spill_count: 0
    .symbol:         _ZN7rocprim17ROCPRIM_400000_NS6detail17trampoline_kernelINS0_14default_configENS1_32segmented_reduce_config_selectorIN3c108BFloat16EEEZNS1_21segmented_reduce_implIS3_PKS6_PS6_PKiS6_N6hipcub16HIPCUB_304000_NS6detail27convert_result_type_wrapperISA_SB_N2at6native12_GLOBAL__N_19CustomMaxEEEEE10hipError_tPvRmT0_T1_jT2_SS_T4_T3_P12ihipStream_tbEUlT_E_NS1_11comp_targetILNS1_3genE10ELNS1_11target_archE1201ELNS1_3gpuE5ELNS1_3repE0EEENS1_30default_config_static_selectorELNS0_4arch9wavefront6targetE0EEEvSR_.kd
    .uniform_work_group_size: 1
    .uses_dynamic_stack: false
    .vgpr_count:     0
    .vgpr_spill_count: 0
    .wavefront_size: 32
    .workgroup_processor_mode: 1
  - .args:
      - .offset:         0
        .size:           48
        .value_kind:     by_value
    .group_segment_fixed_size: 0
    .kernarg_segment_align: 8
    .kernarg_segment_size: 48
    .language:       OpenCL C
    .language_version:
      - 2
      - 0
    .max_flat_workgroup_size: 256
    .name:           _ZN7rocprim17ROCPRIM_400000_NS6detail17trampoline_kernelINS0_14default_configENS1_32segmented_reduce_config_selectorIN3c108BFloat16EEEZNS1_21segmented_reduce_implIS3_PKS6_PS6_PKiS6_N6hipcub16HIPCUB_304000_NS6detail27convert_result_type_wrapperISA_SB_N2at6native12_GLOBAL__N_19CustomMaxEEEEE10hipError_tPvRmT0_T1_jT2_SS_T4_T3_P12ihipStream_tbEUlT_E_NS1_11comp_targetILNS1_3genE4ELNS1_11target_archE910ELNS1_3gpuE8ELNS1_3repE0EEENS1_30default_config_static_selectorELNS0_4arch9wavefront6targetE0EEEvSR_
    .private_segment_fixed_size: 0
    .sgpr_count:     0
    .sgpr_spill_count: 0
    .symbol:         _ZN7rocprim17ROCPRIM_400000_NS6detail17trampoline_kernelINS0_14default_configENS1_32segmented_reduce_config_selectorIN3c108BFloat16EEEZNS1_21segmented_reduce_implIS3_PKS6_PS6_PKiS6_N6hipcub16HIPCUB_304000_NS6detail27convert_result_type_wrapperISA_SB_N2at6native12_GLOBAL__N_19CustomMaxEEEEE10hipError_tPvRmT0_T1_jT2_SS_T4_T3_P12ihipStream_tbEUlT_E_NS1_11comp_targetILNS1_3genE4ELNS1_11target_archE910ELNS1_3gpuE8ELNS1_3repE0EEENS1_30default_config_static_selectorELNS0_4arch9wavefront6targetE0EEEvSR_.kd
    .uniform_work_group_size: 1
    .uses_dynamic_stack: false
    .vgpr_count:     0
    .vgpr_spill_count: 0
    .wavefront_size: 32
    .workgroup_processor_mode: 1
  - .args:
      - .offset:         0
        .size:           48
        .value_kind:     by_value
    .group_segment_fixed_size: 0
    .kernarg_segment_align: 8
    .kernarg_segment_size: 48
    .language:       OpenCL C
    .language_version:
      - 2
      - 0
    .max_flat_workgroup_size: 256
    .name:           _ZN7rocprim17ROCPRIM_400000_NS6detail17trampoline_kernelINS0_14default_configENS1_32segmented_reduce_config_selectorIN3c108BFloat16EEEZNS1_21segmented_reduce_implIS3_PKS6_PS6_PKiS6_N6hipcub16HIPCUB_304000_NS6detail27convert_result_type_wrapperISA_SB_N2at6native12_GLOBAL__N_19CustomMaxEEEEE10hipError_tPvRmT0_T1_jT2_SS_T4_T3_P12ihipStream_tbEUlT_E_NS1_11comp_targetILNS1_3genE3ELNS1_11target_archE908ELNS1_3gpuE7ELNS1_3repE0EEENS1_30default_config_static_selectorELNS0_4arch9wavefront6targetE0EEEvSR_
    .private_segment_fixed_size: 0
    .sgpr_count:     0
    .sgpr_spill_count: 0
    .symbol:         _ZN7rocprim17ROCPRIM_400000_NS6detail17trampoline_kernelINS0_14default_configENS1_32segmented_reduce_config_selectorIN3c108BFloat16EEEZNS1_21segmented_reduce_implIS3_PKS6_PS6_PKiS6_N6hipcub16HIPCUB_304000_NS6detail27convert_result_type_wrapperISA_SB_N2at6native12_GLOBAL__N_19CustomMaxEEEEE10hipError_tPvRmT0_T1_jT2_SS_T4_T3_P12ihipStream_tbEUlT_E_NS1_11comp_targetILNS1_3genE3ELNS1_11target_archE908ELNS1_3gpuE7ELNS1_3repE0EEENS1_30default_config_static_selectorELNS0_4arch9wavefront6targetE0EEEvSR_.kd
    .uniform_work_group_size: 1
    .uses_dynamic_stack: false
    .vgpr_count:     0
    .vgpr_spill_count: 0
    .wavefront_size: 32
    .workgroup_processor_mode: 1
  - .args:
      - .offset:         0
        .size:           48
        .value_kind:     by_value
    .group_segment_fixed_size: 0
    .kernarg_segment_align: 8
    .kernarg_segment_size: 48
    .language:       OpenCL C
    .language_version:
      - 2
      - 0
    .max_flat_workgroup_size: 256
    .name:           _ZN7rocprim17ROCPRIM_400000_NS6detail17trampoline_kernelINS0_14default_configENS1_32segmented_reduce_config_selectorIN3c108BFloat16EEEZNS1_21segmented_reduce_implIS3_PKS6_PS6_PKiS6_N6hipcub16HIPCUB_304000_NS6detail27convert_result_type_wrapperISA_SB_N2at6native12_GLOBAL__N_19CustomMaxEEEEE10hipError_tPvRmT0_T1_jT2_SS_T4_T3_P12ihipStream_tbEUlT_E_NS1_11comp_targetILNS1_3genE2ELNS1_11target_archE906ELNS1_3gpuE6ELNS1_3repE0EEENS1_30default_config_static_selectorELNS0_4arch9wavefront6targetE0EEEvSR_
    .private_segment_fixed_size: 0
    .sgpr_count:     0
    .sgpr_spill_count: 0
    .symbol:         _ZN7rocprim17ROCPRIM_400000_NS6detail17trampoline_kernelINS0_14default_configENS1_32segmented_reduce_config_selectorIN3c108BFloat16EEEZNS1_21segmented_reduce_implIS3_PKS6_PS6_PKiS6_N6hipcub16HIPCUB_304000_NS6detail27convert_result_type_wrapperISA_SB_N2at6native12_GLOBAL__N_19CustomMaxEEEEE10hipError_tPvRmT0_T1_jT2_SS_T4_T3_P12ihipStream_tbEUlT_E_NS1_11comp_targetILNS1_3genE2ELNS1_11target_archE906ELNS1_3gpuE6ELNS1_3repE0EEENS1_30default_config_static_selectorELNS0_4arch9wavefront6targetE0EEEvSR_.kd
    .uniform_work_group_size: 1
    .uses_dynamic_stack: false
    .vgpr_count:     0
    .vgpr_spill_count: 0
    .wavefront_size: 32
    .workgroup_processor_mode: 1
  - .args:
      - .offset:         0
        .size:           48
        .value_kind:     by_value
    .group_segment_fixed_size: 16
    .kernarg_segment_align: 8
    .kernarg_segment_size: 48
    .language:       OpenCL C
    .language_version:
      - 2
      - 0
    .max_flat_workgroup_size: 256
    .name:           _ZN7rocprim17ROCPRIM_400000_NS6detail17trampoline_kernelINS0_14default_configENS1_32segmented_reduce_config_selectorIN3c108BFloat16EEEZNS1_21segmented_reduce_implIS3_PKS6_PS6_PKiS6_N6hipcub16HIPCUB_304000_NS6detail27convert_result_type_wrapperISA_SB_N2at6native12_GLOBAL__N_19CustomMaxEEEEE10hipError_tPvRmT0_T1_jT2_SS_T4_T3_P12ihipStream_tbEUlT_E_NS1_11comp_targetILNS1_3genE9ELNS1_11target_archE1100ELNS1_3gpuE3ELNS1_3repE0EEENS1_30default_config_static_selectorELNS0_4arch9wavefront6targetE0EEEvSR_
    .private_segment_fixed_size: 0
    .sgpr_count:     33
    .sgpr_spill_count: 0
    .symbol:         _ZN7rocprim17ROCPRIM_400000_NS6detail17trampoline_kernelINS0_14default_configENS1_32segmented_reduce_config_selectorIN3c108BFloat16EEEZNS1_21segmented_reduce_implIS3_PKS6_PS6_PKiS6_N6hipcub16HIPCUB_304000_NS6detail27convert_result_type_wrapperISA_SB_N2at6native12_GLOBAL__N_19CustomMaxEEEEE10hipError_tPvRmT0_T1_jT2_SS_T4_T3_P12ihipStream_tbEUlT_E_NS1_11comp_targetILNS1_3genE9ELNS1_11target_archE1100ELNS1_3gpuE3ELNS1_3repE0EEENS1_30default_config_static_selectorELNS0_4arch9wavefront6targetE0EEEvSR_.kd
    .uniform_work_group_size: 1
    .uses_dynamic_stack: false
    .vgpr_count:     24
    .vgpr_spill_count: 0
    .wavefront_size: 32
    .workgroup_processor_mode: 1
  - .args:
      - .offset:         0
        .size:           48
        .value_kind:     by_value
    .group_segment_fixed_size: 0
    .kernarg_segment_align: 8
    .kernarg_segment_size: 48
    .language:       OpenCL C
    .language_version:
      - 2
      - 0
    .max_flat_workgroup_size: 256
    .name:           _ZN7rocprim17ROCPRIM_400000_NS6detail17trampoline_kernelINS0_14default_configENS1_32segmented_reduce_config_selectorIN3c108BFloat16EEEZNS1_21segmented_reduce_implIS3_PKS6_PS6_PKiS6_N6hipcub16HIPCUB_304000_NS6detail27convert_result_type_wrapperISA_SB_N2at6native12_GLOBAL__N_19CustomMaxEEEEE10hipError_tPvRmT0_T1_jT2_SS_T4_T3_P12ihipStream_tbEUlT_E_NS1_11comp_targetILNS1_3genE8ELNS1_11target_archE1030ELNS1_3gpuE2ELNS1_3repE0EEENS1_30default_config_static_selectorELNS0_4arch9wavefront6targetE0EEEvSR_
    .private_segment_fixed_size: 0
    .sgpr_count:     0
    .sgpr_spill_count: 0
    .symbol:         _ZN7rocprim17ROCPRIM_400000_NS6detail17trampoline_kernelINS0_14default_configENS1_32segmented_reduce_config_selectorIN3c108BFloat16EEEZNS1_21segmented_reduce_implIS3_PKS6_PS6_PKiS6_N6hipcub16HIPCUB_304000_NS6detail27convert_result_type_wrapperISA_SB_N2at6native12_GLOBAL__N_19CustomMaxEEEEE10hipError_tPvRmT0_T1_jT2_SS_T4_T3_P12ihipStream_tbEUlT_E_NS1_11comp_targetILNS1_3genE8ELNS1_11target_archE1030ELNS1_3gpuE2ELNS1_3repE0EEENS1_30default_config_static_selectorELNS0_4arch9wavefront6targetE0EEEvSR_.kd
    .uniform_work_group_size: 1
    .uses_dynamic_stack: false
    .vgpr_count:     0
    .vgpr_spill_count: 0
    .wavefront_size: 32
    .workgroup_processor_mode: 1
  - .args:
      - .offset:         0
        .size:           48
        .value_kind:     by_value
    .group_segment_fixed_size: 0
    .kernarg_segment_align: 8
    .kernarg_segment_size: 48
    .language:       OpenCL C
    .language_version:
      - 2
      - 0
    .max_flat_workgroup_size: 256
    .name:           _ZN7rocprim17ROCPRIM_400000_NS6detail17trampoline_kernelINS0_14default_configENS1_32segmented_reduce_config_selectorIN3c108BFloat16EEEZNS1_21segmented_reduce_implIS3_PKS6_PS6_PKiS6_N6hipcub16HIPCUB_304000_NS6detail27convert_result_type_wrapperISA_SB_N2at6native12_GLOBAL__N_19CustomSumEEEEE10hipError_tPvRmT0_T1_jT2_SS_T4_T3_P12ihipStream_tbEUlT_E_NS1_11comp_targetILNS1_3genE0ELNS1_11target_archE4294967295ELNS1_3gpuE0ELNS1_3repE0EEENS1_30default_config_static_selectorELNS0_4arch9wavefront6targetE0EEEvSR_
    .private_segment_fixed_size: 0
    .sgpr_count:     0
    .sgpr_spill_count: 0
    .symbol:         _ZN7rocprim17ROCPRIM_400000_NS6detail17trampoline_kernelINS0_14default_configENS1_32segmented_reduce_config_selectorIN3c108BFloat16EEEZNS1_21segmented_reduce_implIS3_PKS6_PS6_PKiS6_N6hipcub16HIPCUB_304000_NS6detail27convert_result_type_wrapperISA_SB_N2at6native12_GLOBAL__N_19CustomSumEEEEE10hipError_tPvRmT0_T1_jT2_SS_T4_T3_P12ihipStream_tbEUlT_E_NS1_11comp_targetILNS1_3genE0ELNS1_11target_archE4294967295ELNS1_3gpuE0ELNS1_3repE0EEENS1_30default_config_static_selectorELNS0_4arch9wavefront6targetE0EEEvSR_.kd
    .uniform_work_group_size: 1
    .uses_dynamic_stack: false
    .vgpr_count:     0
    .vgpr_spill_count: 0
    .wavefront_size: 32
    .workgroup_processor_mode: 1
  - .args:
      - .offset:         0
        .size:           48
        .value_kind:     by_value
    .group_segment_fixed_size: 0
    .kernarg_segment_align: 8
    .kernarg_segment_size: 48
    .language:       OpenCL C
    .language_version:
      - 2
      - 0
    .max_flat_workgroup_size: 256
    .name:           _ZN7rocprim17ROCPRIM_400000_NS6detail17trampoline_kernelINS0_14default_configENS1_32segmented_reduce_config_selectorIN3c108BFloat16EEEZNS1_21segmented_reduce_implIS3_PKS6_PS6_PKiS6_N6hipcub16HIPCUB_304000_NS6detail27convert_result_type_wrapperISA_SB_N2at6native12_GLOBAL__N_19CustomSumEEEEE10hipError_tPvRmT0_T1_jT2_SS_T4_T3_P12ihipStream_tbEUlT_E_NS1_11comp_targetILNS1_3genE5ELNS1_11target_archE942ELNS1_3gpuE9ELNS1_3repE0EEENS1_30default_config_static_selectorELNS0_4arch9wavefront6targetE0EEEvSR_
    .private_segment_fixed_size: 0
    .sgpr_count:     0
    .sgpr_spill_count: 0
    .symbol:         _ZN7rocprim17ROCPRIM_400000_NS6detail17trampoline_kernelINS0_14default_configENS1_32segmented_reduce_config_selectorIN3c108BFloat16EEEZNS1_21segmented_reduce_implIS3_PKS6_PS6_PKiS6_N6hipcub16HIPCUB_304000_NS6detail27convert_result_type_wrapperISA_SB_N2at6native12_GLOBAL__N_19CustomSumEEEEE10hipError_tPvRmT0_T1_jT2_SS_T4_T3_P12ihipStream_tbEUlT_E_NS1_11comp_targetILNS1_3genE5ELNS1_11target_archE942ELNS1_3gpuE9ELNS1_3repE0EEENS1_30default_config_static_selectorELNS0_4arch9wavefront6targetE0EEEvSR_.kd
    .uniform_work_group_size: 1
    .uses_dynamic_stack: false
    .vgpr_count:     0
    .vgpr_spill_count: 0
    .wavefront_size: 32
    .workgroup_processor_mode: 1
  - .args:
      - .offset:         0
        .size:           48
        .value_kind:     by_value
    .group_segment_fixed_size: 0
    .kernarg_segment_align: 8
    .kernarg_segment_size: 48
    .language:       OpenCL C
    .language_version:
      - 2
      - 0
    .max_flat_workgroup_size: 256
    .name:           _ZN7rocprim17ROCPRIM_400000_NS6detail17trampoline_kernelINS0_14default_configENS1_32segmented_reduce_config_selectorIN3c108BFloat16EEEZNS1_21segmented_reduce_implIS3_PKS6_PS6_PKiS6_N6hipcub16HIPCUB_304000_NS6detail27convert_result_type_wrapperISA_SB_N2at6native12_GLOBAL__N_19CustomSumEEEEE10hipError_tPvRmT0_T1_jT2_SS_T4_T3_P12ihipStream_tbEUlT_E_NS1_11comp_targetILNS1_3genE10ELNS1_11target_archE1201ELNS1_3gpuE5ELNS1_3repE0EEENS1_30default_config_static_selectorELNS0_4arch9wavefront6targetE0EEEvSR_
    .private_segment_fixed_size: 0
    .sgpr_count:     0
    .sgpr_spill_count: 0
    .symbol:         _ZN7rocprim17ROCPRIM_400000_NS6detail17trampoline_kernelINS0_14default_configENS1_32segmented_reduce_config_selectorIN3c108BFloat16EEEZNS1_21segmented_reduce_implIS3_PKS6_PS6_PKiS6_N6hipcub16HIPCUB_304000_NS6detail27convert_result_type_wrapperISA_SB_N2at6native12_GLOBAL__N_19CustomSumEEEEE10hipError_tPvRmT0_T1_jT2_SS_T4_T3_P12ihipStream_tbEUlT_E_NS1_11comp_targetILNS1_3genE10ELNS1_11target_archE1201ELNS1_3gpuE5ELNS1_3repE0EEENS1_30default_config_static_selectorELNS0_4arch9wavefront6targetE0EEEvSR_.kd
    .uniform_work_group_size: 1
    .uses_dynamic_stack: false
    .vgpr_count:     0
    .vgpr_spill_count: 0
    .wavefront_size: 32
    .workgroup_processor_mode: 1
  - .args:
      - .offset:         0
        .size:           48
        .value_kind:     by_value
    .group_segment_fixed_size: 0
    .kernarg_segment_align: 8
    .kernarg_segment_size: 48
    .language:       OpenCL C
    .language_version:
      - 2
      - 0
    .max_flat_workgroup_size: 256
    .name:           _ZN7rocprim17ROCPRIM_400000_NS6detail17trampoline_kernelINS0_14default_configENS1_32segmented_reduce_config_selectorIN3c108BFloat16EEEZNS1_21segmented_reduce_implIS3_PKS6_PS6_PKiS6_N6hipcub16HIPCUB_304000_NS6detail27convert_result_type_wrapperISA_SB_N2at6native12_GLOBAL__N_19CustomSumEEEEE10hipError_tPvRmT0_T1_jT2_SS_T4_T3_P12ihipStream_tbEUlT_E_NS1_11comp_targetILNS1_3genE4ELNS1_11target_archE910ELNS1_3gpuE8ELNS1_3repE0EEENS1_30default_config_static_selectorELNS0_4arch9wavefront6targetE0EEEvSR_
    .private_segment_fixed_size: 0
    .sgpr_count:     0
    .sgpr_spill_count: 0
    .symbol:         _ZN7rocprim17ROCPRIM_400000_NS6detail17trampoline_kernelINS0_14default_configENS1_32segmented_reduce_config_selectorIN3c108BFloat16EEEZNS1_21segmented_reduce_implIS3_PKS6_PS6_PKiS6_N6hipcub16HIPCUB_304000_NS6detail27convert_result_type_wrapperISA_SB_N2at6native12_GLOBAL__N_19CustomSumEEEEE10hipError_tPvRmT0_T1_jT2_SS_T4_T3_P12ihipStream_tbEUlT_E_NS1_11comp_targetILNS1_3genE4ELNS1_11target_archE910ELNS1_3gpuE8ELNS1_3repE0EEENS1_30default_config_static_selectorELNS0_4arch9wavefront6targetE0EEEvSR_.kd
    .uniform_work_group_size: 1
    .uses_dynamic_stack: false
    .vgpr_count:     0
    .vgpr_spill_count: 0
    .wavefront_size: 32
    .workgroup_processor_mode: 1
  - .args:
      - .offset:         0
        .size:           48
        .value_kind:     by_value
    .group_segment_fixed_size: 0
    .kernarg_segment_align: 8
    .kernarg_segment_size: 48
    .language:       OpenCL C
    .language_version:
      - 2
      - 0
    .max_flat_workgroup_size: 256
    .name:           _ZN7rocprim17ROCPRIM_400000_NS6detail17trampoline_kernelINS0_14default_configENS1_32segmented_reduce_config_selectorIN3c108BFloat16EEEZNS1_21segmented_reduce_implIS3_PKS6_PS6_PKiS6_N6hipcub16HIPCUB_304000_NS6detail27convert_result_type_wrapperISA_SB_N2at6native12_GLOBAL__N_19CustomSumEEEEE10hipError_tPvRmT0_T1_jT2_SS_T4_T3_P12ihipStream_tbEUlT_E_NS1_11comp_targetILNS1_3genE3ELNS1_11target_archE908ELNS1_3gpuE7ELNS1_3repE0EEENS1_30default_config_static_selectorELNS0_4arch9wavefront6targetE0EEEvSR_
    .private_segment_fixed_size: 0
    .sgpr_count:     0
    .sgpr_spill_count: 0
    .symbol:         _ZN7rocprim17ROCPRIM_400000_NS6detail17trampoline_kernelINS0_14default_configENS1_32segmented_reduce_config_selectorIN3c108BFloat16EEEZNS1_21segmented_reduce_implIS3_PKS6_PS6_PKiS6_N6hipcub16HIPCUB_304000_NS6detail27convert_result_type_wrapperISA_SB_N2at6native12_GLOBAL__N_19CustomSumEEEEE10hipError_tPvRmT0_T1_jT2_SS_T4_T3_P12ihipStream_tbEUlT_E_NS1_11comp_targetILNS1_3genE3ELNS1_11target_archE908ELNS1_3gpuE7ELNS1_3repE0EEENS1_30default_config_static_selectorELNS0_4arch9wavefront6targetE0EEEvSR_.kd
    .uniform_work_group_size: 1
    .uses_dynamic_stack: false
    .vgpr_count:     0
    .vgpr_spill_count: 0
    .wavefront_size: 32
    .workgroup_processor_mode: 1
  - .args:
      - .offset:         0
        .size:           48
        .value_kind:     by_value
    .group_segment_fixed_size: 0
    .kernarg_segment_align: 8
    .kernarg_segment_size: 48
    .language:       OpenCL C
    .language_version:
      - 2
      - 0
    .max_flat_workgroup_size: 256
    .name:           _ZN7rocprim17ROCPRIM_400000_NS6detail17trampoline_kernelINS0_14default_configENS1_32segmented_reduce_config_selectorIN3c108BFloat16EEEZNS1_21segmented_reduce_implIS3_PKS6_PS6_PKiS6_N6hipcub16HIPCUB_304000_NS6detail27convert_result_type_wrapperISA_SB_N2at6native12_GLOBAL__N_19CustomSumEEEEE10hipError_tPvRmT0_T1_jT2_SS_T4_T3_P12ihipStream_tbEUlT_E_NS1_11comp_targetILNS1_3genE2ELNS1_11target_archE906ELNS1_3gpuE6ELNS1_3repE0EEENS1_30default_config_static_selectorELNS0_4arch9wavefront6targetE0EEEvSR_
    .private_segment_fixed_size: 0
    .sgpr_count:     0
    .sgpr_spill_count: 0
    .symbol:         _ZN7rocprim17ROCPRIM_400000_NS6detail17trampoline_kernelINS0_14default_configENS1_32segmented_reduce_config_selectorIN3c108BFloat16EEEZNS1_21segmented_reduce_implIS3_PKS6_PS6_PKiS6_N6hipcub16HIPCUB_304000_NS6detail27convert_result_type_wrapperISA_SB_N2at6native12_GLOBAL__N_19CustomSumEEEEE10hipError_tPvRmT0_T1_jT2_SS_T4_T3_P12ihipStream_tbEUlT_E_NS1_11comp_targetILNS1_3genE2ELNS1_11target_archE906ELNS1_3gpuE6ELNS1_3repE0EEENS1_30default_config_static_selectorELNS0_4arch9wavefront6targetE0EEEvSR_.kd
    .uniform_work_group_size: 1
    .uses_dynamic_stack: false
    .vgpr_count:     0
    .vgpr_spill_count: 0
    .wavefront_size: 32
    .workgroup_processor_mode: 1
  - .args:
      - .offset:         0
        .size:           48
        .value_kind:     by_value
    .group_segment_fixed_size: 16
    .kernarg_segment_align: 8
    .kernarg_segment_size: 48
    .language:       OpenCL C
    .language_version:
      - 2
      - 0
    .max_flat_workgroup_size: 256
    .name:           _ZN7rocprim17ROCPRIM_400000_NS6detail17trampoline_kernelINS0_14default_configENS1_32segmented_reduce_config_selectorIN3c108BFloat16EEEZNS1_21segmented_reduce_implIS3_PKS6_PS6_PKiS6_N6hipcub16HIPCUB_304000_NS6detail27convert_result_type_wrapperISA_SB_N2at6native12_GLOBAL__N_19CustomSumEEEEE10hipError_tPvRmT0_T1_jT2_SS_T4_T3_P12ihipStream_tbEUlT_E_NS1_11comp_targetILNS1_3genE9ELNS1_11target_archE1100ELNS1_3gpuE3ELNS1_3repE0EEENS1_30default_config_static_selectorELNS0_4arch9wavefront6targetE0EEEvSR_
    .private_segment_fixed_size: 0
    .sgpr_count:     33
    .sgpr_spill_count: 0
    .symbol:         _ZN7rocprim17ROCPRIM_400000_NS6detail17trampoline_kernelINS0_14default_configENS1_32segmented_reduce_config_selectorIN3c108BFloat16EEEZNS1_21segmented_reduce_implIS3_PKS6_PS6_PKiS6_N6hipcub16HIPCUB_304000_NS6detail27convert_result_type_wrapperISA_SB_N2at6native12_GLOBAL__N_19CustomSumEEEEE10hipError_tPvRmT0_T1_jT2_SS_T4_T3_P12ihipStream_tbEUlT_E_NS1_11comp_targetILNS1_3genE9ELNS1_11target_archE1100ELNS1_3gpuE3ELNS1_3repE0EEENS1_30default_config_static_selectorELNS0_4arch9wavefront6targetE0EEEvSR_.kd
    .uniform_work_group_size: 1
    .uses_dynamic_stack: false
    .vgpr_count:     24
    .vgpr_spill_count: 0
    .wavefront_size: 32
    .workgroup_processor_mode: 1
  - .args:
      - .offset:         0
        .size:           48
        .value_kind:     by_value
    .group_segment_fixed_size: 0
    .kernarg_segment_align: 8
    .kernarg_segment_size: 48
    .language:       OpenCL C
    .language_version:
      - 2
      - 0
    .max_flat_workgroup_size: 256
    .name:           _ZN7rocprim17ROCPRIM_400000_NS6detail17trampoline_kernelINS0_14default_configENS1_32segmented_reduce_config_selectorIN3c108BFloat16EEEZNS1_21segmented_reduce_implIS3_PKS6_PS6_PKiS6_N6hipcub16HIPCUB_304000_NS6detail27convert_result_type_wrapperISA_SB_N2at6native12_GLOBAL__N_19CustomSumEEEEE10hipError_tPvRmT0_T1_jT2_SS_T4_T3_P12ihipStream_tbEUlT_E_NS1_11comp_targetILNS1_3genE8ELNS1_11target_archE1030ELNS1_3gpuE2ELNS1_3repE0EEENS1_30default_config_static_selectorELNS0_4arch9wavefront6targetE0EEEvSR_
    .private_segment_fixed_size: 0
    .sgpr_count:     0
    .sgpr_spill_count: 0
    .symbol:         _ZN7rocprim17ROCPRIM_400000_NS6detail17trampoline_kernelINS0_14default_configENS1_32segmented_reduce_config_selectorIN3c108BFloat16EEEZNS1_21segmented_reduce_implIS3_PKS6_PS6_PKiS6_N6hipcub16HIPCUB_304000_NS6detail27convert_result_type_wrapperISA_SB_N2at6native12_GLOBAL__N_19CustomSumEEEEE10hipError_tPvRmT0_T1_jT2_SS_T4_T3_P12ihipStream_tbEUlT_E_NS1_11comp_targetILNS1_3genE8ELNS1_11target_archE1030ELNS1_3gpuE2ELNS1_3repE0EEENS1_30default_config_static_selectorELNS0_4arch9wavefront6targetE0EEEvSR_.kd
    .uniform_work_group_size: 1
    .uses_dynamic_stack: false
    .vgpr_count:     0
    .vgpr_spill_count: 0
    .wavefront_size: 32
    .workgroup_processor_mode: 1
  - .args:
      - .address_space:  global
        .offset:         0
        .size:           8
        .value_kind:     global_buffer
      - .address_space:  global
        .offset:         8
        .size:           8
        .value_kind:     global_buffer
      - .offset:         16
        .size:           8
        .value_kind:     by_value
      - .offset:         24
        .size:           1
        .value_kind:     by_value
      - .offset:         26
        .size:           2
        .value_kind:     by_value
      - .offset:         32
        .size:           4
        .value_kind:     hidden_block_count_x
      - .offset:         36
        .size:           4
        .value_kind:     hidden_block_count_y
      - .offset:         40
        .size:           4
        .value_kind:     hidden_block_count_z
      - .offset:         44
        .size:           2
        .value_kind:     hidden_group_size_x
      - .offset:         46
        .size:           2
        .value_kind:     hidden_group_size_y
      - .offset:         48
        .size:           2
        .value_kind:     hidden_group_size_z
      - .offset:         50
        .size:           2
        .value_kind:     hidden_remainder_x
      - .offset:         52
        .size:           2
        .value_kind:     hidden_remainder_y
      - .offset:         54
        .size:           2
        .value_kind:     hidden_remainder_z
      - .offset:         72
        .size:           8
        .value_kind:     hidden_global_offset_x
      - .offset:         80
        .size:           8
        .value_kind:     hidden_global_offset_y
      - .offset:         88
        .size:           8
        .value_kind:     hidden_global_offset_z
      - .offset:         96
        .size:           2
        .value_kind:     hidden_grid_dims
    .group_segment_fixed_size: 0
    .kernarg_segment_align: 8
    .kernarg_segment_size: 288
    .language:       OpenCL C
    .language_version:
      - 2
      - 0
    .max_flat_workgroup_size: 1024
    .name:           _ZN2at6native12_GLOBAL__N_119post_sum_div_kernelIN3c108BFloat16EiEEvPT_PKT0_lbS5_
    .private_segment_fixed_size: 0
    .sgpr_count:     19
    .sgpr_spill_count: 0
    .symbol:         _ZN2at6native12_GLOBAL__N_119post_sum_div_kernelIN3c108BFloat16EiEEvPT_PKT0_lbS5_.kd
    .uniform_work_group_size: 1
    .uses_dynamic_stack: false
    .vgpr_count:     13
    .vgpr_spill_count: 0
    .wavefront_size: 32
    .workgroup_processor_mode: 1
  - .args:
      - .offset:         0
        .size:           48
        .value_kind:     by_value
    .group_segment_fixed_size: 0
    .kernarg_segment_align: 8
    .kernarg_segment_size: 48
    .language:       OpenCL C
    .language_version:
      - 2
      - 0
    .max_flat_workgroup_size: 256
    .name:           _ZN7rocprim17ROCPRIM_400000_NS6detail17trampoline_kernelINS0_14default_configENS1_32segmented_reduce_config_selectorIN3c108BFloat16EEEZNS1_21segmented_reduce_implIS3_PKS6_PS6_PKiS6_N6hipcub16HIPCUB_304000_NS6detail27convert_result_type_wrapperISA_SB_N2at6native12_GLOBAL__N_19CustomMinEEEEE10hipError_tPvRmT0_T1_jT2_SS_T4_T3_P12ihipStream_tbEUlT_E_NS1_11comp_targetILNS1_3genE0ELNS1_11target_archE4294967295ELNS1_3gpuE0ELNS1_3repE0EEENS1_30default_config_static_selectorELNS0_4arch9wavefront6targetE0EEEvSR_
    .private_segment_fixed_size: 0
    .sgpr_count:     0
    .sgpr_spill_count: 0
    .symbol:         _ZN7rocprim17ROCPRIM_400000_NS6detail17trampoline_kernelINS0_14default_configENS1_32segmented_reduce_config_selectorIN3c108BFloat16EEEZNS1_21segmented_reduce_implIS3_PKS6_PS6_PKiS6_N6hipcub16HIPCUB_304000_NS6detail27convert_result_type_wrapperISA_SB_N2at6native12_GLOBAL__N_19CustomMinEEEEE10hipError_tPvRmT0_T1_jT2_SS_T4_T3_P12ihipStream_tbEUlT_E_NS1_11comp_targetILNS1_3genE0ELNS1_11target_archE4294967295ELNS1_3gpuE0ELNS1_3repE0EEENS1_30default_config_static_selectorELNS0_4arch9wavefront6targetE0EEEvSR_.kd
    .uniform_work_group_size: 1
    .uses_dynamic_stack: false
    .vgpr_count:     0
    .vgpr_spill_count: 0
    .wavefront_size: 32
    .workgroup_processor_mode: 1
  - .args:
      - .offset:         0
        .size:           48
        .value_kind:     by_value
    .group_segment_fixed_size: 0
    .kernarg_segment_align: 8
    .kernarg_segment_size: 48
    .language:       OpenCL C
    .language_version:
      - 2
      - 0
    .max_flat_workgroup_size: 256
    .name:           _ZN7rocprim17ROCPRIM_400000_NS6detail17trampoline_kernelINS0_14default_configENS1_32segmented_reduce_config_selectorIN3c108BFloat16EEEZNS1_21segmented_reduce_implIS3_PKS6_PS6_PKiS6_N6hipcub16HIPCUB_304000_NS6detail27convert_result_type_wrapperISA_SB_N2at6native12_GLOBAL__N_19CustomMinEEEEE10hipError_tPvRmT0_T1_jT2_SS_T4_T3_P12ihipStream_tbEUlT_E_NS1_11comp_targetILNS1_3genE5ELNS1_11target_archE942ELNS1_3gpuE9ELNS1_3repE0EEENS1_30default_config_static_selectorELNS0_4arch9wavefront6targetE0EEEvSR_
    .private_segment_fixed_size: 0
    .sgpr_count:     0
    .sgpr_spill_count: 0
    .symbol:         _ZN7rocprim17ROCPRIM_400000_NS6detail17trampoline_kernelINS0_14default_configENS1_32segmented_reduce_config_selectorIN3c108BFloat16EEEZNS1_21segmented_reduce_implIS3_PKS6_PS6_PKiS6_N6hipcub16HIPCUB_304000_NS6detail27convert_result_type_wrapperISA_SB_N2at6native12_GLOBAL__N_19CustomMinEEEEE10hipError_tPvRmT0_T1_jT2_SS_T4_T3_P12ihipStream_tbEUlT_E_NS1_11comp_targetILNS1_3genE5ELNS1_11target_archE942ELNS1_3gpuE9ELNS1_3repE0EEENS1_30default_config_static_selectorELNS0_4arch9wavefront6targetE0EEEvSR_.kd
    .uniform_work_group_size: 1
    .uses_dynamic_stack: false
    .vgpr_count:     0
    .vgpr_spill_count: 0
    .wavefront_size: 32
    .workgroup_processor_mode: 1
  - .args:
      - .offset:         0
        .size:           48
        .value_kind:     by_value
    .group_segment_fixed_size: 0
    .kernarg_segment_align: 8
    .kernarg_segment_size: 48
    .language:       OpenCL C
    .language_version:
      - 2
      - 0
    .max_flat_workgroup_size: 256
    .name:           _ZN7rocprim17ROCPRIM_400000_NS6detail17trampoline_kernelINS0_14default_configENS1_32segmented_reduce_config_selectorIN3c108BFloat16EEEZNS1_21segmented_reduce_implIS3_PKS6_PS6_PKiS6_N6hipcub16HIPCUB_304000_NS6detail27convert_result_type_wrapperISA_SB_N2at6native12_GLOBAL__N_19CustomMinEEEEE10hipError_tPvRmT0_T1_jT2_SS_T4_T3_P12ihipStream_tbEUlT_E_NS1_11comp_targetILNS1_3genE10ELNS1_11target_archE1201ELNS1_3gpuE5ELNS1_3repE0EEENS1_30default_config_static_selectorELNS0_4arch9wavefront6targetE0EEEvSR_
    .private_segment_fixed_size: 0
    .sgpr_count:     0
    .sgpr_spill_count: 0
    .symbol:         _ZN7rocprim17ROCPRIM_400000_NS6detail17trampoline_kernelINS0_14default_configENS1_32segmented_reduce_config_selectorIN3c108BFloat16EEEZNS1_21segmented_reduce_implIS3_PKS6_PS6_PKiS6_N6hipcub16HIPCUB_304000_NS6detail27convert_result_type_wrapperISA_SB_N2at6native12_GLOBAL__N_19CustomMinEEEEE10hipError_tPvRmT0_T1_jT2_SS_T4_T3_P12ihipStream_tbEUlT_E_NS1_11comp_targetILNS1_3genE10ELNS1_11target_archE1201ELNS1_3gpuE5ELNS1_3repE0EEENS1_30default_config_static_selectorELNS0_4arch9wavefront6targetE0EEEvSR_.kd
    .uniform_work_group_size: 1
    .uses_dynamic_stack: false
    .vgpr_count:     0
    .vgpr_spill_count: 0
    .wavefront_size: 32
    .workgroup_processor_mode: 1
  - .args:
      - .offset:         0
        .size:           48
        .value_kind:     by_value
    .group_segment_fixed_size: 0
    .kernarg_segment_align: 8
    .kernarg_segment_size: 48
    .language:       OpenCL C
    .language_version:
      - 2
      - 0
    .max_flat_workgroup_size: 256
    .name:           _ZN7rocprim17ROCPRIM_400000_NS6detail17trampoline_kernelINS0_14default_configENS1_32segmented_reduce_config_selectorIN3c108BFloat16EEEZNS1_21segmented_reduce_implIS3_PKS6_PS6_PKiS6_N6hipcub16HIPCUB_304000_NS6detail27convert_result_type_wrapperISA_SB_N2at6native12_GLOBAL__N_19CustomMinEEEEE10hipError_tPvRmT0_T1_jT2_SS_T4_T3_P12ihipStream_tbEUlT_E_NS1_11comp_targetILNS1_3genE4ELNS1_11target_archE910ELNS1_3gpuE8ELNS1_3repE0EEENS1_30default_config_static_selectorELNS0_4arch9wavefront6targetE0EEEvSR_
    .private_segment_fixed_size: 0
    .sgpr_count:     0
    .sgpr_spill_count: 0
    .symbol:         _ZN7rocprim17ROCPRIM_400000_NS6detail17trampoline_kernelINS0_14default_configENS1_32segmented_reduce_config_selectorIN3c108BFloat16EEEZNS1_21segmented_reduce_implIS3_PKS6_PS6_PKiS6_N6hipcub16HIPCUB_304000_NS6detail27convert_result_type_wrapperISA_SB_N2at6native12_GLOBAL__N_19CustomMinEEEEE10hipError_tPvRmT0_T1_jT2_SS_T4_T3_P12ihipStream_tbEUlT_E_NS1_11comp_targetILNS1_3genE4ELNS1_11target_archE910ELNS1_3gpuE8ELNS1_3repE0EEENS1_30default_config_static_selectorELNS0_4arch9wavefront6targetE0EEEvSR_.kd
    .uniform_work_group_size: 1
    .uses_dynamic_stack: false
    .vgpr_count:     0
    .vgpr_spill_count: 0
    .wavefront_size: 32
    .workgroup_processor_mode: 1
  - .args:
      - .offset:         0
        .size:           48
        .value_kind:     by_value
    .group_segment_fixed_size: 0
    .kernarg_segment_align: 8
    .kernarg_segment_size: 48
    .language:       OpenCL C
    .language_version:
      - 2
      - 0
    .max_flat_workgroup_size: 256
    .name:           _ZN7rocprim17ROCPRIM_400000_NS6detail17trampoline_kernelINS0_14default_configENS1_32segmented_reduce_config_selectorIN3c108BFloat16EEEZNS1_21segmented_reduce_implIS3_PKS6_PS6_PKiS6_N6hipcub16HIPCUB_304000_NS6detail27convert_result_type_wrapperISA_SB_N2at6native12_GLOBAL__N_19CustomMinEEEEE10hipError_tPvRmT0_T1_jT2_SS_T4_T3_P12ihipStream_tbEUlT_E_NS1_11comp_targetILNS1_3genE3ELNS1_11target_archE908ELNS1_3gpuE7ELNS1_3repE0EEENS1_30default_config_static_selectorELNS0_4arch9wavefront6targetE0EEEvSR_
    .private_segment_fixed_size: 0
    .sgpr_count:     0
    .sgpr_spill_count: 0
    .symbol:         _ZN7rocprim17ROCPRIM_400000_NS6detail17trampoline_kernelINS0_14default_configENS1_32segmented_reduce_config_selectorIN3c108BFloat16EEEZNS1_21segmented_reduce_implIS3_PKS6_PS6_PKiS6_N6hipcub16HIPCUB_304000_NS6detail27convert_result_type_wrapperISA_SB_N2at6native12_GLOBAL__N_19CustomMinEEEEE10hipError_tPvRmT0_T1_jT2_SS_T4_T3_P12ihipStream_tbEUlT_E_NS1_11comp_targetILNS1_3genE3ELNS1_11target_archE908ELNS1_3gpuE7ELNS1_3repE0EEENS1_30default_config_static_selectorELNS0_4arch9wavefront6targetE0EEEvSR_.kd
    .uniform_work_group_size: 1
    .uses_dynamic_stack: false
    .vgpr_count:     0
    .vgpr_spill_count: 0
    .wavefront_size: 32
    .workgroup_processor_mode: 1
  - .args:
      - .offset:         0
        .size:           48
        .value_kind:     by_value
    .group_segment_fixed_size: 0
    .kernarg_segment_align: 8
    .kernarg_segment_size: 48
    .language:       OpenCL C
    .language_version:
      - 2
      - 0
    .max_flat_workgroup_size: 256
    .name:           _ZN7rocprim17ROCPRIM_400000_NS6detail17trampoline_kernelINS0_14default_configENS1_32segmented_reduce_config_selectorIN3c108BFloat16EEEZNS1_21segmented_reduce_implIS3_PKS6_PS6_PKiS6_N6hipcub16HIPCUB_304000_NS6detail27convert_result_type_wrapperISA_SB_N2at6native12_GLOBAL__N_19CustomMinEEEEE10hipError_tPvRmT0_T1_jT2_SS_T4_T3_P12ihipStream_tbEUlT_E_NS1_11comp_targetILNS1_3genE2ELNS1_11target_archE906ELNS1_3gpuE6ELNS1_3repE0EEENS1_30default_config_static_selectorELNS0_4arch9wavefront6targetE0EEEvSR_
    .private_segment_fixed_size: 0
    .sgpr_count:     0
    .sgpr_spill_count: 0
    .symbol:         _ZN7rocprim17ROCPRIM_400000_NS6detail17trampoline_kernelINS0_14default_configENS1_32segmented_reduce_config_selectorIN3c108BFloat16EEEZNS1_21segmented_reduce_implIS3_PKS6_PS6_PKiS6_N6hipcub16HIPCUB_304000_NS6detail27convert_result_type_wrapperISA_SB_N2at6native12_GLOBAL__N_19CustomMinEEEEE10hipError_tPvRmT0_T1_jT2_SS_T4_T3_P12ihipStream_tbEUlT_E_NS1_11comp_targetILNS1_3genE2ELNS1_11target_archE906ELNS1_3gpuE6ELNS1_3repE0EEENS1_30default_config_static_selectorELNS0_4arch9wavefront6targetE0EEEvSR_.kd
    .uniform_work_group_size: 1
    .uses_dynamic_stack: false
    .vgpr_count:     0
    .vgpr_spill_count: 0
    .wavefront_size: 32
    .workgroup_processor_mode: 1
  - .args:
      - .offset:         0
        .size:           48
        .value_kind:     by_value
    .group_segment_fixed_size: 16
    .kernarg_segment_align: 8
    .kernarg_segment_size: 48
    .language:       OpenCL C
    .language_version:
      - 2
      - 0
    .max_flat_workgroup_size: 256
    .name:           _ZN7rocprim17ROCPRIM_400000_NS6detail17trampoline_kernelINS0_14default_configENS1_32segmented_reduce_config_selectorIN3c108BFloat16EEEZNS1_21segmented_reduce_implIS3_PKS6_PS6_PKiS6_N6hipcub16HIPCUB_304000_NS6detail27convert_result_type_wrapperISA_SB_N2at6native12_GLOBAL__N_19CustomMinEEEEE10hipError_tPvRmT0_T1_jT2_SS_T4_T3_P12ihipStream_tbEUlT_E_NS1_11comp_targetILNS1_3genE9ELNS1_11target_archE1100ELNS1_3gpuE3ELNS1_3repE0EEENS1_30default_config_static_selectorELNS0_4arch9wavefront6targetE0EEEvSR_
    .private_segment_fixed_size: 0
    .sgpr_count:     33
    .sgpr_spill_count: 0
    .symbol:         _ZN7rocprim17ROCPRIM_400000_NS6detail17trampoline_kernelINS0_14default_configENS1_32segmented_reduce_config_selectorIN3c108BFloat16EEEZNS1_21segmented_reduce_implIS3_PKS6_PS6_PKiS6_N6hipcub16HIPCUB_304000_NS6detail27convert_result_type_wrapperISA_SB_N2at6native12_GLOBAL__N_19CustomMinEEEEE10hipError_tPvRmT0_T1_jT2_SS_T4_T3_P12ihipStream_tbEUlT_E_NS1_11comp_targetILNS1_3genE9ELNS1_11target_archE1100ELNS1_3gpuE3ELNS1_3repE0EEENS1_30default_config_static_selectorELNS0_4arch9wavefront6targetE0EEEvSR_.kd
    .uniform_work_group_size: 1
    .uses_dynamic_stack: false
    .vgpr_count:     24
    .vgpr_spill_count: 0
    .wavefront_size: 32
    .workgroup_processor_mode: 1
  - .args:
      - .offset:         0
        .size:           48
        .value_kind:     by_value
    .group_segment_fixed_size: 0
    .kernarg_segment_align: 8
    .kernarg_segment_size: 48
    .language:       OpenCL C
    .language_version:
      - 2
      - 0
    .max_flat_workgroup_size: 256
    .name:           _ZN7rocprim17ROCPRIM_400000_NS6detail17trampoline_kernelINS0_14default_configENS1_32segmented_reduce_config_selectorIN3c108BFloat16EEEZNS1_21segmented_reduce_implIS3_PKS6_PS6_PKiS6_N6hipcub16HIPCUB_304000_NS6detail27convert_result_type_wrapperISA_SB_N2at6native12_GLOBAL__N_19CustomMinEEEEE10hipError_tPvRmT0_T1_jT2_SS_T4_T3_P12ihipStream_tbEUlT_E_NS1_11comp_targetILNS1_3genE8ELNS1_11target_archE1030ELNS1_3gpuE2ELNS1_3repE0EEENS1_30default_config_static_selectorELNS0_4arch9wavefront6targetE0EEEvSR_
    .private_segment_fixed_size: 0
    .sgpr_count:     0
    .sgpr_spill_count: 0
    .symbol:         _ZN7rocprim17ROCPRIM_400000_NS6detail17trampoline_kernelINS0_14default_configENS1_32segmented_reduce_config_selectorIN3c108BFloat16EEEZNS1_21segmented_reduce_implIS3_PKS6_PS6_PKiS6_N6hipcub16HIPCUB_304000_NS6detail27convert_result_type_wrapperISA_SB_N2at6native12_GLOBAL__N_19CustomMinEEEEE10hipError_tPvRmT0_T1_jT2_SS_T4_T3_P12ihipStream_tbEUlT_E_NS1_11comp_targetILNS1_3genE8ELNS1_11target_archE1030ELNS1_3gpuE2ELNS1_3repE0EEENS1_30default_config_static_selectorELNS0_4arch9wavefront6targetE0EEEvSR_.kd
    .uniform_work_group_size: 1
    .uses_dynamic_stack: false
    .vgpr_count:     0
    .vgpr_spill_count: 0
    .wavefront_size: 32
    .workgroup_processor_mode: 1
  - .args:
      - .offset:         0
        .size:           48
        .value_kind:     by_value
    .group_segment_fixed_size: 0
    .kernarg_segment_align: 8
    .kernarg_segment_size: 48
    .language:       OpenCL C
    .language_version:
      - 2
      - 0
    .max_flat_workgroup_size: 256
    .name:           _ZN7rocprim17ROCPRIM_400000_NS6detail17trampoline_kernelINS0_14default_configENS1_32segmented_reduce_config_selectorIN3c108BFloat16EEEZNS1_21segmented_reduce_implIS3_PKS6_PS6_PKiS6_N6hipcub16HIPCUB_304000_NS6detail27convert_result_type_wrapperISA_SB_N2at6native12_GLOBAL__N_110CustomProdEEEEE10hipError_tPvRmT0_T1_jT2_SS_T4_T3_P12ihipStream_tbEUlT_E_NS1_11comp_targetILNS1_3genE0ELNS1_11target_archE4294967295ELNS1_3gpuE0ELNS1_3repE0EEENS1_30default_config_static_selectorELNS0_4arch9wavefront6targetE0EEEvSR_
    .private_segment_fixed_size: 0
    .sgpr_count:     0
    .sgpr_spill_count: 0
    .symbol:         _ZN7rocprim17ROCPRIM_400000_NS6detail17trampoline_kernelINS0_14default_configENS1_32segmented_reduce_config_selectorIN3c108BFloat16EEEZNS1_21segmented_reduce_implIS3_PKS6_PS6_PKiS6_N6hipcub16HIPCUB_304000_NS6detail27convert_result_type_wrapperISA_SB_N2at6native12_GLOBAL__N_110CustomProdEEEEE10hipError_tPvRmT0_T1_jT2_SS_T4_T3_P12ihipStream_tbEUlT_E_NS1_11comp_targetILNS1_3genE0ELNS1_11target_archE4294967295ELNS1_3gpuE0ELNS1_3repE0EEENS1_30default_config_static_selectorELNS0_4arch9wavefront6targetE0EEEvSR_.kd
    .uniform_work_group_size: 1
    .uses_dynamic_stack: false
    .vgpr_count:     0
    .vgpr_spill_count: 0
    .wavefront_size: 32
    .workgroup_processor_mode: 1
  - .args:
      - .offset:         0
        .size:           48
        .value_kind:     by_value
    .group_segment_fixed_size: 0
    .kernarg_segment_align: 8
    .kernarg_segment_size: 48
    .language:       OpenCL C
    .language_version:
      - 2
      - 0
    .max_flat_workgroup_size: 256
    .name:           _ZN7rocprim17ROCPRIM_400000_NS6detail17trampoline_kernelINS0_14default_configENS1_32segmented_reduce_config_selectorIN3c108BFloat16EEEZNS1_21segmented_reduce_implIS3_PKS6_PS6_PKiS6_N6hipcub16HIPCUB_304000_NS6detail27convert_result_type_wrapperISA_SB_N2at6native12_GLOBAL__N_110CustomProdEEEEE10hipError_tPvRmT0_T1_jT2_SS_T4_T3_P12ihipStream_tbEUlT_E_NS1_11comp_targetILNS1_3genE5ELNS1_11target_archE942ELNS1_3gpuE9ELNS1_3repE0EEENS1_30default_config_static_selectorELNS0_4arch9wavefront6targetE0EEEvSR_
    .private_segment_fixed_size: 0
    .sgpr_count:     0
    .sgpr_spill_count: 0
    .symbol:         _ZN7rocprim17ROCPRIM_400000_NS6detail17trampoline_kernelINS0_14default_configENS1_32segmented_reduce_config_selectorIN3c108BFloat16EEEZNS1_21segmented_reduce_implIS3_PKS6_PS6_PKiS6_N6hipcub16HIPCUB_304000_NS6detail27convert_result_type_wrapperISA_SB_N2at6native12_GLOBAL__N_110CustomProdEEEEE10hipError_tPvRmT0_T1_jT2_SS_T4_T3_P12ihipStream_tbEUlT_E_NS1_11comp_targetILNS1_3genE5ELNS1_11target_archE942ELNS1_3gpuE9ELNS1_3repE0EEENS1_30default_config_static_selectorELNS0_4arch9wavefront6targetE0EEEvSR_.kd
    .uniform_work_group_size: 1
    .uses_dynamic_stack: false
    .vgpr_count:     0
    .vgpr_spill_count: 0
    .wavefront_size: 32
    .workgroup_processor_mode: 1
  - .args:
      - .offset:         0
        .size:           48
        .value_kind:     by_value
    .group_segment_fixed_size: 0
    .kernarg_segment_align: 8
    .kernarg_segment_size: 48
    .language:       OpenCL C
    .language_version:
      - 2
      - 0
    .max_flat_workgroup_size: 256
    .name:           _ZN7rocprim17ROCPRIM_400000_NS6detail17trampoline_kernelINS0_14default_configENS1_32segmented_reduce_config_selectorIN3c108BFloat16EEEZNS1_21segmented_reduce_implIS3_PKS6_PS6_PKiS6_N6hipcub16HIPCUB_304000_NS6detail27convert_result_type_wrapperISA_SB_N2at6native12_GLOBAL__N_110CustomProdEEEEE10hipError_tPvRmT0_T1_jT2_SS_T4_T3_P12ihipStream_tbEUlT_E_NS1_11comp_targetILNS1_3genE10ELNS1_11target_archE1201ELNS1_3gpuE5ELNS1_3repE0EEENS1_30default_config_static_selectorELNS0_4arch9wavefront6targetE0EEEvSR_
    .private_segment_fixed_size: 0
    .sgpr_count:     0
    .sgpr_spill_count: 0
    .symbol:         _ZN7rocprim17ROCPRIM_400000_NS6detail17trampoline_kernelINS0_14default_configENS1_32segmented_reduce_config_selectorIN3c108BFloat16EEEZNS1_21segmented_reduce_implIS3_PKS6_PS6_PKiS6_N6hipcub16HIPCUB_304000_NS6detail27convert_result_type_wrapperISA_SB_N2at6native12_GLOBAL__N_110CustomProdEEEEE10hipError_tPvRmT0_T1_jT2_SS_T4_T3_P12ihipStream_tbEUlT_E_NS1_11comp_targetILNS1_3genE10ELNS1_11target_archE1201ELNS1_3gpuE5ELNS1_3repE0EEENS1_30default_config_static_selectorELNS0_4arch9wavefront6targetE0EEEvSR_.kd
    .uniform_work_group_size: 1
    .uses_dynamic_stack: false
    .vgpr_count:     0
    .vgpr_spill_count: 0
    .wavefront_size: 32
    .workgroup_processor_mode: 1
  - .args:
      - .offset:         0
        .size:           48
        .value_kind:     by_value
    .group_segment_fixed_size: 0
    .kernarg_segment_align: 8
    .kernarg_segment_size: 48
    .language:       OpenCL C
    .language_version:
      - 2
      - 0
    .max_flat_workgroup_size: 256
    .name:           _ZN7rocprim17ROCPRIM_400000_NS6detail17trampoline_kernelINS0_14default_configENS1_32segmented_reduce_config_selectorIN3c108BFloat16EEEZNS1_21segmented_reduce_implIS3_PKS6_PS6_PKiS6_N6hipcub16HIPCUB_304000_NS6detail27convert_result_type_wrapperISA_SB_N2at6native12_GLOBAL__N_110CustomProdEEEEE10hipError_tPvRmT0_T1_jT2_SS_T4_T3_P12ihipStream_tbEUlT_E_NS1_11comp_targetILNS1_3genE4ELNS1_11target_archE910ELNS1_3gpuE8ELNS1_3repE0EEENS1_30default_config_static_selectorELNS0_4arch9wavefront6targetE0EEEvSR_
    .private_segment_fixed_size: 0
    .sgpr_count:     0
    .sgpr_spill_count: 0
    .symbol:         _ZN7rocprim17ROCPRIM_400000_NS6detail17trampoline_kernelINS0_14default_configENS1_32segmented_reduce_config_selectorIN3c108BFloat16EEEZNS1_21segmented_reduce_implIS3_PKS6_PS6_PKiS6_N6hipcub16HIPCUB_304000_NS6detail27convert_result_type_wrapperISA_SB_N2at6native12_GLOBAL__N_110CustomProdEEEEE10hipError_tPvRmT0_T1_jT2_SS_T4_T3_P12ihipStream_tbEUlT_E_NS1_11comp_targetILNS1_3genE4ELNS1_11target_archE910ELNS1_3gpuE8ELNS1_3repE0EEENS1_30default_config_static_selectorELNS0_4arch9wavefront6targetE0EEEvSR_.kd
    .uniform_work_group_size: 1
    .uses_dynamic_stack: false
    .vgpr_count:     0
    .vgpr_spill_count: 0
    .wavefront_size: 32
    .workgroup_processor_mode: 1
  - .args:
      - .offset:         0
        .size:           48
        .value_kind:     by_value
    .group_segment_fixed_size: 0
    .kernarg_segment_align: 8
    .kernarg_segment_size: 48
    .language:       OpenCL C
    .language_version:
      - 2
      - 0
    .max_flat_workgroup_size: 256
    .name:           _ZN7rocprim17ROCPRIM_400000_NS6detail17trampoline_kernelINS0_14default_configENS1_32segmented_reduce_config_selectorIN3c108BFloat16EEEZNS1_21segmented_reduce_implIS3_PKS6_PS6_PKiS6_N6hipcub16HIPCUB_304000_NS6detail27convert_result_type_wrapperISA_SB_N2at6native12_GLOBAL__N_110CustomProdEEEEE10hipError_tPvRmT0_T1_jT2_SS_T4_T3_P12ihipStream_tbEUlT_E_NS1_11comp_targetILNS1_3genE3ELNS1_11target_archE908ELNS1_3gpuE7ELNS1_3repE0EEENS1_30default_config_static_selectorELNS0_4arch9wavefront6targetE0EEEvSR_
    .private_segment_fixed_size: 0
    .sgpr_count:     0
    .sgpr_spill_count: 0
    .symbol:         _ZN7rocprim17ROCPRIM_400000_NS6detail17trampoline_kernelINS0_14default_configENS1_32segmented_reduce_config_selectorIN3c108BFloat16EEEZNS1_21segmented_reduce_implIS3_PKS6_PS6_PKiS6_N6hipcub16HIPCUB_304000_NS6detail27convert_result_type_wrapperISA_SB_N2at6native12_GLOBAL__N_110CustomProdEEEEE10hipError_tPvRmT0_T1_jT2_SS_T4_T3_P12ihipStream_tbEUlT_E_NS1_11comp_targetILNS1_3genE3ELNS1_11target_archE908ELNS1_3gpuE7ELNS1_3repE0EEENS1_30default_config_static_selectorELNS0_4arch9wavefront6targetE0EEEvSR_.kd
    .uniform_work_group_size: 1
    .uses_dynamic_stack: false
    .vgpr_count:     0
    .vgpr_spill_count: 0
    .wavefront_size: 32
    .workgroup_processor_mode: 1
  - .args:
      - .offset:         0
        .size:           48
        .value_kind:     by_value
    .group_segment_fixed_size: 0
    .kernarg_segment_align: 8
    .kernarg_segment_size: 48
    .language:       OpenCL C
    .language_version:
      - 2
      - 0
    .max_flat_workgroup_size: 256
    .name:           _ZN7rocprim17ROCPRIM_400000_NS6detail17trampoline_kernelINS0_14default_configENS1_32segmented_reduce_config_selectorIN3c108BFloat16EEEZNS1_21segmented_reduce_implIS3_PKS6_PS6_PKiS6_N6hipcub16HIPCUB_304000_NS6detail27convert_result_type_wrapperISA_SB_N2at6native12_GLOBAL__N_110CustomProdEEEEE10hipError_tPvRmT0_T1_jT2_SS_T4_T3_P12ihipStream_tbEUlT_E_NS1_11comp_targetILNS1_3genE2ELNS1_11target_archE906ELNS1_3gpuE6ELNS1_3repE0EEENS1_30default_config_static_selectorELNS0_4arch9wavefront6targetE0EEEvSR_
    .private_segment_fixed_size: 0
    .sgpr_count:     0
    .sgpr_spill_count: 0
    .symbol:         _ZN7rocprim17ROCPRIM_400000_NS6detail17trampoline_kernelINS0_14default_configENS1_32segmented_reduce_config_selectorIN3c108BFloat16EEEZNS1_21segmented_reduce_implIS3_PKS6_PS6_PKiS6_N6hipcub16HIPCUB_304000_NS6detail27convert_result_type_wrapperISA_SB_N2at6native12_GLOBAL__N_110CustomProdEEEEE10hipError_tPvRmT0_T1_jT2_SS_T4_T3_P12ihipStream_tbEUlT_E_NS1_11comp_targetILNS1_3genE2ELNS1_11target_archE906ELNS1_3gpuE6ELNS1_3repE0EEENS1_30default_config_static_selectorELNS0_4arch9wavefront6targetE0EEEvSR_.kd
    .uniform_work_group_size: 1
    .uses_dynamic_stack: false
    .vgpr_count:     0
    .vgpr_spill_count: 0
    .wavefront_size: 32
    .workgroup_processor_mode: 1
  - .args:
      - .offset:         0
        .size:           48
        .value_kind:     by_value
    .group_segment_fixed_size: 16
    .kernarg_segment_align: 8
    .kernarg_segment_size: 48
    .language:       OpenCL C
    .language_version:
      - 2
      - 0
    .max_flat_workgroup_size: 256
    .name:           _ZN7rocprim17ROCPRIM_400000_NS6detail17trampoline_kernelINS0_14default_configENS1_32segmented_reduce_config_selectorIN3c108BFloat16EEEZNS1_21segmented_reduce_implIS3_PKS6_PS6_PKiS6_N6hipcub16HIPCUB_304000_NS6detail27convert_result_type_wrapperISA_SB_N2at6native12_GLOBAL__N_110CustomProdEEEEE10hipError_tPvRmT0_T1_jT2_SS_T4_T3_P12ihipStream_tbEUlT_E_NS1_11comp_targetILNS1_3genE9ELNS1_11target_archE1100ELNS1_3gpuE3ELNS1_3repE0EEENS1_30default_config_static_selectorELNS0_4arch9wavefront6targetE0EEEvSR_
    .private_segment_fixed_size: 0
    .sgpr_count:     33
    .sgpr_spill_count: 0
    .symbol:         _ZN7rocprim17ROCPRIM_400000_NS6detail17trampoline_kernelINS0_14default_configENS1_32segmented_reduce_config_selectorIN3c108BFloat16EEEZNS1_21segmented_reduce_implIS3_PKS6_PS6_PKiS6_N6hipcub16HIPCUB_304000_NS6detail27convert_result_type_wrapperISA_SB_N2at6native12_GLOBAL__N_110CustomProdEEEEE10hipError_tPvRmT0_T1_jT2_SS_T4_T3_P12ihipStream_tbEUlT_E_NS1_11comp_targetILNS1_3genE9ELNS1_11target_archE1100ELNS1_3gpuE3ELNS1_3repE0EEENS1_30default_config_static_selectorELNS0_4arch9wavefront6targetE0EEEvSR_.kd
    .uniform_work_group_size: 1
    .uses_dynamic_stack: false
    .vgpr_count:     24
    .vgpr_spill_count: 0
    .wavefront_size: 32
    .workgroup_processor_mode: 1
  - .args:
      - .offset:         0
        .size:           48
        .value_kind:     by_value
    .group_segment_fixed_size: 0
    .kernarg_segment_align: 8
    .kernarg_segment_size: 48
    .language:       OpenCL C
    .language_version:
      - 2
      - 0
    .max_flat_workgroup_size: 256
    .name:           _ZN7rocprim17ROCPRIM_400000_NS6detail17trampoline_kernelINS0_14default_configENS1_32segmented_reduce_config_selectorIN3c108BFloat16EEEZNS1_21segmented_reduce_implIS3_PKS6_PS6_PKiS6_N6hipcub16HIPCUB_304000_NS6detail27convert_result_type_wrapperISA_SB_N2at6native12_GLOBAL__N_110CustomProdEEEEE10hipError_tPvRmT0_T1_jT2_SS_T4_T3_P12ihipStream_tbEUlT_E_NS1_11comp_targetILNS1_3genE8ELNS1_11target_archE1030ELNS1_3gpuE2ELNS1_3repE0EEENS1_30default_config_static_selectorELNS0_4arch9wavefront6targetE0EEEvSR_
    .private_segment_fixed_size: 0
    .sgpr_count:     0
    .sgpr_spill_count: 0
    .symbol:         _ZN7rocprim17ROCPRIM_400000_NS6detail17trampoline_kernelINS0_14default_configENS1_32segmented_reduce_config_selectorIN3c108BFloat16EEEZNS1_21segmented_reduce_implIS3_PKS6_PS6_PKiS6_N6hipcub16HIPCUB_304000_NS6detail27convert_result_type_wrapperISA_SB_N2at6native12_GLOBAL__N_110CustomProdEEEEE10hipError_tPvRmT0_T1_jT2_SS_T4_T3_P12ihipStream_tbEUlT_E_NS1_11comp_targetILNS1_3genE8ELNS1_11target_archE1030ELNS1_3gpuE2ELNS1_3repE0EEENS1_30default_config_static_selectorELNS0_4arch9wavefront6targetE0EEEvSR_.kd
    .uniform_work_group_size: 1
    .uses_dynamic_stack: false
    .vgpr_count:     0
    .vgpr_spill_count: 0
    .wavefront_size: 32
    .workgroup_processor_mode: 1
  - .args:
      - .offset:         0
        .size:           4
        .value_kind:     by_value
      - .address_space:  global
        .offset:         8
        .size:           8
        .value_kind:     global_buffer
      - .address_space:  global
        .offset:         16
        .size:           8
        .value_kind:     global_buffer
      - .address_space:  global
        .offset:         24
        .size:           8
        .value_kind:     global_buffer
      - .address_space:  global
        .offset:         32
        .size:           8
        .value_kind:     global_buffer
      - .offset:         40
        .size:           8
        .value_kind:     by_value
      - .offset:         48
        .size:           8
        .value_kind:     by_value
      - .offset:         56
        .size:           1
        .value_kind:     by_value
      - .offset:         64
        .size:           8
        .value_kind:     by_value
      - .offset:         72
        .size:           8
        .value_kind:     by_value
      - .offset:         80
        .size:           8
        .value_kind:     by_value
      - .offset:         88
        .size:           8
        .value_kind:     by_value
      - .offset:         96
        .size:           8
        .value_kind:     by_value
      - .offset:         104
        .size:           8
        .value_kind:     by_value
      - .offset:         112
        .size:           8
        .value_kind:     by_value
      - .offset:         120
        .size:           8
        .value_kind:     by_value
      - .offset:         128
        .size:           4
        .value_kind:     hidden_block_count_x
      - .offset:         132
        .size:           4
        .value_kind:     hidden_block_count_y
      - .offset:         136
        .size:           4
        .value_kind:     hidden_block_count_z
      - .offset:         140
        .size:           2
        .value_kind:     hidden_group_size_x
      - .offset:         142
        .size:           2
        .value_kind:     hidden_group_size_y
      - .offset:         144
        .size:           2
        .value_kind:     hidden_group_size_z
      - .offset:         146
        .size:           2
        .value_kind:     hidden_remainder_x
      - .offset:         148
        .size:           2
        .value_kind:     hidden_remainder_y
      - .offset:         150
        .size:           2
        .value_kind:     hidden_remainder_z
      - .offset:         168
        .size:           8
        .value_kind:     hidden_global_offset_x
      - .offset:         176
        .size:           8
        .value_kind:     hidden_global_offset_y
      - .offset:         184
        .size:           8
        .value_kind:     hidden_global_offset_z
      - .offset:         192
        .size:           2
        .value_kind:     hidden_grid_dims
    .group_segment_fixed_size: 0
    .kernarg_segment_align: 8
    .kernarg_segment_size: 384
    .language:       OpenCL C
    .language_version:
      - 2
      - 0
    .max_flat_workgroup_size: 1024
    .name:           _ZN2at6native12_GLOBAL__N_129segment_reduce_forward_kernelIdlEEvNS0_13ReductionTypeEPT_PKS4_PKT0_SA_llbS4_lllllll
    .private_segment_fixed_size: 0
    .sgpr_count:     42
    .sgpr_spill_count: 0
    .symbol:         _ZN2at6native12_GLOBAL__N_129segment_reduce_forward_kernelIdlEEvNS0_13ReductionTypeEPT_PKS4_PKT0_SA_llbS4_lllllll.kd
    .uniform_work_group_size: 1
    .uses_dynamic_stack: false
    .vgpr_count:     24
    .vgpr_spill_count: 0
    .wavefront_size: 32
    .workgroup_processor_mode: 1
  - .args:
      - .offset:         0
        .size:           56
        .value_kind:     by_value
    .group_segment_fixed_size: 0
    .kernarg_segment_align: 8
    .kernarg_segment_size: 56
    .language:       OpenCL C
    .language_version:
      - 2
      - 0
    .max_flat_workgroup_size: 256
    .name:           _ZN7rocprim17ROCPRIM_400000_NS6detail17trampoline_kernelINS0_14default_configENS1_32segmented_reduce_config_selectorIdEEZNS1_21segmented_reduce_implIS3_PKdPdPKldN6hipcub16HIPCUB_304000_NS6detail27convert_result_type_wrapperIS8_S9_N2at6native12_GLOBAL__N_19CustomMaxEEEEE10hipError_tPvRmT0_T1_jT2_SQ_T4_T3_P12ihipStream_tbEUlT_E_NS1_11comp_targetILNS1_3genE0ELNS1_11target_archE4294967295ELNS1_3gpuE0ELNS1_3repE0EEENS1_30default_config_static_selectorELNS0_4arch9wavefront6targetE0EEEvSP_
    .private_segment_fixed_size: 0
    .sgpr_count:     0
    .sgpr_spill_count: 0
    .symbol:         _ZN7rocprim17ROCPRIM_400000_NS6detail17trampoline_kernelINS0_14default_configENS1_32segmented_reduce_config_selectorIdEEZNS1_21segmented_reduce_implIS3_PKdPdPKldN6hipcub16HIPCUB_304000_NS6detail27convert_result_type_wrapperIS8_S9_N2at6native12_GLOBAL__N_19CustomMaxEEEEE10hipError_tPvRmT0_T1_jT2_SQ_T4_T3_P12ihipStream_tbEUlT_E_NS1_11comp_targetILNS1_3genE0ELNS1_11target_archE4294967295ELNS1_3gpuE0ELNS1_3repE0EEENS1_30default_config_static_selectorELNS0_4arch9wavefront6targetE0EEEvSP_.kd
    .uniform_work_group_size: 1
    .uses_dynamic_stack: false
    .vgpr_count:     0
    .vgpr_spill_count: 0
    .wavefront_size: 32
    .workgroup_processor_mode: 1
  - .args:
      - .offset:         0
        .size:           56
        .value_kind:     by_value
    .group_segment_fixed_size: 0
    .kernarg_segment_align: 8
    .kernarg_segment_size: 56
    .language:       OpenCL C
    .language_version:
      - 2
      - 0
    .max_flat_workgroup_size: 256
    .name:           _ZN7rocprim17ROCPRIM_400000_NS6detail17trampoline_kernelINS0_14default_configENS1_32segmented_reduce_config_selectorIdEEZNS1_21segmented_reduce_implIS3_PKdPdPKldN6hipcub16HIPCUB_304000_NS6detail27convert_result_type_wrapperIS8_S9_N2at6native12_GLOBAL__N_19CustomMaxEEEEE10hipError_tPvRmT0_T1_jT2_SQ_T4_T3_P12ihipStream_tbEUlT_E_NS1_11comp_targetILNS1_3genE5ELNS1_11target_archE942ELNS1_3gpuE9ELNS1_3repE0EEENS1_30default_config_static_selectorELNS0_4arch9wavefront6targetE0EEEvSP_
    .private_segment_fixed_size: 0
    .sgpr_count:     0
    .sgpr_spill_count: 0
    .symbol:         _ZN7rocprim17ROCPRIM_400000_NS6detail17trampoline_kernelINS0_14default_configENS1_32segmented_reduce_config_selectorIdEEZNS1_21segmented_reduce_implIS3_PKdPdPKldN6hipcub16HIPCUB_304000_NS6detail27convert_result_type_wrapperIS8_S9_N2at6native12_GLOBAL__N_19CustomMaxEEEEE10hipError_tPvRmT0_T1_jT2_SQ_T4_T3_P12ihipStream_tbEUlT_E_NS1_11comp_targetILNS1_3genE5ELNS1_11target_archE942ELNS1_3gpuE9ELNS1_3repE0EEENS1_30default_config_static_selectorELNS0_4arch9wavefront6targetE0EEEvSP_.kd
    .uniform_work_group_size: 1
    .uses_dynamic_stack: false
    .vgpr_count:     0
    .vgpr_spill_count: 0
    .wavefront_size: 32
    .workgroup_processor_mode: 1
  - .args:
      - .offset:         0
        .size:           56
        .value_kind:     by_value
    .group_segment_fixed_size: 0
    .kernarg_segment_align: 8
    .kernarg_segment_size: 56
    .language:       OpenCL C
    .language_version:
      - 2
      - 0
    .max_flat_workgroup_size: 256
    .name:           _ZN7rocprim17ROCPRIM_400000_NS6detail17trampoline_kernelINS0_14default_configENS1_32segmented_reduce_config_selectorIdEEZNS1_21segmented_reduce_implIS3_PKdPdPKldN6hipcub16HIPCUB_304000_NS6detail27convert_result_type_wrapperIS8_S9_N2at6native12_GLOBAL__N_19CustomMaxEEEEE10hipError_tPvRmT0_T1_jT2_SQ_T4_T3_P12ihipStream_tbEUlT_E_NS1_11comp_targetILNS1_3genE10ELNS1_11target_archE1201ELNS1_3gpuE5ELNS1_3repE0EEENS1_30default_config_static_selectorELNS0_4arch9wavefront6targetE0EEEvSP_
    .private_segment_fixed_size: 0
    .sgpr_count:     0
    .sgpr_spill_count: 0
    .symbol:         _ZN7rocprim17ROCPRIM_400000_NS6detail17trampoline_kernelINS0_14default_configENS1_32segmented_reduce_config_selectorIdEEZNS1_21segmented_reduce_implIS3_PKdPdPKldN6hipcub16HIPCUB_304000_NS6detail27convert_result_type_wrapperIS8_S9_N2at6native12_GLOBAL__N_19CustomMaxEEEEE10hipError_tPvRmT0_T1_jT2_SQ_T4_T3_P12ihipStream_tbEUlT_E_NS1_11comp_targetILNS1_3genE10ELNS1_11target_archE1201ELNS1_3gpuE5ELNS1_3repE0EEENS1_30default_config_static_selectorELNS0_4arch9wavefront6targetE0EEEvSP_.kd
    .uniform_work_group_size: 1
    .uses_dynamic_stack: false
    .vgpr_count:     0
    .vgpr_spill_count: 0
    .wavefront_size: 32
    .workgroup_processor_mode: 1
  - .args:
      - .offset:         0
        .size:           56
        .value_kind:     by_value
    .group_segment_fixed_size: 0
    .kernarg_segment_align: 8
    .kernarg_segment_size: 56
    .language:       OpenCL C
    .language_version:
      - 2
      - 0
    .max_flat_workgroup_size: 256
    .name:           _ZN7rocprim17ROCPRIM_400000_NS6detail17trampoline_kernelINS0_14default_configENS1_32segmented_reduce_config_selectorIdEEZNS1_21segmented_reduce_implIS3_PKdPdPKldN6hipcub16HIPCUB_304000_NS6detail27convert_result_type_wrapperIS8_S9_N2at6native12_GLOBAL__N_19CustomMaxEEEEE10hipError_tPvRmT0_T1_jT2_SQ_T4_T3_P12ihipStream_tbEUlT_E_NS1_11comp_targetILNS1_3genE4ELNS1_11target_archE910ELNS1_3gpuE8ELNS1_3repE0EEENS1_30default_config_static_selectorELNS0_4arch9wavefront6targetE0EEEvSP_
    .private_segment_fixed_size: 0
    .sgpr_count:     0
    .sgpr_spill_count: 0
    .symbol:         _ZN7rocprim17ROCPRIM_400000_NS6detail17trampoline_kernelINS0_14default_configENS1_32segmented_reduce_config_selectorIdEEZNS1_21segmented_reduce_implIS3_PKdPdPKldN6hipcub16HIPCUB_304000_NS6detail27convert_result_type_wrapperIS8_S9_N2at6native12_GLOBAL__N_19CustomMaxEEEEE10hipError_tPvRmT0_T1_jT2_SQ_T4_T3_P12ihipStream_tbEUlT_E_NS1_11comp_targetILNS1_3genE4ELNS1_11target_archE910ELNS1_3gpuE8ELNS1_3repE0EEENS1_30default_config_static_selectorELNS0_4arch9wavefront6targetE0EEEvSP_.kd
    .uniform_work_group_size: 1
    .uses_dynamic_stack: false
    .vgpr_count:     0
    .vgpr_spill_count: 0
    .wavefront_size: 32
    .workgroup_processor_mode: 1
  - .args:
      - .offset:         0
        .size:           56
        .value_kind:     by_value
    .group_segment_fixed_size: 0
    .kernarg_segment_align: 8
    .kernarg_segment_size: 56
    .language:       OpenCL C
    .language_version:
      - 2
      - 0
    .max_flat_workgroup_size: 256
    .name:           _ZN7rocprim17ROCPRIM_400000_NS6detail17trampoline_kernelINS0_14default_configENS1_32segmented_reduce_config_selectorIdEEZNS1_21segmented_reduce_implIS3_PKdPdPKldN6hipcub16HIPCUB_304000_NS6detail27convert_result_type_wrapperIS8_S9_N2at6native12_GLOBAL__N_19CustomMaxEEEEE10hipError_tPvRmT0_T1_jT2_SQ_T4_T3_P12ihipStream_tbEUlT_E_NS1_11comp_targetILNS1_3genE3ELNS1_11target_archE908ELNS1_3gpuE7ELNS1_3repE0EEENS1_30default_config_static_selectorELNS0_4arch9wavefront6targetE0EEEvSP_
    .private_segment_fixed_size: 0
    .sgpr_count:     0
    .sgpr_spill_count: 0
    .symbol:         _ZN7rocprim17ROCPRIM_400000_NS6detail17trampoline_kernelINS0_14default_configENS1_32segmented_reduce_config_selectorIdEEZNS1_21segmented_reduce_implIS3_PKdPdPKldN6hipcub16HIPCUB_304000_NS6detail27convert_result_type_wrapperIS8_S9_N2at6native12_GLOBAL__N_19CustomMaxEEEEE10hipError_tPvRmT0_T1_jT2_SQ_T4_T3_P12ihipStream_tbEUlT_E_NS1_11comp_targetILNS1_3genE3ELNS1_11target_archE908ELNS1_3gpuE7ELNS1_3repE0EEENS1_30default_config_static_selectorELNS0_4arch9wavefront6targetE0EEEvSP_.kd
    .uniform_work_group_size: 1
    .uses_dynamic_stack: false
    .vgpr_count:     0
    .vgpr_spill_count: 0
    .wavefront_size: 32
    .workgroup_processor_mode: 1
  - .args:
      - .offset:         0
        .size:           56
        .value_kind:     by_value
    .group_segment_fixed_size: 0
    .kernarg_segment_align: 8
    .kernarg_segment_size: 56
    .language:       OpenCL C
    .language_version:
      - 2
      - 0
    .max_flat_workgroup_size: 256
    .name:           _ZN7rocprim17ROCPRIM_400000_NS6detail17trampoline_kernelINS0_14default_configENS1_32segmented_reduce_config_selectorIdEEZNS1_21segmented_reduce_implIS3_PKdPdPKldN6hipcub16HIPCUB_304000_NS6detail27convert_result_type_wrapperIS8_S9_N2at6native12_GLOBAL__N_19CustomMaxEEEEE10hipError_tPvRmT0_T1_jT2_SQ_T4_T3_P12ihipStream_tbEUlT_E_NS1_11comp_targetILNS1_3genE2ELNS1_11target_archE906ELNS1_3gpuE6ELNS1_3repE0EEENS1_30default_config_static_selectorELNS0_4arch9wavefront6targetE0EEEvSP_
    .private_segment_fixed_size: 0
    .sgpr_count:     0
    .sgpr_spill_count: 0
    .symbol:         _ZN7rocprim17ROCPRIM_400000_NS6detail17trampoline_kernelINS0_14default_configENS1_32segmented_reduce_config_selectorIdEEZNS1_21segmented_reduce_implIS3_PKdPdPKldN6hipcub16HIPCUB_304000_NS6detail27convert_result_type_wrapperIS8_S9_N2at6native12_GLOBAL__N_19CustomMaxEEEEE10hipError_tPvRmT0_T1_jT2_SQ_T4_T3_P12ihipStream_tbEUlT_E_NS1_11comp_targetILNS1_3genE2ELNS1_11target_archE906ELNS1_3gpuE6ELNS1_3repE0EEENS1_30default_config_static_selectorELNS0_4arch9wavefront6targetE0EEEvSP_.kd
    .uniform_work_group_size: 1
    .uses_dynamic_stack: false
    .vgpr_count:     0
    .vgpr_spill_count: 0
    .wavefront_size: 32
    .workgroup_processor_mode: 1
  - .args:
      - .offset:         0
        .size:           56
        .value_kind:     by_value
    .group_segment_fixed_size: 64
    .kernarg_segment_align: 8
    .kernarg_segment_size: 56
    .language:       OpenCL C
    .language_version:
      - 2
      - 0
    .max_flat_workgroup_size: 256
    .name:           _ZN7rocprim17ROCPRIM_400000_NS6detail17trampoline_kernelINS0_14default_configENS1_32segmented_reduce_config_selectorIdEEZNS1_21segmented_reduce_implIS3_PKdPdPKldN6hipcub16HIPCUB_304000_NS6detail27convert_result_type_wrapperIS8_S9_N2at6native12_GLOBAL__N_19CustomMaxEEEEE10hipError_tPvRmT0_T1_jT2_SQ_T4_T3_P12ihipStream_tbEUlT_E_NS1_11comp_targetILNS1_3genE9ELNS1_11target_archE1100ELNS1_3gpuE3ELNS1_3repE0EEENS1_30default_config_static_selectorELNS0_4arch9wavefront6targetE0EEEvSP_
    .private_segment_fixed_size: 0
    .sgpr_count:     24
    .sgpr_spill_count: 0
    .symbol:         _ZN7rocprim17ROCPRIM_400000_NS6detail17trampoline_kernelINS0_14default_configENS1_32segmented_reduce_config_selectorIdEEZNS1_21segmented_reduce_implIS3_PKdPdPKldN6hipcub16HIPCUB_304000_NS6detail27convert_result_type_wrapperIS8_S9_N2at6native12_GLOBAL__N_19CustomMaxEEEEE10hipError_tPvRmT0_T1_jT2_SQ_T4_T3_P12ihipStream_tbEUlT_E_NS1_11comp_targetILNS1_3genE9ELNS1_11target_archE1100ELNS1_3gpuE3ELNS1_3repE0EEENS1_30default_config_static_selectorELNS0_4arch9wavefront6targetE0EEEvSP_.kd
    .uniform_work_group_size: 1
    .uses_dynamic_stack: false
    .vgpr_count:     50
    .vgpr_spill_count: 0
    .wavefront_size: 32
    .workgroup_processor_mode: 1
  - .args:
      - .offset:         0
        .size:           56
        .value_kind:     by_value
    .group_segment_fixed_size: 0
    .kernarg_segment_align: 8
    .kernarg_segment_size: 56
    .language:       OpenCL C
    .language_version:
      - 2
      - 0
    .max_flat_workgroup_size: 256
    .name:           _ZN7rocprim17ROCPRIM_400000_NS6detail17trampoline_kernelINS0_14default_configENS1_32segmented_reduce_config_selectorIdEEZNS1_21segmented_reduce_implIS3_PKdPdPKldN6hipcub16HIPCUB_304000_NS6detail27convert_result_type_wrapperIS8_S9_N2at6native12_GLOBAL__N_19CustomMaxEEEEE10hipError_tPvRmT0_T1_jT2_SQ_T4_T3_P12ihipStream_tbEUlT_E_NS1_11comp_targetILNS1_3genE8ELNS1_11target_archE1030ELNS1_3gpuE2ELNS1_3repE0EEENS1_30default_config_static_selectorELNS0_4arch9wavefront6targetE0EEEvSP_
    .private_segment_fixed_size: 0
    .sgpr_count:     0
    .sgpr_spill_count: 0
    .symbol:         _ZN7rocprim17ROCPRIM_400000_NS6detail17trampoline_kernelINS0_14default_configENS1_32segmented_reduce_config_selectorIdEEZNS1_21segmented_reduce_implIS3_PKdPdPKldN6hipcub16HIPCUB_304000_NS6detail27convert_result_type_wrapperIS8_S9_N2at6native12_GLOBAL__N_19CustomMaxEEEEE10hipError_tPvRmT0_T1_jT2_SQ_T4_T3_P12ihipStream_tbEUlT_E_NS1_11comp_targetILNS1_3genE8ELNS1_11target_archE1030ELNS1_3gpuE2ELNS1_3repE0EEENS1_30default_config_static_selectorELNS0_4arch9wavefront6targetE0EEEvSP_.kd
    .uniform_work_group_size: 1
    .uses_dynamic_stack: false
    .vgpr_count:     0
    .vgpr_spill_count: 0
    .wavefront_size: 32
    .workgroup_processor_mode: 1
  - .args:
      - .offset:         0
        .size:           56
        .value_kind:     by_value
    .group_segment_fixed_size: 0
    .kernarg_segment_align: 8
    .kernarg_segment_size: 56
    .language:       OpenCL C
    .language_version:
      - 2
      - 0
    .max_flat_workgroup_size: 256
    .name:           _ZN7rocprim17ROCPRIM_400000_NS6detail17trampoline_kernelINS0_14default_configENS1_32segmented_reduce_config_selectorIdEEZNS1_21segmented_reduce_implIS3_PKdPdPKldN6hipcub16HIPCUB_304000_NS6detail27convert_result_type_wrapperIS8_S9_N2at6native12_GLOBAL__N_19CustomSumEEEEE10hipError_tPvRmT0_T1_jT2_SQ_T4_T3_P12ihipStream_tbEUlT_E_NS1_11comp_targetILNS1_3genE0ELNS1_11target_archE4294967295ELNS1_3gpuE0ELNS1_3repE0EEENS1_30default_config_static_selectorELNS0_4arch9wavefront6targetE0EEEvSP_
    .private_segment_fixed_size: 0
    .sgpr_count:     0
    .sgpr_spill_count: 0
    .symbol:         _ZN7rocprim17ROCPRIM_400000_NS6detail17trampoline_kernelINS0_14default_configENS1_32segmented_reduce_config_selectorIdEEZNS1_21segmented_reduce_implIS3_PKdPdPKldN6hipcub16HIPCUB_304000_NS6detail27convert_result_type_wrapperIS8_S9_N2at6native12_GLOBAL__N_19CustomSumEEEEE10hipError_tPvRmT0_T1_jT2_SQ_T4_T3_P12ihipStream_tbEUlT_E_NS1_11comp_targetILNS1_3genE0ELNS1_11target_archE4294967295ELNS1_3gpuE0ELNS1_3repE0EEENS1_30default_config_static_selectorELNS0_4arch9wavefront6targetE0EEEvSP_.kd
    .uniform_work_group_size: 1
    .uses_dynamic_stack: false
    .vgpr_count:     0
    .vgpr_spill_count: 0
    .wavefront_size: 32
    .workgroup_processor_mode: 1
  - .args:
      - .offset:         0
        .size:           56
        .value_kind:     by_value
    .group_segment_fixed_size: 0
    .kernarg_segment_align: 8
    .kernarg_segment_size: 56
    .language:       OpenCL C
    .language_version:
      - 2
      - 0
    .max_flat_workgroup_size: 256
    .name:           _ZN7rocprim17ROCPRIM_400000_NS6detail17trampoline_kernelINS0_14default_configENS1_32segmented_reduce_config_selectorIdEEZNS1_21segmented_reduce_implIS3_PKdPdPKldN6hipcub16HIPCUB_304000_NS6detail27convert_result_type_wrapperIS8_S9_N2at6native12_GLOBAL__N_19CustomSumEEEEE10hipError_tPvRmT0_T1_jT2_SQ_T4_T3_P12ihipStream_tbEUlT_E_NS1_11comp_targetILNS1_3genE5ELNS1_11target_archE942ELNS1_3gpuE9ELNS1_3repE0EEENS1_30default_config_static_selectorELNS0_4arch9wavefront6targetE0EEEvSP_
    .private_segment_fixed_size: 0
    .sgpr_count:     0
    .sgpr_spill_count: 0
    .symbol:         _ZN7rocprim17ROCPRIM_400000_NS6detail17trampoline_kernelINS0_14default_configENS1_32segmented_reduce_config_selectorIdEEZNS1_21segmented_reduce_implIS3_PKdPdPKldN6hipcub16HIPCUB_304000_NS6detail27convert_result_type_wrapperIS8_S9_N2at6native12_GLOBAL__N_19CustomSumEEEEE10hipError_tPvRmT0_T1_jT2_SQ_T4_T3_P12ihipStream_tbEUlT_E_NS1_11comp_targetILNS1_3genE5ELNS1_11target_archE942ELNS1_3gpuE9ELNS1_3repE0EEENS1_30default_config_static_selectorELNS0_4arch9wavefront6targetE0EEEvSP_.kd
    .uniform_work_group_size: 1
    .uses_dynamic_stack: false
    .vgpr_count:     0
    .vgpr_spill_count: 0
    .wavefront_size: 32
    .workgroup_processor_mode: 1
  - .args:
      - .offset:         0
        .size:           56
        .value_kind:     by_value
    .group_segment_fixed_size: 0
    .kernarg_segment_align: 8
    .kernarg_segment_size: 56
    .language:       OpenCL C
    .language_version:
      - 2
      - 0
    .max_flat_workgroup_size: 256
    .name:           _ZN7rocprim17ROCPRIM_400000_NS6detail17trampoline_kernelINS0_14default_configENS1_32segmented_reduce_config_selectorIdEEZNS1_21segmented_reduce_implIS3_PKdPdPKldN6hipcub16HIPCUB_304000_NS6detail27convert_result_type_wrapperIS8_S9_N2at6native12_GLOBAL__N_19CustomSumEEEEE10hipError_tPvRmT0_T1_jT2_SQ_T4_T3_P12ihipStream_tbEUlT_E_NS1_11comp_targetILNS1_3genE10ELNS1_11target_archE1201ELNS1_3gpuE5ELNS1_3repE0EEENS1_30default_config_static_selectorELNS0_4arch9wavefront6targetE0EEEvSP_
    .private_segment_fixed_size: 0
    .sgpr_count:     0
    .sgpr_spill_count: 0
    .symbol:         _ZN7rocprim17ROCPRIM_400000_NS6detail17trampoline_kernelINS0_14default_configENS1_32segmented_reduce_config_selectorIdEEZNS1_21segmented_reduce_implIS3_PKdPdPKldN6hipcub16HIPCUB_304000_NS6detail27convert_result_type_wrapperIS8_S9_N2at6native12_GLOBAL__N_19CustomSumEEEEE10hipError_tPvRmT0_T1_jT2_SQ_T4_T3_P12ihipStream_tbEUlT_E_NS1_11comp_targetILNS1_3genE10ELNS1_11target_archE1201ELNS1_3gpuE5ELNS1_3repE0EEENS1_30default_config_static_selectorELNS0_4arch9wavefront6targetE0EEEvSP_.kd
    .uniform_work_group_size: 1
    .uses_dynamic_stack: false
    .vgpr_count:     0
    .vgpr_spill_count: 0
    .wavefront_size: 32
    .workgroup_processor_mode: 1
  - .args:
      - .offset:         0
        .size:           56
        .value_kind:     by_value
    .group_segment_fixed_size: 0
    .kernarg_segment_align: 8
    .kernarg_segment_size: 56
    .language:       OpenCL C
    .language_version:
      - 2
      - 0
    .max_flat_workgroup_size: 256
    .name:           _ZN7rocprim17ROCPRIM_400000_NS6detail17trampoline_kernelINS0_14default_configENS1_32segmented_reduce_config_selectorIdEEZNS1_21segmented_reduce_implIS3_PKdPdPKldN6hipcub16HIPCUB_304000_NS6detail27convert_result_type_wrapperIS8_S9_N2at6native12_GLOBAL__N_19CustomSumEEEEE10hipError_tPvRmT0_T1_jT2_SQ_T4_T3_P12ihipStream_tbEUlT_E_NS1_11comp_targetILNS1_3genE4ELNS1_11target_archE910ELNS1_3gpuE8ELNS1_3repE0EEENS1_30default_config_static_selectorELNS0_4arch9wavefront6targetE0EEEvSP_
    .private_segment_fixed_size: 0
    .sgpr_count:     0
    .sgpr_spill_count: 0
    .symbol:         _ZN7rocprim17ROCPRIM_400000_NS6detail17trampoline_kernelINS0_14default_configENS1_32segmented_reduce_config_selectorIdEEZNS1_21segmented_reduce_implIS3_PKdPdPKldN6hipcub16HIPCUB_304000_NS6detail27convert_result_type_wrapperIS8_S9_N2at6native12_GLOBAL__N_19CustomSumEEEEE10hipError_tPvRmT0_T1_jT2_SQ_T4_T3_P12ihipStream_tbEUlT_E_NS1_11comp_targetILNS1_3genE4ELNS1_11target_archE910ELNS1_3gpuE8ELNS1_3repE0EEENS1_30default_config_static_selectorELNS0_4arch9wavefront6targetE0EEEvSP_.kd
    .uniform_work_group_size: 1
    .uses_dynamic_stack: false
    .vgpr_count:     0
    .vgpr_spill_count: 0
    .wavefront_size: 32
    .workgroup_processor_mode: 1
  - .args:
      - .offset:         0
        .size:           56
        .value_kind:     by_value
    .group_segment_fixed_size: 0
    .kernarg_segment_align: 8
    .kernarg_segment_size: 56
    .language:       OpenCL C
    .language_version:
      - 2
      - 0
    .max_flat_workgroup_size: 256
    .name:           _ZN7rocprim17ROCPRIM_400000_NS6detail17trampoline_kernelINS0_14default_configENS1_32segmented_reduce_config_selectorIdEEZNS1_21segmented_reduce_implIS3_PKdPdPKldN6hipcub16HIPCUB_304000_NS6detail27convert_result_type_wrapperIS8_S9_N2at6native12_GLOBAL__N_19CustomSumEEEEE10hipError_tPvRmT0_T1_jT2_SQ_T4_T3_P12ihipStream_tbEUlT_E_NS1_11comp_targetILNS1_3genE3ELNS1_11target_archE908ELNS1_3gpuE7ELNS1_3repE0EEENS1_30default_config_static_selectorELNS0_4arch9wavefront6targetE0EEEvSP_
    .private_segment_fixed_size: 0
    .sgpr_count:     0
    .sgpr_spill_count: 0
    .symbol:         _ZN7rocprim17ROCPRIM_400000_NS6detail17trampoline_kernelINS0_14default_configENS1_32segmented_reduce_config_selectorIdEEZNS1_21segmented_reduce_implIS3_PKdPdPKldN6hipcub16HIPCUB_304000_NS6detail27convert_result_type_wrapperIS8_S9_N2at6native12_GLOBAL__N_19CustomSumEEEEE10hipError_tPvRmT0_T1_jT2_SQ_T4_T3_P12ihipStream_tbEUlT_E_NS1_11comp_targetILNS1_3genE3ELNS1_11target_archE908ELNS1_3gpuE7ELNS1_3repE0EEENS1_30default_config_static_selectorELNS0_4arch9wavefront6targetE0EEEvSP_.kd
    .uniform_work_group_size: 1
    .uses_dynamic_stack: false
    .vgpr_count:     0
    .vgpr_spill_count: 0
    .wavefront_size: 32
    .workgroup_processor_mode: 1
  - .args:
      - .offset:         0
        .size:           56
        .value_kind:     by_value
    .group_segment_fixed_size: 0
    .kernarg_segment_align: 8
    .kernarg_segment_size: 56
    .language:       OpenCL C
    .language_version:
      - 2
      - 0
    .max_flat_workgroup_size: 256
    .name:           _ZN7rocprim17ROCPRIM_400000_NS6detail17trampoline_kernelINS0_14default_configENS1_32segmented_reduce_config_selectorIdEEZNS1_21segmented_reduce_implIS3_PKdPdPKldN6hipcub16HIPCUB_304000_NS6detail27convert_result_type_wrapperIS8_S9_N2at6native12_GLOBAL__N_19CustomSumEEEEE10hipError_tPvRmT0_T1_jT2_SQ_T4_T3_P12ihipStream_tbEUlT_E_NS1_11comp_targetILNS1_3genE2ELNS1_11target_archE906ELNS1_3gpuE6ELNS1_3repE0EEENS1_30default_config_static_selectorELNS0_4arch9wavefront6targetE0EEEvSP_
    .private_segment_fixed_size: 0
    .sgpr_count:     0
    .sgpr_spill_count: 0
    .symbol:         _ZN7rocprim17ROCPRIM_400000_NS6detail17trampoline_kernelINS0_14default_configENS1_32segmented_reduce_config_selectorIdEEZNS1_21segmented_reduce_implIS3_PKdPdPKldN6hipcub16HIPCUB_304000_NS6detail27convert_result_type_wrapperIS8_S9_N2at6native12_GLOBAL__N_19CustomSumEEEEE10hipError_tPvRmT0_T1_jT2_SQ_T4_T3_P12ihipStream_tbEUlT_E_NS1_11comp_targetILNS1_3genE2ELNS1_11target_archE906ELNS1_3gpuE6ELNS1_3repE0EEENS1_30default_config_static_selectorELNS0_4arch9wavefront6targetE0EEEvSP_.kd
    .uniform_work_group_size: 1
    .uses_dynamic_stack: false
    .vgpr_count:     0
    .vgpr_spill_count: 0
    .wavefront_size: 32
    .workgroup_processor_mode: 1
  - .args:
      - .offset:         0
        .size:           56
        .value_kind:     by_value
    .group_segment_fixed_size: 64
    .kernarg_segment_align: 8
    .kernarg_segment_size: 56
    .language:       OpenCL C
    .language_version:
      - 2
      - 0
    .max_flat_workgroup_size: 256
    .name:           _ZN7rocprim17ROCPRIM_400000_NS6detail17trampoline_kernelINS0_14default_configENS1_32segmented_reduce_config_selectorIdEEZNS1_21segmented_reduce_implIS3_PKdPdPKldN6hipcub16HIPCUB_304000_NS6detail27convert_result_type_wrapperIS8_S9_N2at6native12_GLOBAL__N_19CustomSumEEEEE10hipError_tPvRmT0_T1_jT2_SQ_T4_T3_P12ihipStream_tbEUlT_E_NS1_11comp_targetILNS1_3genE9ELNS1_11target_archE1100ELNS1_3gpuE3ELNS1_3repE0EEENS1_30default_config_static_selectorELNS0_4arch9wavefront6targetE0EEEvSP_
    .private_segment_fixed_size: 0
    .sgpr_count:     36
    .sgpr_spill_count: 0
    .symbol:         _ZN7rocprim17ROCPRIM_400000_NS6detail17trampoline_kernelINS0_14default_configENS1_32segmented_reduce_config_selectorIdEEZNS1_21segmented_reduce_implIS3_PKdPdPKldN6hipcub16HIPCUB_304000_NS6detail27convert_result_type_wrapperIS8_S9_N2at6native12_GLOBAL__N_19CustomSumEEEEE10hipError_tPvRmT0_T1_jT2_SQ_T4_T3_P12ihipStream_tbEUlT_E_NS1_11comp_targetILNS1_3genE9ELNS1_11target_archE1100ELNS1_3gpuE3ELNS1_3repE0EEENS1_30default_config_static_selectorELNS0_4arch9wavefront6targetE0EEEvSP_.kd
    .uniform_work_group_size: 1
    .uses_dynamic_stack: false
    .vgpr_count:     40
    .vgpr_spill_count: 0
    .wavefront_size: 32
    .workgroup_processor_mode: 1
  - .args:
      - .offset:         0
        .size:           56
        .value_kind:     by_value
    .group_segment_fixed_size: 0
    .kernarg_segment_align: 8
    .kernarg_segment_size: 56
    .language:       OpenCL C
    .language_version:
      - 2
      - 0
    .max_flat_workgroup_size: 256
    .name:           _ZN7rocprim17ROCPRIM_400000_NS6detail17trampoline_kernelINS0_14default_configENS1_32segmented_reduce_config_selectorIdEEZNS1_21segmented_reduce_implIS3_PKdPdPKldN6hipcub16HIPCUB_304000_NS6detail27convert_result_type_wrapperIS8_S9_N2at6native12_GLOBAL__N_19CustomSumEEEEE10hipError_tPvRmT0_T1_jT2_SQ_T4_T3_P12ihipStream_tbEUlT_E_NS1_11comp_targetILNS1_3genE8ELNS1_11target_archE1030ELNS1_3gpuE2ELNS1_3repE0EEENS1_30default_config_static_selectorELNS0_4arch9wavefront6targetE0EEEvSP_
    .private_segment_fixed_size: 0
    .sgpr_count:     0
    .sgpr_spill_count: 0
    .symbol:         _ZN7rocprim17ROCPRIM_400000_NS6detail17trampoline_kernelINS0_14default_configENS1_32segmented_reduce_config_selectorIdEEZNS1_21segmented_reduce_implIS3_PKdPdPKldN6hipcub16HIPCUB_304000_NS6detail27convert_result_type_wrapperIS8_S9_N2at6native12_GLOBAL__N_19CustomSumEEEEE10hipError_tPvRmT0_T1_jT2_SQ_T4_T3_P12ihipStream_tbEUlT_E_NS1_11comp_targetILNS1_3genE8ELNS1_11target_archE1030ELNS1_3gpuE2ELNS1_3repE0EEENS1_30default_config_static_selectorELNS0_4arch9wavefront6targetE0EEEvSP_.kd
    .uniform_work_group_size: 1
    .uses_dynamic_stack: false
    .vgpr_count:     0
    .vgpr_spill_count: 0
    .wavefront_size: 32
    .workgroup_processor_mode: 1
  - .args:
      - .address_space:  global
        .offset:         0
        .size:           8
        .value_kind:     global_buffer
      - .address_space:  global
        .offset:         8
        .size:           8
        .value_kind:     global_buffer
      - .offset:         16
        .size:           8
        .value_kind:     by_value
      - .offset:         24
        .size:           1
        .value_kind:     by_value
      - .offset:         32
        .size:           8
        .value_kind:     by_value
      - .offset:         40
        .size:           4
        .value_kind:     hidden_block_count_x
      - .offset:         44
        .size:           4
        .value_kind:     hidden_block_count_y
      - .offset:         48
        .size:           4
        .value_kind:     hidden_block_count_z
      - .offset:         52
        .size:           2
        .value_kind:     hidden_group_size_x
      - .offset:         54
        .size:           2
        .value_kind:     hidden_group_size_y
      - .offset:         56
        .size:           2
        .value_kind:     hidden_group_size_z
      - .offset:         58
        .size:           2
        .value_kind:     hidden_remainder_x
      - .offset:         60
        .size:           2
        .value_kind:     hidden_remainder_y
      - .offset:         62
        .size:           2
        .value_kind:     hidden_remainder_z
      - .offset:         80
        .size:           8
        .value_kind:     hidden_global_offset_x
      - .offset:         88
        .size:           8
        .value_kind:     hidden_global_offset_y
      - .offset:         96
        .size:           8
        .value_kind:     hidden_global_offset_z
      - .offset:         104
        .size:           2
        .value_kind:     hidden_grid_dims
    .group_segment_fixed_size: 0
    .kernarg_segment_align: 8
    .kernarg_segment_size: 296
    .language:       OpenCL C
    .language_version:
      - 2
      - 0
    .max_flat_workgroup_size: 1024
    .name:           _ZN2at6native12_GLOBAL__N_119post_sum_div_kernelIdlEEvPT_PKT0_lbS3_
    .private_segment_fixed_size: 0
    .sgpr_count:     20
    .sgpr_spill_count: 0
    .symbol:         _ZN2at6native12_GLOBAL__N_119post_sum_div_kernelIdlEEvPT_PKT0_lbS3_.kd
    .uniform_work_group_size: 1
    .uses_dynamic_stack: false
    .vgpr_count:     18
    .vgpr_spill_count: 0
    .wavefront_size: 32
    .workgroup_processor_mode: 1
  - .args:
      - .offset:         0
        .size:           56
        .value_kind:     by_value
    .group_segment_fixed_size: 0
    .kernarg_segment_align: 8
    .kernarg_segment_size: 56
    .language:       OpenCL C
    .language_version:
      - 2
      - 0
    .max_flat_workgroup_size: 256
    .name:           _ZN7rocprim17ROCPRIM_400000_NS6detail17trampoline_kernelINS0_14default_configENS1_32segmented_reduce_config_selectorIdEEZNS1_21segmented_reduce_implIS3_PKdPdPKldN6hipcub16HIPCUB_304000_NS6detail27convert_result_type_wrapperIS8_S9_N2at6native12_GLOBAL__N_19CustomMinEEEEE10hipError_tPvRmT0_T1_jT2_SQ_T4_T3_P12ihipStream_tbEUlT_E_NS1_11comp_targetILNS1_3genE0ELNS1_11target_archE4294967295ELNS1_3gpuE0ELNS1_3repE0EEENS1_30default_config_static_selectorELNS0_4arch9wavefront6targetE0EEEvSP_
    .private_segment_fixed_size: 0
    .sgpr_count:     0
    .sgpr_spill_count: 0
    .symbol:         _ZN7rocprim17ROCPRIM_400000_NS6detail17trampoline_kernelINS0_14default_configENS1_32segmented_reduce_config_selectorIdEEZNS1_21segmented_reduce_implIS3_PKdPdPKldN6hipcub16HIPCUB_304000_NS6detail27convert_result_type_wrapperIS8_S9_N2at6native12_GLOBAL__N_19CustomMinEEEEE10hipError_tPvRmT0_T1_jT2_SQ_T4_T3_P12ihipStream_tbEUlT_E_NS1_11comp_targetILNS1_3genE0ELNS1_11target_archE4294967295ELNS1_3gpuE0ELNS1_3repE0EEENS1_30default_config_static_selectorELNS0_4arch9wavefront6targetE0EEEvSP_.kd
    .uniform_work_group_size: 1
    .uses_dynamic_stack: false
    .vgpr_count:     0
    .vgpr_spill_count: 0
    .wavefront_size: 32
    .workgroup_processor_mode: 1
  - .args:
      - .offset:         0
        .size:           56
        .value_kind:     by_value
    .group_segment_fixed_size: 0
    .kernarg_segment_align: 8
    .kernarg_segment_size: 56
    .language:       OpenCL C
    .language_version:
      - 2
      - 0
    .max_flat_workgroup_size: 256
    .name:           _ZN7rocprim17ROCPRIM_400000_NS6detail17trampoline_kernelINS0_14default_configENS1_32segmented_reduce_config_selectorIdEEZNS1_21segmented_reduce_implIS3_PKdPdPKldN6hipcub16HIPCUB_304000_NS6detail27convert_result_type_wrapperIS8_S9_N2at6native12_GLOBAL__N_19CustomMinEEEEE10hipError_tPvRmT0_T1_jT2_SQ_T4_T3_P12ihipStream_tbEUlT_E_NS1_11comp_targetILNS1_3genE5ELNS1_11target_archE942ELNS1_3gpuE9ELNS1_3repE0EEENS1_30default_config_static_selectorELNS0_4arch9wavefront6targetE0EEEvSP_
    .private_segment_fixed_size: 0
    .sgpr_count:     0
    .sgpr_spill_count: 0
    .symbol:         _ZN7rocprim17ROCPRIM_400000_NS6detail17trampoline_kernelINS0_14default_configENS1_32segmented_reduce_config_selectorIdEEZNS1_21segmented_reduce_implIS3_PKdPdPKldN6hipcub16HIPCUB_304000_NS6detail27convert_result_type_wrapperIS8_S9_N2at6native12_GLOBAL__N_19CustomMinEEEEE10hipError_tPvRmT0_T1_jT2_SQ_T4_T3_P12ihipStream_tbEUlT_E_NS1_11comp_targetILNS1_3genE5ELNS1_11target_archE942ELNS1_3gpuE9ELNS1_3repE0EEENS1_30default_config_static_selectorELNS0_4arch9wavefront6targetE0EEEvSP_.kd
    .uniform_work_group_size: 1
    .uses_dynamic_stack: false
    .vgpr_count:     0
    .vgpr_spill_count: 0
    .wavefront_size: 32
    .workgroup_processor_mode: 1
  - .args:
      - .offset:         0
        .size:           56
        .value_kind:     by_value
    .group_segment_fixed_size: 0
    .kernarg_segment_align: 8
    .kernarg_segment_size: 56
    .language:       OpenCL C
    .language_version:
      - 2
      - 0
    .max_flat_workgroup_size: 256
    .name:           _ZN7rocprim17ROCPRIM_400000_NS6detail17trampoline_kernelINS0_14default_configENS1_32segmented_reduce_config_selectorIdEEZNS1_21segmented_reduce_implIS3_PKdPdPKldN6hipcub16HIPCUB_304000_NS6detail27convert_result_type_wrapperIS8_S9_N2at6native12_GLOBAL__N_19CustomMinEEEEE10hipError_tPvRmT0_T1_jT2_SQ_T4_T3_P12ihipStream_tbEUlT_E_NS1_11comp_targetILNS1_3genE10ELNS1_11target_archE1201ELNS1_3gpuE5ELNS1_3repE0EEENS1_30default_config_static_selectorELNS0_4arch9wavefront6targetE0EEEvSP_
    .private_segment_fixed_size: 0
    .sgpr_count:     0
    .sgpr_spill_count: 0
    .symbol:         _ZN7rocprim17ROCPRIM_400000_NS6detail17trampoline_kernelINS0_14default_configENS1_32segmented_reduce_config_selectorIdEEZNS1_21segmented_reduce_implIS3_PKdPdPKldN6hipcub16HIPCUB_304000_NS6detail27convert_result_type_wrapperIS8_S9_N2at6native12_GLOBAL__N_19CustomMinEEEEE10hipError_tPvRmT0_T1_jT2_SQ_T4_T3_P12ihipStream_tbEUlT_E_NS1_11comp_targetILNS1_3genE10ELNS1_11target_archE1201ELNS1_3gpuE5ELNS1_3repE0EEENS1_30default_config_static_selectorELNS0_4arch9wavefront6targetE0EEEvSP_.kd
    .uniform_work_group_size: 1
    .uses_dynamic_stack: false
    .vgpr_count:     0
    .vgpr_spill_count: 0
    .wavefront_size: 32
    .workgroup_processor_mode: 1
  - .args:
      - .offset:         0
        .size:           56
        .value_kind:     by_value
    .group_segment_fixed_size: 0
    .kernarg_segment_align: 8
    .kernarg_segment_size: 56
    .language:       OpenCL C
    .language_version:
      - 2
      - 0
    .max_flat_workgroup_size: 256
    .name:           _ZN7rocprim17ROCPRIM_400000_NS6detail17trampoline_kernelINS0_14default_configENS1_32segmented_reduce_config_selectorIdEEZNS1_21segmented_reduce_implIS3_PKdPdPKldN6hipcub16HIPCUB_304000_NS6detail27convert_result_type_wrapperIS8_S9_N2at6native12_GLOBAL__N_19CustomMinEEEEE10hipError_tPvRmT0_T1_jT2_SQ_T4_T3_P12ihipStream_tbEUlT_E_NS1_11comp_targetILNS1_3genE4ELNS1_11target_archE910ELNS1_3gpuE8ELNS1_3repE0EEENS1_30default_config_static_selectorELNS0_4arch9wavefront6targetE0EEEvSP_
    .private_segment_fixed_size: 0
    .sgpr_count:     0
    .sgpr_spill_count: 0
    .symbol:         _ZN7rocprim17ROCPRIM_400000_NS6detail17trampoline_kernelINS0_14default_configENS1_32segmented_reduce_config_selectorIdEEZNS1_21segmented_reduce_implIS3_PKdPdPKldN6hipcub16HIPCUB_304000_NS6detail27convert_result_type_wrapperIS8_S9_N2at6native12_GLOBAL__N_19CustomMinEEEEE10hipError_tPvRmT0_T1_jT2_SQ_T4_T3_P12ihipStream_tbEUlT_E_NS1_11comp_targetILNS1_3genE4ELNS1_11target_archE910ELNS1_3gpuE8ELNS1_3repE0EEENS1_30default_config_static_selectorELNS0_4arch9wavefront6targetE0EEEvSP_.kd
    .uniform_work_group_size: 1
    .uses_dynamic_stack: false
    .vgpr_count:     0
    .vgpr_spill_count: 0
    .wavefront_size: 32
    .workgroup_processor_mode: 1
  - .args:
      - .offset:         0
        .size:           56
        .value_kind:     by_value
    .group_segment_fixed_size: 0
    .kernarg_segment_align: 8
    .kernarg_segment_size: 56
    .language:       OpenCL C
    .language_version:
      - 2
      - 0
    .max_flat_workgroup_size: 256
    .name:           _ZN7rocprim17ROCPRIM_400000_NS6detail17trampoline_kernelINS0_14default_configENS1_32segmented_reduce_config_selectorIdEEZNS1_21segmented_reduce_implIS3_PKdPdPKldN6hipcub16HIPCUB_304000_NS6detail27convert_result_type_wrapperIS8_S9_N2at6native12_GLOBAL__N_19CustomMinEEEEE10hipError_tPvRmT0_T1_jT2_SQ_T4_T3_P12ihipStream_tbEUlT_E_NS1_11comp_targetILNS1_3genE3ELNS1_11target_archE908ELNS1_3gpuE7ELNS1_3repE0EEENS1_30default_config_static_selectorELNS0_4arch9wavefront6targetE0EEEvSP_
    .private_segment_fixed_size: 0
    .sgpr_count:     0
    .sgpr_spill_count: 0
    .symbol:         _ZN7rocprim17ROCPRIM_400000_NS6detail17trampoline_kernelINS0_14default_configENS1_32segmented_reduce_config_selectorIdEEZNS1_21segmented_reduce_implIS3_PKdPdPKldN6hipcub16HIPCUB_304000_NS6detail27convert_result_type_wrapperIS8_S9_N2at6native12_GLOBAL__N_19CustomMinEEEEE10hipError_tPvRmT0_T1_jT2_SQ_T4_T3_P12ihipStream_tbEUlT_E_NS1_11comp_targetILNS1_3genE3ELNS1_11target_archE908ELNS1_3gpuE7ELNS1_3repE0EEENS1_30default_config_static_selectorELNS0_4arch9wavefront6targetE0EEEvSP_.kd
    .uniform_work_group_size: 1
    .uses_dynamic_stack: false
    .vgpr_count:     0
    .vgpr_spill_count: 0
    .wavefront_size: 32
    .workgroup_processor_mode: 1
  - .args:
      - .offset:         0
        .size:           56
        .value_kind:     by_value
    .group_segment_fixed_size: 0
    .kernarg_segment_align: 8
    .kernarg_segment_size: 56
    .language:       OpenCL C
    .language_version:
      - 2
      - 0
    .max_flat_workgroup_size: 256
    .name:           _ZN7rocprim17ROCPRIM_400000_NS6detail17trampoline_kernelINS0_14default_configENS1_32segmented_reduce_config_selectorIdEEZNS1_21segmented_reduce_implIS3_PKdPdPKldN6hipcub16HIPCUB_304000_NS6detail27convert_result_type_wrapperIS8_S9_N2at6native12_GLOBAL__N_19CustomMinEEEEE10hipError_tPvRmT0_T1_jT2_SQ_T4_T3_P12ihipStream_tbEUlT_E_NS1_11comp_targetILNS1_3genE2ELNS1_11target_archE906ELNS1_3gpuE6ELNS1_3repE0EEENS1_30default_config_static_selectorELNS0_4arch9wavefront6targetE0EEEvSP_
    .private_segment_fixed_size: 0
    .sgpr_count:     0
    .sgpr_spill_count: 0
    .symbol:         _ZN7rocprim17ROCPRIM_400000_NS6detail17trampoline_kernelINS0_14default_configENS1_32segmented_reduce_config_selectorIdEEZNS1_21segmented_reduce_implIS3_PKdPdPKldN6hipcub16HIPCUB_304000_NS6detail27convert_result_type_wrapperIS8_S9_N2at6native12_GLOBAL__N_19CustomMinEEEEE10hipError_tPvRmT0_T1_jT2_SQ_T4_T3_P12ihipStream_tbEUlT_E_NS1_11comp_targetILNS1_3genE2ELNS1_11target_archE906ELNS1_3gpuE6ELNS1_3repE0EEENS1_30default_config_static_selectorELNS0_4arch9wavefront6targetE0EEEvSP_.kd
    .uniform_work_group_size: 1
    .uses_dynamic_stack: false
    .vgpr_count:     0
    .vgpr_spill_count: 0
    .wavefront_size: 32
    .workgroup_processor_mode: 1
  - .args:
      - .offset:         0
        .size:           56
        .value_kind:     by_value
    .group_segment_fixed_size: 64
    .kernarg_segment_align: 8
    .kernarg_segment_size: 56
    .language:       OpenCL C
    .language_version:
      - 2
      - 0
    .max_flat_workgroup_size: 256
    .name:           _ZN7rocprim17ROCPRIM_400000_NS6detail17trampoline_kernelINS0_14default_configENS1_32segmented_reduce_config_selectorIdEEZNS1_21segmented_reduce_implIS3_PKdPdPKldN6hipcub16HIPCUB_304000_NS6detail27convert_result_type_wrapperIS8_S9_N2at6native12_GLOBAL__N_19CustomMinEEEEE10hipError_tPvRmT0_T1_jT2_SQ_T4_T3_P12ihipStream_tbEUlT_E_NS1_11comp_targetILNS1_3genE9ELNS1_11target_archE1100ELNS1_3gpuE3ELNS1_3repE0EEENS1_30default_config_static_selectorELNS0_4arch9wavefront6targetE0EEEvSP_
    .private_segment_fixed_size: 0
    .sgpr_count:     24
    .sgpr_spill_count: 0
    .symbol:         _ZN7rocprim17ROCPRIM_400000_NS6detail17trampoline_kernelINS0_14default_configENS1_32segmented_reduce_config_selectorIdEEZNS1_21segmented_reduce_implIS3_PKdPdPKldN6hipcub16HIPCUB_304000_NS6detail27convert_result_type_wrapperIS8_S9_N2at6native12_GLOBAL__N_19CustomMinEEEEE10hipError_tPvRmT0_T1_jT2_SQ_T4_T3_P12ihipStream_tbEUlT_E_NS1_11comp_targetILNS1_3genE9ELNS1_11target_archE1100ELNS1_3gpuE3ELNS1_3repE0EEENS1_30default_config_static_selectorELNS0_4arch9wavefront6targetE0EEEvSP_.kd
    .uniform_work_group_size: 1
    .uses_dynamic_stack: false
    .vgpr_count:     50
    .vgpr_spill_count: 0
    .wavefront_size: 32
    .workgroup_processor_mode: 1
  - .args:
      - .offset:         0
        .size:           56
        .value_kind:     by_value
    .group_segment_fixed_size: 0
    .kernarg_segment_align: 8
    .kernarg_segment_size: 56
    .language:       OpenCL C
    .language_version:
      - 2
      - 0
    .max_flat_workgroup_size: 256
    .name:           _ZN7rocprim17ROCPRIM_400000_NS6detail17trampoline_kernelINS0_14default_configENS1_32segmented_reduce_config_selectorIdEEZNS1_21segmented_reduce_implIS3_PKdPdPKldN6hipcub16HIPCUB_304000_NS6detail27convert_result_type_wrapperIS8_S9_N2at6native12_GLOBAL__N_19CustomMinEEEEE10hipError_tPvRmT0_T1_jT2_SQ_T4_T3_P12ihipStream_tbEUlT_E_NS1_11comp_targetILNS1_3genE8ELNS1_11target_archE1030ELNS1_3gpuE2ELNS1_3repE0EEENS1_30default_config_static_selectorELNS0_4arch9wavefront6targetE0EEEvSP_
    .private_segment_fixed_size: 0
    .sgpr_count:     0
    .sgpr_spill_count: 0
    .symbol:         _ZN7rocprim17ROCPRIM_400000_NS6detail17trampoline_kernelINS0_14default_configENS1_32segmented_reduce_config_selectorIdEEZNS1_21segmented_reduce_implIS3_PKdPdPKldN6hipcub16HIPCUB_304000_NS6detail27convert_result_type_wrapperIS8_S9_N2at6native12_GLOBAL__N_19CustomMinEEEEE10hipError_tPvRmT0_T1_jT2_SQ_T4_T3_P12ihipStream_tbEUlT_E_NS1_11comp_targetILNS1_3genE8ELNS1_11target_archE1030ELNS1_3gpuE2ELNS1_3repE0EEENS1_30default_config_static_selectorELNS0_4arch9wavefront6targetE0EEEvSP_.kd
    .uniform_work_group_size: 1
    .uses_dynamic_stack: false
    .vgpr_count:     0
    .vgpr_spill_count: 0
    .wavefront_size: 32
    .workgroup_processor_mode: 1
  - .args:
      - .offset:         0
        .size:           56
        .value_kind:     by_value
    .group_segment_fixed_size: 0
    .kernarg_segment_align: 8
    .kernarg_segment_size: 56
    .language:       OpenCL C
    .language_version:
      - 2
      - 0
    .max_flat_workgroup_size: 256
    .name:           _ZN7rocprim17ROCPRIM_400000_NS6detail17trampoline_kernelINS0_14default_configENS1_32segmented_reduce_config_selectorIdEEZNS1_21segmented_reduce_implIS3_PKdPdPKldN6hipcub16HIPCUB_304000_NS6detail27convert_result_type_wrapperIS8_S9_N2at6native12_GLOBAL__N_110CustomProdEEEEE10hipError_tPvRmT0_T1_jT2_SQ_T4_T3_P12ihipStream_tbEUlT_E_NS1_11comp_targetILNS1_3genE0ELNS1_11target_archE4294967295ELNS1_3gpuE0ELNS1_3repE0EEENS1_30default_config_static_selectorELNS0_4arch9wavefront6targetE0EEEvSP_
    .private_segment_fixed_size: 0
    .sgpr_count:     0
    .sgpr_spill_count: 0
    .symbol:         _ZN7rocprim17ROCPRIM_400000_NS6detail17trampoline_kernelINS0_14default_configENS1_32segmented_reduce_config_selectorIdEEZNS1_21segmented_reduce_implIS3_PKdPdPKldN6hipcub16HIPCUB_304000_NS6detail27convert_result_type_wrapperIS8_S9_N2at6native12_GLOBAL__N_110CustomProdEEEEE10hipError_tPvRmT0_T1_jT2_SQ_T4_T3_P12ihipStream_tbEUlT_E_NS1_11comp_targetILNS1_3genE0ELNS1_11target_archE4294967295ELNS1_3gpuE0ELNS1_3repE0EEENS1_30default_config_static_selectorELNS0_4arch9wavefront6targetE0EEEvSP_.kd
    .uniform_work_group_size: 1
    .uses_dynamic_stack: false
    .vgpr_count:     0
    .vgpr_spill_count: 0
    .wavefront_size: 32
    .workgroup_processor_mode: 1
  - .args:
      - .offset:         0
        .size:           56
        .value_kind:     by_value
    .group_segment_fixed_size: 0
    .kernarg_segment_align: 8
    .kernarg_segment_size: 56
    .language:       OpenCL C
    .language_version:
      - 2
      - 0
    .max_flat_workgroup_size: 256
    .name:           _ZN7rocprim17ROCPRIM_400000_NS6detail17trampoline_kernelINS0_14default_configENS1_32segmented_reduce_config_selectorIdEEZNS1_21segmented_reduce_implIS3_PKdPdPKldN6hipcub16HIPCUB_304000_NS6detail27convert_result_type_wrapperIS8_S9_N2at6native12_GLOBAL__N_110CustomProdEEEEE10hipError_tPvRmT0_T1_jT2_SQ_T4_T3_P12ihipStream_tbEUlT_E_NS1_11comp_targetILNS1_3genE5ELNS1_11target_archE942ELNS1_3gpuE9ELNS1_3repE0EEENS1_30default_config_static_selectorELNS0_4arch9wavefront6targetE0EEEvSP_
    .private_segment_fixed_size: 0
    .sgpr_count:     0
    .sgpr_spill_count: 0
    .symbol:         _ZN7rocprim17ROCPRIM_400000_NS6detail17trampoline_kernelINS0_14default_configENS1_32segmented_reduce_config_selectorIdEEZNS1_21segmented_reduce_implIS3_PKdPdPKldN6hipcub16HIPCUB_304000_NS6detail27convert_result_type_wrapperIS8_S9_N2at6native12_GLOBAL__N_110CustomProdEEEEE10hipError_tPvRmT0_T1_jT2_SQ_T4_T3_P12ihipStream_tbEUlT_E_NS1_11comp_targetILNS1_3genE5ELNS1_11target_archE942ELNS1_3gpuE9ELNS1_3repE0EEENS1_30default_config_static_selectorELNS0_4arch9wavefront6targetE0EEEvSP_.kd
    .uniform_work_group_size: 1
    .uses_dynamic_stack: false
    .vgpr_count:     0
    .vgpr_spill_count: 0
    .wavefront_size: 32
    .workgroup_processor_mode: 1
  - .args:
      - .offset:         0
        .size:           56
        .value_kind:     by_value
    .group_segment_fixed_size: 0
    .kernarg_segment_align: 8
    .kernarg_segment_size: 56
    .language:       OpenCL C
    .language_version:
      - 2
      - 0
    .max_flat_workgroup_size: 256
    .name:           _ZN7rocprim17ROCPRIM_400000_NS6detail17trampoline_kernelINS0_14default_configENS1_32segmented_reduce_config_selectorIdEEZNS1_21segmented_reduce_implIS3_PKdPdPKldN6hipcub16HIPCUB_304000_NS6detail27convert_result_type_wrapperIS8_S9_N2at6native12_GLOBAL__N_110CustomProdEEEEE10hipError_tPvRmT0_T1_jT2_SQ_T4_T3_P12ihipStream_tbEUlT_E_NS1_11comp_targetILNS1_3genE10ELNS1_11target_archE1201ELNS1_3gpuE5ELNS1_3repE0EEENS1_30default_config_static_selectorELNS0_4arch9wavefront6targetE0EEEvSP_
    .private_segment_fixed_size: 0
    .sgpr_count:     0
    .sgpr_spill_count: 0
    .symbol:         _ZN7rocprim17ROCPRIM_400000_NS6detail17trampoline_kernelINS0_14default_configENS1_32segmented_reduce_config_selectorIdEEZNS1_21segmented_reduce_implIS3_PKdPdPKldN6hipcub16HIPCUB_304000_NS6detail27convert_result_type_wrapperIS8_S9_N2at6native12_GLOBAL__N_110CustomProdEEEEE10hipError_tPvRmT0_T1_jT2_SQ_T4_T3_P12ihipStream_tbEUlT_E_NS1_11comp_targetILNS1_3genE10ELNS1_11target_archE1201ELNS1_3gpuE5ELNS1_3repE0EEENS1_30default_config_static_selectorELNS0_4arch9wavefront6targetE0EEEvSP_.kd
    .uniform_work_group_size: 1
    .uses_dynamic_stack: false
    .vgpr_count:     0
    .vgpr_spill_count: 0
    .wavefront_size: 32
    .workgroup_processor_mode: 1
  - .args:
      - .offset:         0
        .size:           56
        .value_kind:     by_value
    .group_segment_fixed_size: 0
    .kernarg_segment_align: 8
    .kernarg_segment_size: 56
    .language:       OpenCL C
    .language_version:
      - 2
      - 0
    .max_flat_workgroup_size: 256
    .name:           _ZN7rocprim17ROCPRIM_400000_NS6detail17trampoline_kernelINS0_14default_configENS1_32segmented_reduce_config_selectorIdEEZNS1_21segmented_reduce_implIS3_PKdPdPKldN6hipcub16HIPCUB_304000_NS6detail27convert_result_type_wrapperIS8_S9_N2at6native12_GLOBAL__N_110CustomProdEEEEE10hipError_tPvRmT0_T1_jT2_SQ_T4_T3_P12ihipStream_tbEUlT_E_NS1_11comp_targetILNS1_3genE4ELNS1_11target_archE910ELNS1_3gpuE8ELNS1_3repE0EEENS1_30default_config_static_selectorELNS0_4arch9wavefront6targetE0EEEvSP_
    .private_segment_fixed_size: 0
    .sgpr_count:     0
    .sgpr_spill_count: 0
    .symbol:         _ZN7rocprim17ROCPRIM_400000_NS6detail17trampoline_kernelINS0_14default_configENS1_32segmented_reduce_config_selectorIdEEZNS1_21segmented_reduce_implIS3_PKdPdPKldN6hipcub16HIPCUB_304000_NS6detail27convert_result_type_wrapperIS8_S9_N2at6native12_GLOBAL__N_110CustomProdEEEEE10hipError_tPvRmT0_T1_jT2_SQ_T4_T3_P12ihipStream_tbEUlT_E_NS1_11comp_targetILNS1_3genE4ELNS1_11target_archE910ELNS1_3gpuE8ELNS1_3repE0EEENS1_30default_config_static_selectorELNS0_4arch9wavefront6targetE0EEEvSP_.kd
    .uniform_work_group_size: 1
    .uses_dynamic_stack: false
    .vgpr_count:     0
    .vgpr_spill_count: 0
    .wavefront_size: 32
    .workgroup_processor_mode: 1
  - .args:
      - .offset:         0
        .size:           56
        .value_kind:     by_value
    .group_segment_fixed_size: 0
    .kernarg_segment_align: 8
    .kernarg_segment_size: 56
    .language:       OpenCL C
    .language_version:
      - 2
      - 0
    .max_flat_workgroup_size: 256
    .name:           _ZN7rocprim17ROCPRIM_400000_NS6detail17trampoline_kernelINS0_14default_configENS1_32segmented_reduce_config_selectorIdEEZNS1_21segmented_reduce_implIS3_PKdPdPKldN6hipcub16HIPCUB_304000_NS6detail27convert_result_type_wrapperIS8_S9_N2at6native12_GLOBAL__N_110CustomProdEEEEE10hipError_tPvRmT0_T1_jT2_SQ_T4_T3_P12ihipStream_tbEUlT_E_NS1_11comp_targetILNS1_3genE3ELNS1_11target_archE908ELNS1_3gpuE7ELNS1_3repE0EEENS1_30default_config_static_selectorELNS0_4arch9wavefront6targetE0EEEvSP_
    .private_segment_fixed_size: 0
    .sgpr_count:     0
    .sgpr_spill_count: 0
    .symbol:         _ZN7rocprim17ROCPRIM_400000_NS6detail17trampoline_kernelINS0_14default_configENS1_32segmented_reduce_config_selectorIdEEZNS1_21segmented_reduce_implIS3_PKdPdPKldN6hipcub16HIPCUB_304000_NS6detail27convert_result_type_wrapperIS8_S9_N2at6native12_GLOBAL__N_110CustomProdEEEEE10hipError_tPvRmT0_T1_jT2_SQ_T4_T3_P12ihipStream_tbEUlT_E_NS1_11comp_targetILNS1_3genE3ELNS1_11target_archE908ELNS1_3gpuE7ELNS1_3repE0EEENS1_30default_config_static_selectorELNS0_4arch9wavefront6targetE0EEEvSP_.kd
    .uniform_work_group_size: 1
    .uses_dynamic_stack: false
    .vgpr_count:     0
    .vgpr_spill_count: 0
    .wavefront_size: 32
    .workgroup_processor_mode: 1
  - .args:
      - .offset:         0
        .size:           56
        .value_kind:     by_value
    .group_segment_fixed_size: 0
    .kernarg_segment_align: 8
    .kernarg_segment_size: 56
    .language:       OpenCL C
    .language_version:
      - 2
      - 0
    .max_flat_workgroup_size: 256
    .name:           _ZN7rocprim17ROCPRIM_400000_NS6detail17trampoline_kernelINS0_14default_configENS1_32segmented_reduce_config_selectorIdEEZNS1_21segmented_reduce_implIS3_PKdPdPKldN6hipcub16HIPCUB_304000_NS6detail27convert_result_type_wrapperIS8_S9_N2at6native12_GLOBAL__N_110CustomProdEEEEE10hipError_tPvRmT0_T1_jT2_SQ_T4_T3_P12ihipStream_tbEUlT_E_NS1_11comp_targetILNS1_3genE2ELNS1_11target_archE906ELNS1_3gpuE6ELNS1_3repE0EEENS1_30default_config_static_selectorELNS0_4arch9wavefront6targetE0EEEvSP_
    .private_segment_fixed_size: 0
    .sgpr_count:     0
    .sgpr_spill_count: 0
    .symbol:         _ZN7rocprim17ROCPRIM_400000_NS6detail17trampoline_kernelINS0_14default_configENS1_32segmented_reduce_config_selectorIdEEZNS1_21segmented_reduce_implIS3_PKdPdPKldN6hipcub16HIPCUB_304000_NS6detail27convert_result_type_wrapperIS8_S9_N2at6native12_GLOBAL__N_110CustomProdEEEEE10hipError_tPvRmT0_T1_jT2_SQ_T4_T3_P12ihipStream_tbEUlT_E_NS1_11comp_targetILNS1_3genE2ELNS1_11target_archE906ELNS1_3gpuE6ELNS1_3repE0EEENS1_30default_config_static_selectorELNS0_4arch9wavefront6targetE0EEEvSP_.kd
    .uniform_work_group_size: 1
    .uses_dynamic_stack: false
    .vgpr_count:     0
    .vgpr_spill_count: 0
    .wavefront_size: 32
    .workgroup_processor_mode: 1
  - .args:
      - .offset:         0
        .size:           56
        .value_kind:     by_value
    .group_segment_fixed_size: 64
    .kernarg_segment_align: 8
    .kernarg_segment_size: 56
    .language:       OpenCL C
    .language_version:
      - 2
      - 0
    .max_flat_workgroup_size: 256
    .name:           _ZN7rocprim17ROCPRIM_400000_NS6detail17trampoline_kernelINS0_14default_configENS1_32segmented_reduce_config_selectorIdEEZNS1_21segmented_reduce_implIS3_PKdPdPKldN6hipcub16HIPCUB_304000_NS6detail27convert_result_type_wrapperIS8_S9_N2at6native12_GLOBAL__N_110CustomProdEEEEE10hipError_tPvRmT0_T1_jT2_SQ_T4_T3_P12ihipStream_tbEUlT_E_NS1_11comp_targetILNS1_3genE9ELNS1_11target_archE1100ELNS1_3gpuE3ELNS1_3repE0EEENS1_30default_config_static_selectorELNS0_4arch9wavefront6targetE0EEEvSP_
    .private_segment_fixed_size: 0
    .sgpr_count:     36
    .sgpr_spill_count: 0
    .symbol:         _ZN7rocprim17ROCPRIM_400000_NS6detail17trampoline_kernelINS0_14default_configENS1_32segmented_reduce_config_selectorIdEEZNS1_21segmented_reduce_implIS3_PKdPdPKldN6hipcub16HIPCUB_304000_NS6detail27convert_result_type_wrapperIS8_S9_N2at6native12_GLOBAL__N_110CustomProdEEEEE10hipError_tPvRmT0_T1_jT2_SQ_T4_T3_P12ihipStream_tbEUlT_E_NS1_11comp_targetILNS1_3genE9ELNS1_11target_archE1100ELNS1_3gpuE3ELNS1_3repE0EEENS1_30default_config_static_selectorELNS0_4arch9wavefront6targetE0EEEvSP_.kd
    .uniform_work_group_size: 1
    .uses_dynamic_stack: false
    .vgpr_count:     40
    .vgpr_spill_count: 0
    .wavefront_size: 32
    .workgroup_processor_mode: 1
  - .args:
      - .offset:         0
        .size:           56
        .value_kind:     by_value
    .group_segment_fixed_size: 0
    .kernarg_segment_align: 8
    .kernarg_segment_size: 56
    .language:       OpenCL C
    .language_version:
      - 2
      - 0
    .max_flat_workgroup_size: 256
    .name:           _ZN7rocprim17ROCPRIM_400000_NS6detail17trampoline_kernelINS0_14default_configENS1_32segmented_reduce_config_selectorIdEEZNS1_21segmented_reduce_implIS3_PKdPdPKldN6hipcub16HIPCUB_304000_NS6detail27convert_result_type_wrapperIS8_S9_N2at6native12_GLOBAL__N_110CustomProdEEEEE10hipError_tPvRmT0_T1_jT2_SQ_T4_T3_P12ihipStream_tbEUlT_E_NS1_11comp_targetILNS1_3genE8ELNS1_11target_archE1030ELNS1_3gpuE2ELNS1_3repE0EEENS1_30default_config_static_selectorELNS0_4arch9wavefront6targetE0EEEvSP_
    .private_segment_fixed_size: 0
    .sgpr_count:     0
    .sgpr_spill_count: 0
    .symbol:         _ZN7rocprim17ROCPRIM_400000_NS6detail17trampoline_kernelINS0_14default_configENS1_32segmented_reduce_config_selectorIdEEZNS1_21segmented_reduce_implIS3_PKdPdPKldN6hipcub16HIPCUB_304000_NS6detail27convert_result_type_wrapperIS8_S9_N2at6native12_GLOBAL__N_110CustomProdEEEEE10hipError_tPvRmT0_T1_jT2_SQ_T4_T3_P12ihipStream_tbEUlT_E_NS1_11comp_targetILNS1_3genE8ELNS1_11target_archE1030ELNS1_3gpuE2ELNS1_3repE0EEENS1_30default_config_static_selectorELNS0_4arch9wavefront6targetE0EEEvSP_.kd
    .uniform_work_group_size: 1
    .uses_dynamic_stack: false
    .vgpr_count:     0
    .vgpr_spill_count: 0
    .wavefront_size: 32
    .workgroup_processor_mode: 1
  - .args:
      - .offset:         0
        .size:           4
        .value_kind:     by_value
      - .address_space:  global
        .offset:         8
        .size:           8
        .value_kind:     global_buffer
      - .address_space:  global
        .offset:         16
        .size:           8
        .value_kind:     global_buffer
      - .address_space:  global
        .offset:         24
        .size:           8
        .value_kind:     global_buffer
      - .address_space:  global
        .offset:         32
        .size:           8
        .value_kind:     global_buffer
      - .offset:         40
        .size:           8
        .value_kind:     by_value
      - .offset:         48
        .size:           8
        .value_kind:     by_value
      - .offset:         56
        .size:           1
        .value_kind:     by_value
      - .offset:         60
        .size:           4
        .value_kind:     by_value
      - .offset:         64
        .size:           8
        .value_kind:     by_value
      - .offset:         72
        .size:           8
        .value_kind:     by_value
      - .offset:         80
        .size:           8
        .value_kind:     by_value
      - .offset:         88
        .size:           8
        .value_kind:     by_value
      - .offset:         96
        .size:           8
        .value_kind:     by_value
      - .offset:         104
        .size:           8
        .value_kind:     by_value
      - .offset:         112
        .size:           8
        .value_kind:     by_value
      - .offset:         120
        .size:           4
        .value_kind:     hidden_block_count_x
      - .offset:         124
        .size:           4
        .value_kind:     hidden_block_count_y
      - .offset:         128
        .size:           4
        .value_kind:     hidden_block_count_z
      - .offset:         132
        .size:           2
        .value_kind:     hidden_group_size_x
      - .offset:         134
        .size:           2
        .value_kind:     hidden_group_size_y
      - .offset:         136
        .size:           2
        .value_kind:     hidden_group_size_z
      - .offset:         138
        .size:           2
        .value_kind:     hidden_remainder_x
      - .offset:         140
        .size:           2
        .value_kind:     hidden_remainder_y
      - .offset:         142
        .size:           2
        .value_kind:     hidden_remainder_z
      - .offset:         160
        .size:           8
        .value_kind:     hidden_global_offset_x
      - .offset:         168
        .size:           8
        .value_kind:     hidden_global_offset_y
      - .offset:         176
        .size:           8
        .value_kind:     hidden_global_offset_z
      - .offset:         184
        .size:           2
        .value_kind:     hidden_grid_dims
    .group_segment_fixed_size: 0
    .kernarg_segment_align: 8
    .kernarg_segment_size: 376
    .language:       OpenCL C
    .language_version:
      - 2
      - 0
    .max_flat_workgroup_size: 1024
    .name:           _ZN2at6native12_GLOBAL__N_129segment_reduce_forward_kernelIflEEvNS0_13ReductionTypeEPT_PKS4_PKT0_SA_llbS4_lllllll
    .private_segment_fixed_size: 0
    .sgpr_count:     34
    .sgpr_spill_count: 0
    .symbol:         _ZN2at6native12_GLOBAL__N_129segment_reduce_forward_kernelIflEEvNS0_13ReductionTypeEPT_PKS4_PKT0_SA_llbS4_lllllll.kd
    .uniform_work_group_size: 1
    .uses_dynamic_stack: false
    .vgpr_count:     23
    .vgpr_spill_count: 0
    .wavefront_size: 32
    .workgroup_processor_mode: 1
  - .args:
      - .offset:         0
        .size:           48
        .value_kind:     by_value
    .group_segment_fixed_size: 0
    .kernarg_segment_align: 8
    .kernarg_segment_size: 48
    .language:       OpenCL C
    .language_version:
      - 2
      - 0
    .max_flat_workgroup_size: 256
    .name:           _ZN7rocprim17ROCPRIM_400000_NS6detail17trampoline_kernelINS0_14default_configENS1_32segmented_reduce_config_selectorIfEEZNS1_21segmented_reduce_implIS3_PKfPfPKlfN6hipcub16HIPCUB_304000_NS6detail27convert_result_type_wrapperIS8_S9_N2at6native12_GLOBAL__N_19CustomMaxEEEEE10hipError_tPvRmT0_T1_jT2_SQ_T4_T3_P12ihipStream_tbEUlT_E_NS1_11comp_targetILNS1_3genE0ELNS1_11target_archE4294967295ELNS1_3gpuE0ELNS1_3repE0EEENS1_30default_config_static_selectorELNS0_4arch9wavefront6targetE0EEEvSP_
    .private_segment_fixed_size: 0
    .sgpr_count:     0
    .sgpr_spill_count: 0
    .symbol:         _ZN7rocprim17ROCPRIM_400000_NS6detail17trampoline_kernelINS0_14default_configENS1_32segmented_reduce_config_selectorIfEEZNS1_21segmented_reduce_implIS3_PKfPfPKlfN6hipcub16HIPCUB_304000_NS6detail27convert_result_type_wrapperIS8_S9_N2at6native12_GLOBAL__N_19CustomMaxEEEEE10hipError_tPvRmT0_T1_jT2_SQ_T4_T3_P12ihipStream_tbEUlT_E_NS1_11comp_targetILNS1_3genE0ELNS1_11target_archE4294967295ELNS1_3gpuE0ELNS1_3repE0EEENS1_30default_config_static_selectorELNS0_4arch9wavefront6targetE0EEEvSP_.kd
    .uniform_work_group_size: 1
    .uses_dynamic_stack: false
    .vgpr_count:     0
    .vgpr_spill_count: 0
    .wavefront_size: 32
    .workgroup_processor_mode: 1
  - .args:
      - .offset:         0
        .size:           48
        .value_kind:     by_value
    .group_segment_fixed_size: 0
    .kernarg_segment_align: 8
    .kernarg_segment_size: 48
    .language:       OpenCL C
    .language_version:
      - 2
      - 0
    .max_flat_workgroup_size: 256
    .name:           _ZN7rocprim17ROCPRIM_400000_NS6detail17trampoline_kernelINS0_14default_configENS1_32segmented_reduce_config_selectorIfEEZNS1_21segmented_reduce_implIS3_PKfPfPKlfN6hipcub16HIPCUB_304000_NS6detail27convert_result_type_wrapperIS8_S9_N2at6native12_GLOBAL__N_19CustomMaxEEEEE10hipError_tPvRmT0_T1_jT2_SQ_T4_T3_P12ihipStream_tbEUlT_E_NS1_11comp_targetILNS1_3genE5ELNS1_11target_archE942ELNS1_3gpuE9ELNS1_3repE0EEENS1_30default_config_static_selectorELNS0_4arch9wavefront6targetE0EEEvSP_
    .private_segment_fixed_size: 0
    .sgpr_count:     0
    .sgpr_spill_count: 0
    .symbol:         _ZN7rocprim17ROCPRIM_400000_NS6detail17trampoline_kernelINS0_14default_configENS1_32segmented_reduce_config_selectorIfEEZNS1_21segmented_reduce_implIS3_PKfPfPKlfN6hipcub16HIPCUB_304000_NS6detail27convert_result_type_wrapperIS8_S9_N2at6native12_GLOBAL__N_19CustomMaxEEEEE10hipError_tPvRmT0_T1_jT2_SQ_T4_T3_P12ihipStream_tbEUlT_E_NS1_11comp_targetILNS1_3genE5ELNS1_11target_archE942ELNS1_3gpuE9ELNS1_3repE0EEENS1_30default_config_static_selectorELNS0_4arch9wavefront6targetE0EEEvSP_.kd
    .uniform_work_group_size: 1
    .uses_dynamic_stack: false
    .vgpr_count:     0
    .vgpr_spill_count: 0
    .wavefront_size: 32
    .workgroup_processor_mode: 1
  - .args:
      - .offset:         0
        .size:           48
        .value_kind:     by_value
    .group_segment_fixed_size: 0
    .kernarg_segment_align: 8
    .kernarg_segment_size: 48
    .language:       OpenCL C
    .language_version:
      - 2
      - 0
    .max_flat_workgroup_size: 256
    .name:           _ZN7rocprim17ROCPRIM_400000_NS6detail17trampoline_kernelINS0_14default_configENS1_32segmented_reduce_config_selectorIfEEZNS1_21segmented_reduce_implIS3_PKfPfPKlfN6hipcub16HIPCUB_304000_NS6detail27convert_result_type_wrapperIS8_S9_N2at6native12_GLOBAL__N_19CustomMaxEEEEE10hipError_tPvRmT0_T1_jT2_SQ_T4_T3_P12ihipStream_tbEUlT_E_NS1_11comp_targetILNS1_3genE10ELNS1_11target_archE1201ELNS1_3gpuE5ELNS1_3repE0EEENS1_30default_config_static_selectorELNS0_4arch9wavefront6targetE0EEEvSP_
    .private_segment_fixed_size: 0
    .sgpr_count:     0
    .sgpr_spill_count: 0
    .symbol:         _ZN7rocprim17ROCPRIM_400000_NS6detail17trampoline_kernelINS0_14default_configENS1_32segmented_reduce_config_selectorIfEEZNS1_21segmented_reduce_implIS3_PKfPfPKlfN6hipcub16HIPCUB_304000_NS6detail27convert_result_type_wrapperIS8_S9_N2at6native12_GLOBAL__N_19CustomMaxEEEEE10hipError_tPvRmT0_T1_jT2_SQ_T4_T3_P12ihipStream_tbEUlT_E_NS1_11comp_targetILNS1_3genE10ELNS1_11target_archE1201ELNS1_3gpuE5ELNS1_3repE0EEENS1_30default_config_static_selectorELNS0_4arch9wavefront6targetE0EEEvSP_.kd
    .uniform_work_group_size: 1
    .uses_dynamic_stack: false
    .vgpr_count:     0
    .vgpr_spill_count: 0
    .wavefront_size: 32
    .workgroup_processor_mode: 1
  - .args:
      - .offset:         0
        .size:           48
        .value_kind:     by_value
    .group_segment_fixed_size: 0
    .kernarg_segment_align: 8
    .kernarg_segment_size: 48
    .language:       OpenCL C
    .language_version:
      - 2
      - 0
    .max_flat_workgroup_size: 256
    .name:           _ZN7rocprim17ROCPRIM_400000_NS6detail17trampoline_kernelINS0_14default_configENS1_32segmented_reduce_config_selectorIfEEZNS1_21segmented_reduce_implIS3_PKfPfPKlfN6hipcub16HIPCUB_304000_NS6detail27convert_result_type_wrapperIS8_S9_N2at6native12_GLOBAL__N_19CustomMaxEEEEE10hipError_tPvRmT0_T1_jT2_SQ_T4_T3_P12ihipStream_tbEUlT_E_NS1_11comp_targetILNS1_3genE4ELNS1_11target_archE910ELNS1_3gpuE8ELNS1_3repE0EEENS1_30default_config_static_selectorELNS0_4arch9wavefront6targetE0EEEvSP_
    .private_segment_fixed_size: 0
    .sgpr_count:     0
    .sgpr_spill_count: 0
    .symbol:         _ZN7rocprim17ROCPRIM_400000_NS6detail17trampoline_kernelINS0_14default_configENS1_32segmented_reduce_config_selectorIfEEZNS1_21segmented_reduce_implIS3_PKfPfPKlfN6hipcub16HIPCUB_304000_NS6detail27convert_result_type_wrapperIS8_S9_N2at6native12_GLOBAL__N_19CustomMaxEEEEE10hipError_tPvRmT0_T1_jT2_SQ_T4_T3_P12ihipStream_tbEUlT_E_NS1_11comp_targetILNS1_3genE4ELNS1_11target_archE910ELNS1_3gpuE8ELNS1_3repE0EEENS1_30default_config_static_selectorELNS0_4arch9wavefront6targetE0EEEvSP_.kd
    .uniform_work_group_size: 1
    .uses_dynamic_stack: false
    .vgpr_count:     0
    .vgpr_spill_count: 0
    .wavefront_size: 32
    .workgroup_processor_mode: 1
  - .args:
      - .offset:         0
        .size:           48
        .value_kind:     by_value
    .group_segment_fixed_size: 0
    .kernarg_segment_align: 8
    .kernarg_segment_size: 48
    .language:       OpenCL C
    .language_version:
      - 2
      - 0
    .max_flat_workgroup_size: 256
    .name:           _ZN7rocprim17ROCPRIM_400000_NS6detail17trampoline_kernelINS0_14default_configENS1_32segmented_reduce_config_selectorIfEEZNS1_21segmented_reduce_implIS3_PKfPfPKlfN6hipcub16HIPCUB_304000_NS6detail27convert_result_type_wrapperIS8_S9_N2at6native12_GLOBAL__N_19CustomMaxEEEEE10hipError_tPvRmT0_T1_jT2_SQ_T4_T3_P12ihipStream_tbEUlT_E_NS1_11comp_targetILNS1_3genE3ELNS1_11target_archE908ELNS1_3gpuE7ELNS1_3repE0EEENS1_30default_config_static_selectorELNS0_4arch9wavefront6targetE0EEEvSP_
    .private_segment_fixed_size: 0
    .sgpr_count:     0
    .sgpr_spill_count: 0
    .symbol:         _ZN7rocprim17ROCPRIM_400000_NS6detail17trampoline_kernelINS0_14default_configENS1_32segmented_reduce_config_selectorIfEEZNS1_21segmented_reduce_implIS3_PKfPfPKlfN6hipcub16HIPCUB_304000_NS6detail27convert_result_type_wrapperIS8_S9_N2at6native12_GLOBAL__N_19CustomMaxEEEEE10hipError_tPvRmT0_T1_jT2_SQ_T4_T3_P12ihipStream_tbEUlT_E_NS1_11comp_targetILNS1_3genE3ELNS1_11target_archE908ELNS1_3gpuE7ELNS1_3repE0EEENS1_30default_config_static_selectorELNS0_4arch9wavefront6targetE0EEEvSP_.kd
    .uniform_work_group_size: 1
    .uses_dynamic_stack: false
    .vgpr_count:     0
    .vgpr_spill_count: 0
    .wavefront_size: 32
    .workgroup_processor_mode: 1
  - .args:
      - .offset:         0
        .size:           48
        .value_kind:     by_value
    .group_segment_fixed_size: 0
    .kernarg_segment_align: 8
    .kernarg_segment_size: 48
    .language:       OpenCL C
    .language_version:
      - 2
      - 0
    .max_flat_workgroup_size: 256
    .name:           _ZN7rocprim17ROCPRIM_400000_NS6detail17trampoline_kernelINS0_14default_configENS1_32segmented_reduce_config_selectorIfEEZNS1_21segmented_reduce_implIS3_PKfPfPKlfN6hipcub16HIPCUB_304000_NS6detail27convert_result_type_wrapperIS8_S9_N2at6native12_GLOBAL__N_19CustomMaxEEEEE10hipError_tPvRmT0_T1_jT2_SQ_T4_T3_P12ihipStream_tbEUlT_E_NS1_11comp_targetILNS1_3genE2ELNS1_11target_archE906ELNS1_3gpuE6ELNS1_3repE0EEENS1_30default_config_static_selectorELNS0_4arch9wavefront6targetE0EEEvSP_
    .private_segment_fixed_size: 0
    .sgpr_count:     0
    .sgpr_spill_count: 0
    .symbol:         _ZN7rocprim17ROCPRIM_400000_NS6detail17trampoline_kernelINS0_14default_configENS1_32segmented_reduce_config_selectorIfEEZNS1_21segmented_reduce_implIS3_PKfPfPKlfN6hipcub16HIPCUB_304000_NS6detail27convert_result_type_wrapperIS8_S9_N2at6native12_GLOBAL__N_19CustomMaxEEEEE10hipError_tPvRmT0_T1_jT2_SQ_T4_T3_P12ihipStream_tbEUlT_E_NS1_11comp_targetILNS1_3genE2ELNS1_11target_archE906ELNS1_3gpuE6ELNS1_3repE0EEENS1_30default_config_static_selectorELNS0_4arch9wavefront6targetE0EEEvSP_.kd
    .uniform_work_group_size: 1
    .uses_dynamic_stack: false
    .vgpr_count:     0
    .vgpr_spill_count: 0
    .wavefront_size: 32
    .workgroup_processor_mode: 1
  - .args:
      - .offset:         0
        .size:           48
        .value_kind:     by_value
    .group_segment_fixed_size: 32
    .kernarg_segment_align: 8
    .kernarg_segment_size: 48
    .language:       OpenCL C
    .language_version:
      - 2
      - 0
    .max_flat_workgroup_size: 256
    .name:           _ZN7rocprim17ROCPRIM_400000_NS6detail17trampoline_kernelINS0_14default_configENS1_32segmented_reduce_config_selectorIfEEZNS1_21segmented_reduce_implIS3_PKfPfPKlfN6hipcub16HIPCUB_304000_NS6detail27convert_result_type_wrapperIS8_S9_N2at6native12_GLOBAL__N_19CustomMaxEEEEE10hipError_tPvRmT0_T1_jT2_SQ_T4_T3_P12ihipStream_tbEUlT_E_NS1_11comp_targetILNS1_3genE9ELNS1_11target_archE1100ELNS1_3gpuE3ELNS1_3repE0EEENS1_30default_config_static_selectorELNS0_4arch9wavefront6targetE0EEEvSP_
    .private_segment_fixed_size: 0
    .sgpr_count:     23
    .sgpr_spill_count: 0
    .symbol:         _ZN7rocprim17ROCPRIM_400000_NS6detail17trampoline_kernelINS0_14default_configENS1_32segmented_reduce_config_selectorIfEEZNS1_21segmented_reduce_implIS3_PKfPfPKlfN6hipcub16HIPCUB_304000_NS6detail27convert_result_type_wrapperIS8_S9_N2at6native12_GLOBAL__N_19CustomMaxEEEEE10hipError_tPvRmT0_T1_jT2_SQ_T4_T3_P12ihipStream_tbEUlT_E_NS1_11comp_targetILNS1_3genE9ELNS1_11target_archE1100ELNS1_3gpuE3ELNS1_3repE0EEENS1_30default_config_static_selectorELNS0_4arch9wavefront6targetE0EEEvSP_.kd
    .uniform_work_group_size: 1
    .uses_dynamic_stack: false
    .vgpr_count:     33
    .vgpr_spill_count: 0
    .wavefront_size: 32
    .workgroup_processor_mode: 1
  - .args:
      - .offset:         0
        .size:           48
        .value_kind:     by_value
    .group_segment_fixed_size: 0
    .kernarg_segment_align: 8
    .kernarg_segment_size: 48
    .language:       OpenCL C
    .language_version:
      - 2
      - 0
    .max_flat_workgroup_size: 256
    .name:           _ZN7rocprim17ROCPRIM_400000_NS6detail17trampoline_kernelINS0_14default_configENS1_32segmented_reduce_config_selectorIfEEZNS1_21segmented_reduce_implIS3_PKfPfPKlfN6hipcub16HIPCUB_304000_NS6detail27convert_result_type_wrapperIS8_S9_N2at6native12_GLOBAL__N_19CustomMaxEEEEE10hipError_tPvRmT0_T1_jT2_SQ_T4_T3_P12ihipStream_tbEUlT_E_NS1_11comp_targetILNS1_3genE8ELNS1_11target_archE1030ELNS1_3gpuE2ELNS1_3repE0EEENS1_30default_config_static_selectorELNS0_4arch9wavefront6targetE0EEEvSP_
    .private_segment_fixed_size: 0
    .sgpr_count:     0
    .sgpr_spill_count: 0
    .symbol:         _ZN7rocprim17ROCPRIM_400000_NS6detail17trampoline_kernelINS0_14default_configENS1_32segmented_reduce_config_selectorIfEEZNS1_21segmented_reduce_implIS3_PKfPfPKlfN6hipcub16HIPCUB_304000_NS6detail27convert_result_type_wrapperIS8_S9_N2at6native12_GLOBAL__N_19CustomMaxEEEEE10hipError_tPvRmT0_T1_jT2_SQ_T4_T3_P12ihipStream_tbEUlT_E_NS1_11comp_targetILNS1_3genE8ELNS1_11target_archE1030ELNS1_3gpuE2ELNS1_3repE0EEENS1_30default_config_static_selectorELNS0_4arch9wavefront6targetE0EEEvSP_.kd
    .uniform_work_group_size: 1
    .uses_dynamic_stack: false
    .vgpr_count:     0
    .vgpr_spill_count: 0
    .wavefront_size: 32
    .workgroup_processor_mode: 1
  - .args:
      - .offset:         0
        .size:           48
        .value_kind:     by_value
    .group_segment_fixed_size: 0
    .kernarg_segment_align: 8
    .kernarg_segment_size: 48
    .language:       OpenCL C
    .language_version:
      - 2
      - 0
    .max_flat_workgroup_size: 256
    .name:           _ZN7rocprim17ROCPRIM_400000_NS6detail17trampoline_kernelINS0_14default_configENS1_32segmented_reduce_config_selectorIfEEZNS1_21segmented_reduce_implIS3_PKfPfPKlfN6hipcub16HIPCUB_304000_NS6detail27convert_result_type_wrapperIS8_S9_N2at6native12_GLOBAL__N_19CustomSumEEEEE10hipError_tPvRmT0_T1_jT2_SQ_T4_T3_P12ihipStream_tbEUlT_E_NS1_11comp_targetILNS1_3genE0ELNS1_11target_archE4294967295ELNS1_3gpuE0ELNS1_3repE0EEENS1_30default_config_static_selectorELNS0_4arch9wavefront6targetE0EEEvSP_
    .private_segment_fixed_size: 0
    .sgpr_count:     0
    .sgpr_spill_count: 0
    .symbol:         _ZN7rocprim17ROCPRIM_400000_NS6detail17trampoline_kernelINS0_14default_configENS1_32segmented_reduce_config_selectorIfEEZNS1_21segmented_reduce_implIS3_PKfPfPKlfN6hipcub16HIPCUB_304000_NS6detail27convert_result_type_wrapperIS8_S9_N2at6native12_GLOBAL__N_19CustomSumEEEEE10hipError_tPvRmT0_T1_jT2_SQ_T4_T3_P12ihipStream_tbEUlT_E_NS1_11comp_targetILNS1_3genE0ELNS1_11target_archE4294967295ELNS1_3gpuE0ELNS1_3repE0EEENS1_30default_config_static_selectorELNS0_4arch9wavefront6targetE0EEEvSP_.kd
    .uniform_work_group_size: 1
    .uses_dynamic_stack: false
    .vgpr_count:     0
    .vgpr_spill_count: 0
    .wavefront_size: 32
    .workgroup_processor_mode: 1
  - .args:
      - .offset:         0
        .size:           48
        .value_kind:     by_value
    .group_segment_fixed_size: 0
    .kernarg_segment_align: 8
    .kernarg_segment_size: 48
    .language:       OpenCL C
    .language_version:
      - 2
      - 0
    .max_flat_workgroup_size: 256
    .name:           _ZN7rocprim17ROCPRIM_400000_NS6detail17trampoline_kernelINS0_14default_configENS1_32segmented_reduce_config_selectorIfEEZNS1_21segmented_reduce_implIS3_PKfPfPKlfN6hipcub16HIPCUB_304000_NS6detail27convert_result_type_wrapperIS8_S9_N2at6native12_GLOBAL__N_19CustomSumEEEEE10hipError_tPvRmT0_T1_jT2_SQ_T4_T3_P12ihipStream_tbEUlT_E_NS1_11comp_targetILNS1_3genE5ELNS1_11target_archE942ELNS1_3gpuE9ELNS1_3repE0EEENS1_30default_config_static_selectorELNS0_4arch9wavefront6targetE0EEEvSP_
    .private_segment_fixed_size: 0
    .sgpr_count:     0
    .sgpr_spill_count: 0
    .symbol:         _ZN7rocprim17ROCPRIM_400000_NS6detail17trampoline_kernelINS0_14default_configENS1_32segmented_reduce_config_selectorIfEEZNS1_21segmented_reduce_implIS3_PKfPfPKlfN6hipcub16HIPCUB_304000_NS6detail27convert_result_type_wrapperIS8_S9_N2at6native12_GLOBAL__N_19CustomSumEEEEE10hipError_tPvRmT0_T1_jT2_SQ_T4_T3_P12ihipStream_tbEUlT_E_NS1_11comp_targetILNS1_3genE5ELNS1_11target_archE942ELNS1_3gpuE9ELNS1_3repE0EEENS1_30default_config_static_selectorELNS0_4arch9wavefront6targetE0EEEvSP_.kd
    .uniform_work_group_size: 1
    .uses_dynamic_stack: false
    .vgpr_count:     0
    .vgpr_spill_count: 0
    .wavefront_size: 32
    .workgroup_processor_mode: 1
  - .args:
      - .offset:         0
        .size:           48
        .value_kind:     by_value
    .group_segment_fixed_size: 0
    .kernarg_segment_align: 8
    .kernarg_segment_size: 48
    .language:       OpenCL C
    .language_version:
      - 2
      - 0
    .max_flat_workgroup_size: 256
    .name:           _ZN7rocprim17ROCPRIM_400000_NS6detail17trampoline_kernelINS0_14default_configENS1_32segmented_reduce_config_selectorIfEEZNS1_21segmented_reduce_implIS3_PKfPfPKlfN6hipcub16HIPCUB_304000_NS6detail27convert_result_type_wrapperIS8_S9_N2at6native12_GLOBAL__N_19CustomSumEEEEE10hipError_tPvRmT0_T1_jT2_SQ_T4_T3_P12ihipStream_tbEUlT_E_NS1_11comp_targetILNS1_3genE10ELNS1_11target_archE1201ELNS1_3gpuE5ELNS1_3repE0EEENS1_30default_config_static_selectorELNS0_4arch9wavefront6targetE0EEEvSP_
    .private_segment_fixed_size: 0
    .sgpr_count:     0
    .sgpr_spill_count: 0
    .symbol:         _ZN7rocprim17ROCPRIM_400000_NS6detail17trampoline_kernelINS0_14default_configENS1_32segmented_reduce_config_selectorIfEEZNS1_21segmented_reduce_implIS3_PKfPfPKlfN6hipcub16HIPCUB_304000_NS6detail27convert_result_type_wrapperIS8_S9_N2at6native12_GLOBAL__N_19CustomSumEEEEE10hipError_tPvRmT0_T1_jT2_SQ_T4_T3_P12ihipStream_tbEUlT_E_NS1_11comp_targetILNS1_3genE10ELNS1_11target_archE1201ELNS1_3gpuE5ELNS1_3repE0EEENS1_30default_config_static_selectorELNS0_4arch9wavefront6targetE0EEEvSP_.kd
    .uniform_work_group_size: 1
    .uses_dynamic_stack: false
    .vgpr_count:     0
    .vgpr_spill_count: 0
    .wavefront_size: 32
    .workgroup_processor_mode: 1
  - .args:
      - .offset:         0
        .size:           48
        .value_kind:     by_value
    .group_segment_fixed_size: 0
    .kernarg_segment_align: 8
    .kernarg_segment_size: 48
    .language:       OpenCL C
    .language_version:
      - 2
      - 0
    .max_flat_workgroup_size: 256
    .name:           _ZN7rocprim17ROCPRIM_400000_NS6detail17trampoline_kernelINS0_14default_configENS1_32segmented_reduce_config_selectorIfEEZNS1_21segmented_reduce_implIS3_PKfPfPKlfN6hipcub16HIPCUB_304000_NS6detail27convert_result_type_wrapperIS8_S9_N2at6native12_GLOBAL__N_19CustomSumEEEEE10hipError_tPvRmT0_T1_jT2_SQ_T4_T3_P12ihipStream_tbEUlT_E_NS1_11comp_targetILNS1_3genE4ELNS1_11target_archE910ELNS1_3gpuE8ELNS1_3repE0EEENS1_30default_config_static_selectorELNS0_4arch9wavefront6targetE0EEEvSP_
    .private_segment_fixed_size: 0
    .sgpr_count:     0
    .sgpr_spill_count: 0
    .symbol:         _ZN7rocprim17ROCPRIM_400000_NS6detail17trampoline_kernelINS0_14default_configENS1_32segmented_reduce_config_selectorIfEEZNS1_21segmented_reduce_implIS3_PKfPfPKlfN6hipcub16HIPCUB_304000_NS6detail27convert_result_type_wrapperIS8_S9_N2at6native12_GLOBAL__N_19CustomSumEEEEE10hipError_tPvRmT0_T1_jT2_SQ_T4_T3_P12ihipStream_tbEUlT_E_NS1_11comp_targetILNS1_3genE4ELNS1_11target_archE910ELNS1_3gpuE8ELNS1_3repE0EEENS1_30default_config_static_selectorELNS0_4arch9wavefront6targetE0EEEvSP_.kd
    .uniform_work_group_size: 1
    .uses_dynamic_stack: false
    .vgpr_count:     0
    .vgpr_spill_count: 0
    .wavefront_size: 32
    .workgroup_processor_mode: 1
  - .args:
      - .offset:         0
        .size:           48
        .value_kind:     by_value
    .group_segment_fixed_size: 0
    .kernarg_segment_align: 8
    .kernarg_segment_size: 48
    .language:       OpenCL C
    .language_version:
      - 2
      - 0
    .max_flat_workgroup_size: 256
    .name:           _ZN7rocprim17ROCPRIM_400000_NS6detail17trampoline_kernelINS0_14default_configENS1_32segmented_reduce_config_selectorIfEEZNS1_21segmented_reduce_implIS3_PKfPfPKlfN6hipcub16HIPCUB_304000_NS6detail27convert_result_type_wrapperIS8_S9_N2at6native12_GLOBAL__N_19CustomSumEEEEE10hipError_tPvRmT0_T1_jT2_SQ_T4_T3_P12ihipStream_tbEUlT_E_NS1_11comp_targetILNS1_3genE3ELNS1_11target_archE908ELNS1_3gpuE7ELNS1_3repE0EEENS1_30default_config_static_selectorELNS0_4arch9wavefront6targetE0EEEvSP_
    .private_segment_fixed_size: 0
    .sgpr_count:     0
    .sgpr_spill_count: 0
    .symbol:         _ZN7rocprim17ROCPRIM_400000_NS6detail17trampoline_kernelINS0_14default_configENS1_32segmented_reduce_config_selectorIfEEZNS1_21segmented_reduce_implIS3_PKfPfPKlfN6hipcub16HIPCUB_304000_NS6detail27convert_result_type_wrapperIS8_S9_N2at6native12_GLOBAL__N_19CustomSumEEEEE10hipError_tPvRmT0_T1_jT2_SQ_T4_T3_P12ihipStream_tbEUlT_E_NS1_11comp_targetILNS1_3genE3ELNS1_11target_archE908ELNS1_3gpuE7ELNS1_3repE0EEENS1_30default_config_static_selectorELNS0_4arch9wavefront6targetE0EEEvSP_.kd
    .uniform_work_group_size: 1
    .uses_dynamic_stack: false
    .vgpr_count:     0
    .vgpr_spill_count: 0
    .wavefront_size: 32
    .workgroup_processor_mode: 1
  - .args:
      - .offset:         0
        .size:           48
        .value_kind:     by_value
    .group_segment_fixed_size: 0
    .kernarg_segment_align: 8
    .kernarg_segment_size: 48
    .language:       OpenCL C
    .language_version:
      - 2
      - 0
    .max_flat_workgroup_size: 256
    .name:           _ZN7rocprim17ROCPRIM_400000_NS6detail17trampoline_kernelINS0_14default_configENS1_32segmented_reduce_config_selectorIfEEZNS1_21segmented_reduce_implIS3_PKfPfPKlfN6hipcub16HIPCUB_304000_NS6detail27convert_result_type_wrapperIS8_S9_N2at6native12_GLOBAL__N_19CustomSumEEEEE10hipError_tPvRmT0_T1_jT2_SQ_T4_T3_P12ihipStream_tbEUlT_E_NS1_11comp_targetILNS1_3genE2ELNS1_11target_archE906ELNS1_3gpuE6ELNS1_3repE0EEENS1_30default_config_static_selectorELNS0_4arch9wavefront6targetE0EEEvSP_
    .private_segment_fixed_size: 0
    .sgpr_count:     0
    .sgpr_spill_count: 0
    .symbol:         _ZN7rocprim17ROCPRIM_400000_NS6detail17trampoline_kernelINS0_14default_configENS1_32segmented_reduce_config_selectorIfEEZNS1_21segmented_reduce_implIS3_PKfPfPKlfN6hipcub16HIPCUB_304000_NS6detail27convert_result_type_wrapperIS8_S9_N2at6native12_GLOBAL__N_19CustomSumEEEEE10hipError_tPvRmT0_T1_jT2_SQ_T4_T3_P12ihipStream_tbEUlT_E_NS1_11comp_targetILNS1_3genE2ELNS1_11target_archE906ELNS1_3gpuE6ELNS1_3repE0EEENS1_30default_config_static_selectorELNS0_4arch9wavefront6targetE0EEEvSP_.kd
    .uniform_work_group_size: 1
    .uses_dynamic_stack: false
    .vgpr_count:     0
    .vgpr_spill_count: 0
    .wavefront_size: 32
    .workgroup_processor_mode: 1
  - .args:
      - .offset:         0
        .size:           48
        .value_kind:     by_value
    .group_segment_fixed_size: 32
    .kernarg_segment_align: 8
    .kernarg_segment_size: 48
    .language:       OpenCL C
    .language_version:
      - 2
      - 0
    .max_flat_workgroup_size: 256
    .name:           _ZN7rocprim17ROCPRIM_400000_NS6detail17trampoline_kernelINS0_14default_configENS1_32segmented_reduce_config_selectorIfEEZNS1_21segmented_reduce_implIS3_PKfPfPKlfN6hipcub16HIPCUB_304000_NS6detail27convert_result_type_wrapperIS8_S9_N2at6native12_GLOBAL__N_19CustomSumEEEEE10hipError_tPvRmT0_T1_jT2_SQ_T4_T3_P12ihipStream_tbEUlT_E_NS1_11comp_targetILNS1_3genE9ELNS1_11target_archE1100ELNS1_3gpuE3ELNS1_3repE0EEENS1_30default_config_static_selectorELNS0_4arch9wavefront6targetE0EEEvSP_
    .private_segment_fixed_size: 0
    .sgpr_count:     34
    .sgpr_spill_count: 0
    .symbol:         _ZN7rocprim17ROCPRIM_400000_NS6detail17trampoline_kernelINS0_14default_configENS1_32segmented_reduce_config_selectorIfEEZNS1_21segmented_reduce_implIS3_PKfPfPKlfN6hipcub16HIPCUB_304000_NS6detail27convert_result_type_wrapperIS8_S9_N2at6native12_GLOBAL__N_19CustomSumEEEEE10hipError_tPvRmT0_T1_jT2_SQ_T4_T3_P12ihipStream_tbEUlT_E_NS1_11comp_targetILNS1_3genE9ELNS1_11target_archE1100ELNS1_3gpuE3ELNS1_3repE0EEENS1_30default_config_static_selectorELNS0_4arch9wavefront6targetE0EEEvSP_.kd
    .uniform_work_group_size: 1
    .uses_dynamic_stack: false
    .vgpr_count:     23
    .vgpr_spill_count: 0
    .wavefront_size: 32
    .workgroup_processor_mode: 1
  - .args:
      - .offset:         0
        .size:           48
        .value_kind:     by_value
    .group_segment_fixed_size: 0
    .kernarg_segment_align: 8
    .kernarg_segment_size: 48
    .language:       OpenCL C
    .language_version:
      - 2
      - 0
    .max_flat_workgroup_size: 256
    .name:           _ZN7rocprim17ROCPRIM_400000_NS6detail17trampoline_kernelINS0_14default_configENS1_32segmented_reduce_config_selectorIfEEZNS1_21segmented_reduce_implIS3_PKfPfPKlfN6hipcub16HIPCUB_304000_NS6detail27convert_result_type_wrapperIS8_S9_N2at6native12_GLOBAL__N_19CustomSumEEEEE10hipError_tPvRmT0_T1_jT2_SQ_T4_T3_P12ihipStream_tbEUlT_E_NS1_11comp_targetILNS1_3genE8ELNS1_11target_archE1030ELNS1_3gpuE2ELNS1_3repE0EEENS1_30default_config_static_selectorELNS0_4arch9wavefront6targetE0EEEvSP_
    .private_segment_fixed_size: 0
    .sgpr_count:     0
    .sgpr_spill_count: 0
    .symbol:         _ZN7rocprim17ROCPRIM_400000_NS6detail17trampoline_kernelINS0_14default_configENS1_32segmented_reduce_config_selectorIfEEZNS1_21segmented_reduce_implIS3_PKfPfPKlfN6hipcub16HIPCUB_304000_NS6detail27convert_result_type_wrapperIS8_S9_N2at6native12_GLOBAL__N_19CustomSumEEEEE10hipError_tPvRmT0_T1_jT2_SQ_T4_T3_P12ihipStream_tbEUlT_E_NS1_11comp_targetILNS1_3genE8ELNS1_11target_archE1030ELNS1_3gpuE2ELNS1_3repE0EEENS1_30default_config_static_selectorELNS0_4arch9wavefront6targetE0EEEvSP_.kd
    .uniform_work_group_size: 1
    .uses_dynamic_stack: false
    .vgpr_count:     0
    .vgpr_spill_count: 0
    .wavefront_size: 32
    .workgroup_processor_mode: 1
  - .args:
      - .address_space:  global
        .offset:         0
        .size:           8
        .value_kind:     global_buffer
      - .address_space:  global
        .offset:         8
        .size:           8
        .value_kind:     global_buffer
      - .offset:         16
        .size:           8
        .value_kind:     by_value
      - .offset:         24
        .size:           1
        .value_kind:     by_value
      - .offset:         28
        .size:           4
        .value_kind:     by_value
      - .offset:         32
        .size:           4
        .value_kind:     hidden_block_count_x
      - .offset:         36
        .size:           4
        .value_kind:     hidden_block_count_y
      - .offset:         40
        .size:           4
        .value_kind:     hidden_block_count_z
      - .offset:         44
        .size:           2
        .value_kind:     hidden_group_size_x
      - .offset:         46
        .size:           2
        .value_kind:     hidden_group_size_y
      - .offset:         48
        .size:           2
        .value_kind:     hidden_group_size_z
      - .offset:         50
        .size:           2
        .value_kind:     hidden_remainder_x
      - .offset:         52
        .size:           2
        .value_kind:     hidden_remainder_y
      - .offset:         54
        .size:           2
        .value_kind:     hidden_remainder_z
      - .offset:         72
        .size:           8
        .value_kind:     hidden_global_offset_x
      - .offset:         80
        .size:           8
        .value_kind:     hidden_global_offset_y
      - .offset:         88
        .size:           8
        .value_kind:     hidden_global_offset_z
      - .offset:         96
        .size:           2
        .value_kind:     hidden_grid_dims
    .group_segment_fixed_size: 0
    .kernarg_segment_align: 8
    .kernarg_segment_size: 288
    .language:       OpenCL C
    .language_version:
      - 2
      - 0
    .max_flat_workgroup_size: 1024
    .name:           _ZN2at6native12_GLOBAL__N_119post_sum_div_kernelIflEEvPT_PKT0_lbS3_
    .private_segment_fixed_size: 0
    .sgpr_count:     18
    .sgpr_spill_count: 0
    .symbol:         _ZN2at6native12_GLOBAL__N_119post_sum_div_kernelIflEEvPT_PKT0_lbS3_.kd
    .uniform_work_group_size: 1
    .uses_dynamic_stack: false
    .vgpr_count:     14
    .vgpr_spill_count: 0
    .wavefront_size: 32
    .workgroup_processor_mode: 1
  - .args:
      - .offset:         0
        .size:           48
        .value_kind:     by_value
    .group_segment_fixed_size: 0
    .kernarg_segment_align: 8
    .kernarg_segment_size: 48
    .language:       OpenCL C
    .language_version:
      - 2
      - 0
    .max_flat_workgroup_size: 256
    .name:           _ZN7rocprim17ROCPRIM_400000_NS6detail17trampoline_kernelINS0_14default_configENS1_32segmented_reduce_config_selectorIfEEZNS1_21segmented_reduce_implIS3_PKfPfPKlfN6hipcub16HIPCUB_304000_NS6detail27convert_result_type_wrapperIS8_S9_N2at6native12_GLOBAL__N_19CustomMinEEEEE10hipError_tPvRmT0_T1_jT2_SQ_T4_T3_P12ihipStream_tbEUlT_E_NS1_11comp_targetILNS1_3genE0ELNS1_11target_archE4294967295ELNS1_3gpuE0ELNS1_3repE0EEENS1_30default_config_static_selectorELNS0_4arch9wavefront6targetE0EEEvSP_
    .private_segment_fixed_size: 0
    .sgpr_count:     0
    .sgpr_spill_count: 0
    .symbol:         _ZN7rocprim17ROCPRIM_400000_NS6detail17trampoline_kernelINS0_14default_configENS1_32segmented_reduce_config_selectorIfEEZNS1_21segmented_reduce_implIS3_PKfPfPKlfN6hipcub16HIPCUB_304000_NS6detail27convert_result_type_wrapperIS8_S9_N2at6native12_GLOBAL__N_19CustomMinEEEEE10hipError_tPvRmT0_T1_jT2_SQ_T4_T3_P12ihipStream_tbEUlT_E_NS1_11comp_targetILNS1_3genE0ELNS1_11target_archE4294967295ELNS1_3gpuE0ELNS1_3repE0EEENS1_30default_config_static_selectorELNS0_4arch9wavefront6targetE0EEEvSP_.kd
    .uniform_work_group_size: 1
    .uses_dynamic_stack: false
    .vgpr_count:     0
    .vgpr_spill_count: 0
    .wavefront_size: 32
    .workgroup_processor_mode: 1
  - .args:
      - .offset:         0
        .size:           48
        .value_kind:     by_value
    .group_segment_fixed_size: 0
    .kernarg_segment_align: 8
    .kernarg_segment_size: 48
    .language:       OpenCL C
    .language_version:
      - 2
      - 0
    .max_flat_workgroup_size: 256
    .name:           _ZN7rocprim17ROCPRIM_400000_NS6detail17trampoline_kernelINS0_14default_configENS1_32segmented_reduce_config_selectorIfEEZNS1_21segmented_reduce_implIS3_PKfPfPKlfN6hipcub16HIPCUB_304000_NS6detail27convert_result_type_wrapperIS8_S9_N2at6native12_GLOBAL__N_19CustomMinEEEEE10hipError_tPvRmT0_T1_jT2_SQ_T4_T3_P12ihipStream_tbEUlT_E_NS1_11comp_targetILNS1_3genE5ELNS1_11target_archE942ELNS1_3gpuE9ELNS1_3repE0EEENS1_30default_config_static_selectorELNS0_4arch9wavefront6targetE0EEEvSP_
    .private_segment_fixed_size: 0
    .sgpr_count:     0
    .sgpr_spill_count: 0
    .symbol:         _ZN7rocprim17ROCPRIM_400000_NS6detail17trampoline_kernelINS0_14default_configENS1_32segmented_reduce_config_selectorIfEEZNS1_21segmented_reduce_implIS3_PKfPfPKlfN6hipcub16HIPCUB_304000_NS6detail27convert_result_type_wrapperIS8_S9_N2at6native12_GLOBAL__N_19CustomMinEEEEE10hipError_tPvRmT0_T1_jT2_SQ_T4_T3_P12ihipStream_tbEUlT_E_NS1_11comp_targetILNS1_3genE5ELNS1_11target_archE942ELNS1_3gpuE9ELNS1_3repE0EEENS1_30default_config_static_selectorELNS0_4arch9wavefront6targetE0EEEvSP_.kd
    .uniform_work_group_size: 1
    .uses_dynamic_stack: false
    .vgpr_count:     0
    .vgpr_spill_count: 0
    .wavefront_size: 32
    .workgroup_processor_mode: 1
  - .args:
      - .offset:         0
        .size:           48
        .value_kind:     by_value
    .group_segment_fixed_size: 0
    .kernarg_segment_align: 8
    .kernarg_segment_size: 48
    .language:       OpenCL C
    .language_version:
      - 2
      - 0
    .max_flat_workgroup_size: 256
    .name:           _ZN7rocprim17ROCPRIM_400000_NS6detail17trampoline_kernelINS0_14default_configENS1_32segmented_reduce_config_selectorIfEEZNS1_21segmented_reduce_implIS3_PKfPfPKlfN6hipcub16HIPCUB_304000_NS6detail27convert_result_type_wrapperIS8_S9_N2at6native12_GLOBAL__N_19CustomMinEEEEE10hipError_tPvRmT0_T1_jT2_SQ_T4_T3_P12ihipStream_tbEUlT_E_NS1_11comp_targetILNS1_3genE10ELNS1_11target_archE1201ELNS1_3gpuE5ELNS1_3repE0EEENS1_30default_config_static_selectorELNS0_4arch9wavefront6targetE0EEEvSP_
    .private_segment_fixed_size: 0
    .sgpr_count:     0
    .sgpr_spill_count: 0
    .symbol:         _ZN7rocprim17ROCPRIM_400000_NS6detail17trampoline_kernelINS0_14default_configENS1_32segmented_reduce_config_selectorIfEEZNS1_21segmented_reduce_implIS3_PKfPfPKlfN6hipcub16HIPCUB_304000_NS6detail27convert_result_type_wrapperIS8_S9_N2at6native12_GLOBAL__N_19CustomMinEEEEE10hipError_tPvRmT0_T1_jT2_SQ_T4_T3_P12ihipStream_tbEUlT_E_NS1_11comp_targetILNS1_3genE10ELNS1_11target_archE1201ELNS1_3gpuE5ELNS1_3repE0EEENS1_30default_config_static_selectorELNS0_4arch9wavefront6targetE0EEEvSP_.kd
    .uniform_work_group_size: 1
    .uses_dynamic_stack: false
    .vgpr_count:     0
    .vgpr_spill_count: 0
    .wavefront_size: 32
    .workgroup_processor_mode: 1
  - .args:
      - .offset:         0
        .size:           48
        .value_kind:     by_value
    .group_segment_fixed_size: 0
    .kernarg_segment_align: 8
    .kernarg_segment_size: 48
    .language:       OpenCL C
    .language_version:
      - 2
      - 0
    .max_flat_workgroup_size: 256
    .name:           _ZN7rocprim17ROCPRIM_400000_NS6detail17trampoline_kernelINS0_14default_configENS1_32segmented_reduce_config_selectorIfEEZNS1_21segmented_reduce_implIS3_PKfPfPKlfN6hipcub16HIPCUB_304000_NS6detail27convert_result_type_wrapperIS8_S9_N2at6native12_GLOBAL__N_19CustomMinEEEEE10hipError_tPvRmT0_T1_jT2_SQ_T4_T3_P12ihipStream_tbEUlT_E_NS1_11comp_targetILNS1_3genE4ELNS1_11target_archE910ELNS1_3gpuE8ELNS1_3repE0EEENS1_30default_config_static_selectorELNS0_4arch9wavefront6targetE0EEEvSP_
    .private_segment_fixed_size: 0
    .sgpr_count:     0
    .sgpr_spill_count: 0
    .symbol:         _ZN7rocprim17ROCPRIM_400000_NS6detail17trampoline_kernelINS0_14default_configENS1_32segmented_reduce_config_selectorIfEEZNS1_21segmented_reduce_implIS3_PKfPfPKlfN6hipcub16HIPCUB_304000_NS6detail27convert_result_type_wrapperIS8_S9_N2at6native12_GLOBAL__N_19CustomMinEEEEE10hipError_tPvRmT0_T1_jT2_SQ_T4_T3_P12ihipStream_tbEUlT_E_NS1_11comp_targetILNS1_3genE4ELNS1_11target_archE910ELNS1_3gpuE8ELNS1_3repE0EEENS1_30default_config_static_selectorELNS0_4arch9wavefront6targetE0EEEvSP_.kd
    .uniform_work_group_size: 1
    .uses_dynamic_stack: false
    .vgpr_count:     0
    .vgpr_spill_count: 0
    .wavefront_size: 32
    .workgroup_processor_mode: 1
  - .args:
      - .offset:         0
        .size:           48
        .value_kind:     by_value
    .group_segment_fixed_size: 0
    .kernarg_segment_align: 8
    .kernarg_segment_size: 48
    .language:       OpenCL C
    .language_version:
      - 2
      - 0
    .max_flat_workgroup_size: 256
    .name:           _ZN7rocprim17ROCPRIM_400000_NS6detail17trampoline_kernelINS0_14default_configENS1_32segmented_reduce_config_selectorIfEEZNS1_21segmented_reduce_implIS3_PKfPfPKlfN6hipcub16HIPCUB_304000_NS6detail27convert_result_type_wrapperIS8_S9_N2at6native12_GLOBAL__N_19CustomMinEEEEE10hipError_tPvRmT0_T1_jT2_SQ_T4_T3_P12ihipStream_tbEUlT_E_NS1_11comp_targetILNS1_3genE3ELNS1_11target_archE908ELNS1_3gpuE7ELNS1_3repE0EEENS1_30default_config_static_selectorELNS0_4arch9wavefront6targetE0EEEvSP_
    .private_segment_fixed_size: 0
    .sgpr_count:     0
    .sgpr_spill_count: 0
    .symbol:         _ZN7rocprim17ROCPRIM_400000_NS6detail17trampoline_kernelINS0_14default_configENS1_32segmented_reduce_config_selectorIfEEZNS1_21segmented_reduce_implIS3_PKfPfPKlfN6hipcub16HIPCUB_304000_NS6detail27convert_result_type_wrapperIS8_S9_N2at6native12_GLOBAL__N_19CustomMinEEEEE10hipError_tPvRmT0_T1_jT2_SQ_T4_T3_P12ihipStream_tbEUlT_E_NS1_11comp_targetILNS1_3genE3ELNS1_11target_archE908ELNS1_3gpuE7ELNS1_3repE0EEENS1_30default_config_static_selectorELNS0_4arch9wavefront6targetE0EEEvSP_.kd
    .uniform_work_group_size: 1
    .uses_dynamic_stack: false
    .vgpr_count:     0
    .vgpr_spill_count: 0
    .wavefront_size: 32
    .workgroup_processor_mode: 1
  - .args:
      - .offset:         0
        .size:           48
        .value_kind:     by_value
    .group_segment_fixed_size: 0
    .kernarg_segment_align: 8
    .kernarg_segment_size: 48
    .language:       OpenCL C
    .language_version:
      - 2
      - 0
    .max_flat_workgroup_size: 256
    .name:           _ZN7rocprim17ROCPRIM_400000_NS6detail17trampoline_kernelINS0_14default_configENS1_32segmented_reduce_config_selectorIfEEZNS1_21segmented_reduce_implIS3_PKfPfPKlfN6hipcub16HIPCUB_304000_NS6detail27convert_result_type_wrapperIS8_S9_N2at6native12_GLOBAL__N_19CustomMinEEEEE10hipError_tPvRmT0_T1_jT2_SQ_T4_T3_P12ihipStream_tbEUlT_E_NS1_11comp_targetILNS1_3genE2ELNS1_11target_archE906ELNS1_3gpuE6ELNS1_3repE0EEENS1_30default_config_static_selectorELNS0_4arch9wavefront6targetE0EEEvSP_
    .private_segment_fixed_size: 0
    .sgpr_count:     0
    .sgpr_spill_count: 0
    .symbol:         _ZN7rocprim17ROCPRIM_400000_NS6detail17trampoline_kernelINS0_14default_configENS1_32segmented_reduce_config_selectorIfEEZNS1_21segmented_reduce_implIS3_PKfPfPKlfN6hipcub16HIPCUB_304000_NS6detail27convert_result_type_wrapperIS8_S9_N2at6native12_GLOBAL__N_19CustomMinEEEEE10hipError_tPvRmT0_T1_jT2_SQ_T4_T3_P12ihipStream_tbEUlT_E_NS1_11comp_targetILNS1_3genE2ELNS1_11target_archE906ELNS1_3gpuE6ELNS1_3repE0EEENS1_30default_config_static_selectorELNS0_4arch9wavefront6targetE0EEEvSP_.kd
    .uniform_work_group_size: 1
    .uses_dynamic_stack: false
    .vgpr_count:     0
    .vgpr_spill_count: 0
    .wavefront_size: 32
    .workgroup_processor_mode: 1
  - .args:
      - .offset:         0
        .size:           48
        .value_kind:     by_value
    .group_segment_fixed_size: 32
    .kernarg_segment_align: 8
    .kernarg_segment_size: 48
    .language:       OpenCL C
    .language_version:
      - 2
      - 0
    .max_flat_workgroup_size: 256
    .name:           _ZN7rocprim17ROCPRIM_400000_NS6detail17trampoline_kernelINS0_14default_configENS1_32segmented_reduce_config_selectorIfEEZNS1_21segmented_reduce_implIS3_PKfPfPKlfN6hipcub16HIPCUB_304000_NS6detail27convert_result_type_wrapperIS8_S9_N2at6native12_GLOBAL__N_19CustomMinEEEEE10hipError_tPvRmT0_T1_jT2_SQ_T4_T3_P12ihipStream_tbEUlT_E_NS1_11comp_targetILNS1_3genE9ELNS1_11target_archE1100ELNS1_3gpuE3ELNS1_3repE0EEENS1_30default_config_static_selectorELNS0_4arch9wavefront6targetE0EEEvSP_
    .private_segment_fixed_size: 0
    .sgpr_count:     23
    .sgpr_spill_count: 0
    .symbol:         _ZN7rocprim17ROCPRIM_400000_NS6detail17trampoline_kernelINS0_14default_configENS1_32segmented_reduce_config_selectorIfEEZNS1_21segmented_reduce_implIS3_PKfPfPKlfN6hipcub16HIPCUB_304000_NS6detail27convert_result_type_wrapperIS8_S9_N2at6native12_GLOBAL__N_19CustomMinEEEEE10hipError_tPvRmT0_T1_jT2_SQ_T4_T3_P12ihipStream_tbEUlT_E_NS1_11comp_targetILNS1_3genE9ELNS1_11target_archE1100ELNS1_3gpuE3ELNS1_3repE0EEENS1_30default_config_static_selectorELNS0_4arch9wavefront6targetE0EEEvSP_.kd
    .uniform_work_group_size: 1
    .uses_dynamic_stack: false
    .vgpr_count:     33
    .vgpr_spill_count: 0
    .wavefront_size: 32
    .workgroup_processor_mode: 1
  - .args:
      - .offset:         0
        .size:           48
        .value_kind:     by_value
    .group_segment_fixed_size: 0
    .kernarg_segment_align: 8
    .kernarg_segment_size: 48
    .language:       OpenCL C
    .language_version:
      - 2
      - 0
    .max_flat_workgroup_size: 256
    .name:           _ZN7rocprim17ROCPRIM_400000_NS6detail17trampoline_kernelINS0_14default_configENS1_32segmented_reduce_config_selectorIfEEZNS1_21segmented_reduce_implIS3_PKfPfPKlfN6hipcub16HIPCUB_304000_NS6detail27convert_result_type_wrapperIS8_S9_N2at6native12_GLOBAL__N_19CustomMinEEEEE10hipError_tPvRmT0_T1_jT2_SQ_T4_T3_P12ihipStream_tbEUlT_E_NS1_11comp_targetILNS1_3genE8ELNS1_11target_archE1030ELNS1_3gpuE2ELNS1_3repE0EEENS1_30default_config_static_selectorELNS0_4arch9wavefront6targetE0EEEvSP_
    .private_segment_fixed_size: 0
    .sgpr_count:     0
    .sgpr_spill_count: 0
    .symbol:         _ZN7rocprim17ROCPRIM_400000_NS6detail17trampoline_kernelINS0_14default_configENS1_32segmented_reduce_config_selectorIfEEZNS1_21segmented_reduce_implIS3_PKfPfPKlfN6hipcub16HIPCUB_304000_NS6detail27convert_result_type_wrapperIS8_S9_N2at6native12_GLOBAL__N_19CustomMinEEEEE10hipError_tPvRmT0_T1_jT2_SQ_T4_T3_P12ihipStream_tbEUlT_E_NS1_11comp_targetILNS1_3genE8ELNS1_11target_archE1030ELNS1_3gpuE2ELNS1_3repE0EEENS1_30default_config_static_selectorELNS0_4arch9wavefront6targetE0EEEvSP_.kd
    .uniform_work_group_size: 1
    .uses_dynamic_stack: false
    .vgpr_count:     0
    .vgpr_spill_count: 0
    .wavefront_size: 32
    .workgroup_processor_mode: 1
  - .args:
      - .offset:         0
        .size:           48
        .value_kind:     by_value
    .group_segment_fixed_size: 0
    .kernarg_segment_align: 8
    .kernarg_segment_size: 48
    .language:       OpenCL C
    .language_version:
      - 2
      - 0
    .max_flat_workgroup_size: 256
    .name:           _ZN7rocprim17ROCPRIM_400000_NS6detail17trampoline_kernelINS0_14default_configENS1_32segmented_reduce_config_selectorIfEEZNS1_21segmented_reduce_implIS3_PKfPfPKlfN6hipcub16HIPCUB_304000_NS6detail27convert_result_type_wrapperIS8_S9_N2at6native12_GLOBAL__N_110CustomProdEEEEE10hipError_tPvRmT0_T1_jT2_SQ_T4_T3_P12ihipStream_tbEUlT_E_NS1_11comp_targetILNS1_3genE0ELNS1_11target_archE4294967295ELNS1_3gpuE0ELNS1_3repE0EEENS1_30default_config_static_selectorELNS0_4arch9wavefront6targetE0EEEvSP_
    .private_segment_fixed_size: 0
    .sgpr_count:     0
    .sgpr_spill_count: 0
    .symbol:         _ZN7rocprim17ROCPRIM_400000_NS6detail17trampoline_kernelINS0_14default_configENS1_32segmented_reduce_config_selectorIfEEZNS1_21segmented_reduce_implIS3_PKfPfPKlfN6hipcub16HIPCUB_304000_NS6detail27convert_result_type_wrapperIS8_S9_N2at6native12_GLOBAL__N_110CustomProdEEEEE10hipError_tPvRmT0_T1_jT2_SQ_T4_T3_P12ihipStream_tbEUlT_E_NS1_11comp_targetILNS1_3genE0ELNS1_11target_archE4294967295ELNS1_3gpuE0ELNS1_3repE0EEENS1_30default_config_static_selectorELNS0_4arch9wavefront6targetE0EEEvSP_.kd
    .uniform_work_group_size: 1
    .uses_dynamic_stack: false
    .vgpr_count:     0
    .vgpr_spill_count: 0
    .wavefront_size: 32
    .workgroup_processor_mode: 1
  - .args:
      - .offset:         0
        .size:           48
        .value_kind:     by_value
    .group_segment_fixed_size: 0
    .kernarg_segment_align: 8
    .kernarg_segment_size: 48
    .language:       OpenCL C
    .language_version:
      - 2
      - 0
    .max_flat_workgroup_size: 256
    .name:           _ZN7rocprim17ROCPRIM_400000_NS6detail17trampoline_kernelINS0_14default_configENS1_32segmented_reduce_config_selectorIfEEZNS1_21segmented_reduce_implIS3_PKfPfPKlfN6hipcub16HIPCUB_304000_NS6detail27convert_result_type_wrapperIS8_S9_N2at6native12_GLOBAL__N_110CustomProdEEEEE10hipError_tPvRmT0_T1_jT2_SQ_T4_T3_P12ihipStream_tbEUlT_E_NS1_11comp_targetILNS1_3genE5ELNS1_11target_archE942ELNS1_3gpuE9ELNS1_3repE0EEENS1_30default_config_static_selectorELNS0_4arch9wavefront6targetE0EEEvSP_
    .private_segment_fixed_size: 0
    .sgpr_count:     0
    .sgpr_spill_count: 0
    .symbol:         _ZN7rocprim17ROCPRIM_400000_NS6detail17trampoline_kernelINS0_14default_configENS1_32segmented_reduce_config_selectorIfEEZNS1_21segmented_reduce_implIS3_PKfPfPKlfN6hipcub16HIPCUB_304000_NS6detail27convert_result_type_wrapperIS8_S9_N2at6native12_GLOBAL__N_110CustomProdEEEEE10hipError_tPvRmT0_T1_jT2_SQ_T4_T3_P12ihipStream_tbEUlT_E_NS1_11comp_targetILNS1_3genE5ELNS1_11target_archE942ELNS1_3gpuE9ELNS1_3repE0EEENS1_30default_config_static_selectorELNS0_4arch9wavefront6targetE0EEEvSP_.kd
    .uniform_work_group_size: 1
    .uses_dynamic_stack: false
    .vgpr_count:     0
    .vgpr_spill_count: 0
    .wavefront_size: 32
    .workgroup_processor_mode: 1
  - .args:
      - .offset:         0
        .size:           48
        .value_kind:     by_value
    .group_segment_fixed_size: 0
    .kernarg_segment_align: 8
    .kernarg_segment_size: 48
    .language:       OpenCL C
    .language_version:
      - 2
      - 0
    .max_flat_workgroup_size: 256
    .name:           _ZN7rocprim17ROCPRIM_400000_NS6detail17trampoline_kernelINS0_14default_configENS1_32segmented_reduce_config_selectorIfEEZNS1_21segmented_reduce_implIS3_PKfPfPKlfN6hipcub16HIPCUB_304000_NS6detail27convert_result_type_wrapperIS8_S9_N2at6native12_GLOBAL__N_110CustomProdEEEEE10hipError_tPvRmT0_T1_jT2_SQ_T4_T3_P12ihipStream_tbEUlT_E_NS1_11comp_targetILNS1_3genE10ELNS1_11target_archE1201ELNS1_3gpuE5ELNS1_3repE0EEENS1_30default_config_static_selectorELNS0_4arch9wavefront6targetE0EEEvSP_
    .private_segment_fixed_size: 0
    .sgpr_count:     0
    .sgpr_spill_count: 0
    .symbol:         _ZN7rocprim17ROCPRIM_400000_NS6detail17trampoline_kernelINS0_14default_configENS1_32segmented_reduce_config_selectorIfEEZNS1_21segmented_reduce_implIS3_PKfPfPKlfN6hipcub16HIPCUB_304000_NS6detail27convert_result_type_wrapperIS8_S9_N2at6native12_GLOBAL__N_110CustomProdEEEEE10hipError_tPvRmT0_T1_jT2_SQ_T4_T3_P12ihipStream_tbEUlT_E_NS1_11comp_targetILNS1_3genE10ELNS1_11target_archE1201ELNS1_3gpuE5ELNS1_3repE0EEENS1_30default_config_static_selectorELNS0_4arch9wavefront6targetE0EEEvSP_.kd
    .uniform_work_group_size: 1
    .uses_dynamic_stack: false
    .vgpr_count:     0
    .vgpr_spill_count: 0
    .wavefront_size: 32
    .workgroup_processor_mode: 1
  - .args:
      - .offset:         0
        .size:           48
        .value_kind:     by_value
    .group_segment_fixed_size: 0
    .kernarg_segment_align: 8
    .kernarg_segment_size: 48
    .language:       OpenCL C
    .language_version:
      - 2
      - 0
    .max_flat_workgroup_size: 256
    .name:           _ZN7rocprim17ROCPRIM_400000_NS6detail17trampoline_kernelINS0_14default_configENS1_32segmented_reduce_config_selectorIfEEZNS1_21segmented_reduce_implIS3_PKfPfPKlfN6hipcub16HIPCUB_304000_NS6detail27convert_result_type_wrapperIS8_S9_N2at6native12_GLOBAL__N_110CustomProdEEEEE10hipError_tPvRmT0_T1_jT2_SQ_T4_T3_P12ihipStream_tbEUlT_E_NS1_11comp_targetILNS1_3genE4ELNS1_11target_archE910ELNS1_3gpuE8ELNS1_3repE0EEENS1_30default_config_static_selectorELNS0_4arch9wavefront6targetE0EEEvSP_
    .private_segment_fixed_size: 0
    .sgpr_count:     0
    .sgpr_spill_count: 0
    .symbol:         _ZN7rocprim17ROCPRIM_400000_NS6detail17trampoline_kernelINS0_14default_configENS1_32segmented_reduce_config_selectorIfEEZNS1_21segmented_reduce_implIS3_PKfPfPKlfN6hipcub16HIPCUB_304000_NS6detail27convert_result_type_wrapperIS8_S9_N2at6native12_GLOBAL__N_110CustomProdEEEEE10hipError_tPvRmT0_T1_jT2_SQ_T4_T3_P12ihipStream_tbEUlT_E_NS1_11comp_targetILNS1_3genE4ELNS1_11target_archE910ELNS1_3gpuE8ELNS1_3repE0EEENS1_30default_config_static_selectorELNS0_4arch9wavefront6targetE0EEEvSP_.kd
    .uniform_work_group_size: 1
    .uses_dynamic_stack: false
    .vgpr_count:     0
    .vgpr_spill_count: 0
    .wavefront_size: 32
    .workgroup_processor_mode: 1
  - .args:
      - .offset:         0
        .size:           48
        .value_kind:     by_value
    .group_segment_fixed_size: 0
    .kernarg_segment_align: 8
    .kernarg_segment_size: 48
    .language:       OpenCL C
    .language_version:
      - 2
      - 0
    .max_flat_workgroup_size: 256
    .name:           _ZN7rocprim17ROCPRIM_400000_NS6detail17trampoline_kernelINS0_14default_configENS1_32segmented_reduce_config_selectorIfEEZNS1_21segmented_reduce_implIS3_PKfPfPKlfN6hipcub16HIPCUB_304000_NS6detail27convert_result_type_wrapperIS8_S9_N2at6native12_GLOBAL__N_110CustomProdEEEEE10hipError_tPvRmT0_T1_jT2_SQ_T4_T3_P12ihipStream_tbEUlT_E_NS1_11comp_targetILNS1_3genE3ELNS1_11target_archE908ELNS1_3gpuE7ELNS1_3repE0EEENS1_30default_config_static_selectorELNS0_4arch9wavefront6targetE0EEEvSP_
    .private_segment_fixed_size: 0
    .sgpr_count:     0
    .sgpr_spill_count: 0
    .symbol:         _ZN7rocprim17ROCPRIM_400000_NS6detail17trampoline_kernelINS0_14default_configENS1_32segmented_reduce_config_selectorIfEEZNS1_21segmented_reduce_implIS3_PKfPfPKlfN6hipcub16HIPCUB_304000_NS6detail27convert_result_type_wrapperIS8_S9_N2at6native12_GLOBAL__N_110CustomProdEEEEE10hipError_tPvRmT0_T1_jT2_SQ_T4_T3_P12ihipStream_tbEUlT_E_NS1_11comp_targetILNS1_3genE3ELNS1_11target_archE908ELNS1_3gpuE7ELNS1_3repE0EEENS1_30default_config_static_selectorELNS0_4arch9wavefront6targetE0EEEvSP_.kd
    .uniform_work_group_size: 1
    .uses_dynamic_stack: false
    .vgpr_count:     0
    .vgpr_spill_count: 0
    .wavefront_size: 32
    .workgroup_processor_mode: 1
  - .args:
      - .offset:         0
        .size:           48
        .value_kind:     by_value
    .group_segment_fixed_size: 0
    .kernarg_segment_align: 8
    .kernarg_segment_size: 48
    .language:       OpenCL C
    .language_version:
      - 2
      - 0
    .max_flat_workgroup_size: 256
    .name:           _ZN7rocprim17ROCPRIM_400000_NS6detail17trampoline_kernelINS0_14default_configENS1_32segmented_reduce_config_selectorIfEEZNS1_21segmented_reduce_implIS3_PKfPfPKlfN6hipcub16HIPCUB_304000_NS6detail27convert_result_type_wrapperIS8_S9_N2at6native12_GLOBAL__N_110CustomProdEEEEE10hipError_tPvRmT0_T1_jT2_SQ_T4_T3_P12ihipStream_tbEUlT_E_NS1_11comp_targetILNS1_3genE2ELNS1_11target_archE906ELNS1_3gpuE6ELNS1_3repE0EEENS1_30default_config_static_selectorELNS0_4arch9wavefront6targetE0EEEvSP_
    .private_segment_fixed_size: 0
    .sgpr_count:     0
    .sgpr_spill_count: 0
    .symbol:         _ZN7rocprim17ROCPRIM_400000_NS6detail17trampoline_kernelINS0_14default_configENS1_32segmented_reduce_config_selectorIfEEZNS1_21segmented_reduce_implIS3_PKfPfPKlfN6hipcub16HIPCUB_304000_NS6detail27convert_result_type_wrapperIS8_S9_N2at6native12_GLOBAL__N_110CustomProdEEEEE10hipError_tPvRmT0_T1_jT2_SQ_T4_T3_P12ihipStream_tbEUlT_E_NS1_11comp_targetILNS1_3genE2ELNS1_11target_archE906ELNS1_3gpuE6ELNS1_3repE0EEENS1_30default_config_static_selectorELNS0_4arch9wavefront6targetE0EEEvSP_.kd
    .uniform_work_group_size: 1
    .uses_dynamic_stack: false
    .vgpr_count:     0
    .vgpr_spill_count: 0
    .wavefront_size: 32
    .workgroup_processor_mode: 1
  - .args:
      - .offset:         0
        .size:           48
        .value_kind:     by_value
    .group_segment_fixed_size: 32
    .kernarg_segment_align: 8
    .kernarg_segment_size: 48
    .language:       OpenCL C
    .language_version:
      - 2
      - 0
    .max_flat_workgroup_size: 256
    .name:           _ZN7rocprim17ROCPRIM_400000_NS6detail17trampoline_kernelINS0_14default_configENS1_32segmented_reduce_config_selectorIfEEZNS1_21segmented_reduce_implIS3_PKfPfPKlfN6hipcub16HIPCUB_304000_NS6detail27convert_result_type_wrapperIS8_S9_N2at6native12_GLOBAL__N_110CustomProdEEEEE10hipError_tPvRmT0_T1_jT2_SQ_T4_T3_P12ihipStream_tbEUlT_E_NS1_11comp_targetILNS1_3genE9ELNS1_11target_archE1100ELNS1_3gpuE3ELNS1_3repE0EEENS1_30default_config_static_selectorELNS0_4arch9wavefront6targetE0EEEvSP_
    .private_segment_fixed_size: 0
    .sgpr_count:     34
    .sgpr_spill_count: 0
    .symbol:         _ZN7rocprim17ROCPRIM_400000_NS6detail17trampoline_kernelINS0_14default_configENS1_32segmented_reduce_config_selectorIfEEZNS1_21segmented_reduce_implIS3_PKfPfPKlfN6hipcub16HIPCUB_304000_NS6detail27convert_result_type_wrapperIS8_S9_N2at6native12_GLOBAL__N_110CustomProdEEEEE10hipError_tPvRmT0_T1_jT2_SQ_T4_T3_P12ihipStream_tbEUlT_E_NS1_11comp_targetILNS1_3genE9ELNS1_11target_archE1100ELNS1_3gpuE3ELNS1_3repE0EEENS1_30default_config_static_selectorELNS0_4arch9wavefront6targetE0EEEvSP_.kd
    .uniform_work_group_size: 1
    .uses_dynamic_stack: false
    .vgpr_count:     23
    .vgpr_spill_count: 0
    .wavefront_size: 32
    .workgroup_processor_mode: 1
  - .args:
      - .offset:         0
        .size:           48
        .value_kind:     by_value
    .group_segment_fixed_size: 0
    .kernarg_segment_align: 8
    .kernarg_segment_size: 48
    .language:       OpenCL C
    .language_version:
      - 2
      - 0
    .max_flat_workgroup_size: 256
    .name:           _ZN7rocprim17ROCPRIM_400000_NS6detail17trampoline_kernelINS0_14default_configENS1_32segmented_reduce_config_selectorIfEEZNS1_21segmented_reduce_implIS3_PKfPfPKlfN6hipcub16HIPCUB_304000_NS6detail27convert_result_type_wrapperIS8_S9_N2at6native12_GLOBAL__N_110CustomProdEEEEE10hipError_tPvRmT0_T1_jT2_SQ_T4_T3_P12ihipStream_tbEUlT_E_NS1_11comp_targetILNS1_3genE8ELNS1_11target_archE1030ELNS1_3gpuE2ELNS1_3repE0EEENS1_30default_config_static_selectorELNS0_4arch9wavefront6targetE0EEEvSP_
    .private_segment_fixed_size: 0
    .sgpr_count:     0
    .sgpr_spill_count: 0
    .symbol:         _ZN7rocprim17ROCPRIM_400000_NS6detail17trampoline_kernelINS0_14default_configENS1_32segmented_reduce_config_selectorIfEEZNS1_21segmented_reduce_implIS3_PKfPfPKlfN6hipcub16HIPCUB_304000_NS6detail27convert_result_type_wrapperIS8_S9_N2at6native12_GLOBAL__N_110CustomProdEEEEE10hipError_tPvRmT0_T1_jT2_SQ_T4_T3_P12ihipStream_tbEUlT_E_NS1_11comp_targetILNS1_3genE8ELNS1_11target_archE1030ELNS1_3gpuE2ELNS1_3repE0EEENS1_30default_config_static_selectorELNS0_4arch9wavefront6targetE0EEEvSP_.kd
    .uniform_work_group_size: 1
    .uses_dynamic_stack: false
    .vgpr_count:     0
    .vgpr_spill_count: 0
    .wavefront_size: 32
    .workgroup_processor_mode: 1
  - .args:
      - .offset:         0
        .size:           4
        .value_kind:     by_value
      - .address_space:  global
        .offset:         8
        .size:           8
        .value_kind:     global_buffer
      - .address_space:  global
        .offset:         16
        .size:           8
        .value_kind:     global_buffer
      - .address_space:  global
        .offset:         24
        .size:           8
        .value_kind:     global_buffer
      - .address_space:  global
        .offset:         32
        .size:           8
        .value_kind:     global_buffer
      - .offset:         40
        .size:           8
        .value_kind:     by_value
      - .offset:         48
        .size:           8
        .value_kind:     by_value
      - .offset:         56
        .size:           1
        .value_kind:     by_value
      - .offset:         58
        .size:           2
        .value_kind:     by_value
      - .offset:         64
        .size:           8
        .value_kind:     by_value
      - .offset:         72
        .size:           8
        .value_kind:     by_value
      - .offset:         80
        .size:           8
        .value_kind:     by_value
      - .offset:         88
        .size:           8
        .value_kind:     by_value
      - .offset:         96
        .size:           8
        .value_kind:     by_value
      - .offset:         104
        .size:           8
        .value_kind:     by_value
      - .offset:         112
        .size:           8
        .value_kind:     by_value
      - .offset:         120
        .size:           4
        .value_kind:     hidden_block_count_x
      - .offset:         124
        .size:           4
        .value_kind:     hidden_block_count_y
      - .offset:         128
        .size:           4
        .value_kind:     hidden_block_count_z
      - .offset:         132
        .size:           2
        .value_kind:     hidden_group_size_x
      - .offset:         134
        .size:           2
        .value_kind:     hidden_group_size_y
      - .offset:         136
        .size:           2
        .value_kind:     hidden_group_size_z
      - .offset:         138
        .size:           2
        .value_kind:     hidden_remainder_x
      - .offset:         140
        .size:           2
        .value_kind:     hidden_remainder_y
      - .offset:         142
        .size:           2
        .value_kind:     hidden_remainder_z
      - .offset:         160
        .size:           8
        .value_kind:     hidden_global_offset_x
      - .offset:         168
        .size:           8
        .value_kind:     hidden_global_offset_y
      - .offset:         176
        .size:           8
        .value_kind:     hidden_global_offset_z
      - .offset:         184
        .size:           2
        .value_kind:     hidden_grid_dims
    .group_segment_fixed_size: 0
    .kernarg_segment_align: 8
    .kernarg_segment_size: 376
    .language:       OpenCL C
    .language_version:
      - 2
      - 0
    .max_flat_workgroup_size: 1024
    .name:           _ZN2at6native12_GLOBAL__N_129segment_reduce_forward_kernelIN3c104HalfElEEvNS0_13ReductionTypeEPT_PKS6_PKT0_SC_llbS6_lllllll
    .private_segment_fixed_size: 0
    .sgpr_count:     34
    .sgpr_spill_count: 0
    .symbol:         _ZN2at6native12_GLOBAL__N_129segment_reduce_forward_kernelIN3c104HalfElEEvNS0_13ReductionTypeEPT_PKS6_PKT0_SC_llbS6_lllllll.kd
    .uniform_work_group_size: 1
    .uses_dynamic_stack: false
    .vgpr_count:     23
    .vgpr_spill_count: 0
    .wavefront_size: 32
    .workgroup_processor_mode: 1
  - .args:
      - .offset:         0
        .size:           48
        .value_kind:     by_value
    .group_segment_fixed_size: 0
    .kernarg_segment_align: 8
    .kernarg_segment_size: 48
    .language:       OpenCL C
    .language_version:
      - 2
      - 0
    .max_flat_workgroup_size: 256
    .name:           _ZN7rocprim17ROCPRIM_400000_NS6detail17trampoline_kernelINS0_14default_configENS1_32segmented_reduce_config_selectorIN3c104HalfEEEZNS1_21segmented_reduce_implIS3_PKS6_PS6_PKlS6_N6hipcub16HIPCUB_304000_NS6detail27convert_result_type_wrapperISA_SB_N2at6native12_GLOBAL__N_19CustomMaxEEEEE10hipError_tPvRmT0_T1_jT2_SS_T4_T3_P12ihipStream_tbEUlT_E_NS1_11comp_targetILNS1_3genE0ELNS1_11target_archE4294967295ELNS1_3gpuE0ELNS1_3repE0EEENS1_30default_config_static_selectorELNS0_4arch9wavefront6targetE0EEEvSR_
    .private_segment_fixed_size: 0
    .sgpr_count:     0
    .sgpr_spill_count: 0
    .symbol:         _ZN7rocprim17ROCPRIM_400000_NS6detail17trampoline_kernelINS0_14default_configENS1_32segmented_reduce_config_selectorIN3c104HalfEEEZNS1_21segmented_reduce_implIS3_PKS6_PS6_PKlS6_N6hipcub16HIPCUB_304000_NS6detail27convert_result_type_wrapperISA_SB_N2at6native12_GLOBAL__N_19CustomMaxEEEEE10hipError_tPvRmT0_T1_jT2_SS_T4_T3_P12ihipStream_tbEUlT_E_NS1_11comp_targetILNS1_3genE0ELNS1_11target_archE4294967295ELNS1_3gpuE0ELNS1_3repE0EEENS1_30default_config_static_selectorELNS0_4arch9wavefront6targetE0EEEvSR_.kd
    .uniform_work_group_size: 1
    .uses_dynamic_stack: false
    .vgpr_count:     0
    .vgpr_spill_count: 0
    .wavefront_size: 32
    .workgroup_processor_mode: 1
  - .args:
      - .offset:         0
        .size:           48
        .value_kind:     by_value
    .group_segment_fixed_size: 0
    .kernarg_segment_align: 8
    .kernarg_segment_size: 48
    .language:       OpenCL C
    .language_version:
      - 2
      - 0
    .max_flat_workgroup_size: 256
    .name:           _ZN7rocprim17ROCPRIM_400000_NS6detail17trampoline_kernelINS0_14default_configENS1_32segmented_reduce_config_selectorIN3c104HalfEEEZNS1_21segmented_reduce_implIS3_PKS6_PS6_PKlS6_N6hipcub16HIPCUB_304000_NS6detail27convert_result_type_wrapperISA_SB_N2at6native12_GLOBAL__N_19CustomMaxEEEEE10hipError_tPvRmT0_T1_jT2_SS_T4_T3_P12ihipStream_tbEUlT_E_NS1_11comp_targetILNS1_3genE5ELNS1_11target_archE942ELNS1_3gpuE9ELNS1_3repE0EEENS1_30default_config_static_selectorELNS0_4arch9wavefront6targetE0EEEvSR_
    .private_segment_fixed_size: 0
    .sgpr_count:     0
    .sgpr_spill_count: 0
    .symbol:         _ZN7rocprim17ROCPRIM_400000_NS6detail17trampoline_kernelINS0_14default_configENS1_32segmented_reduce_config_selectorIN3c104HalfEEEZNS1_21segmented_reduce_implIS3_PKS6_PS6_PKlS6_N6hipcub16HIPCUB_304000_NS6detail27convert_result_type_wrapperISA_SB_N2at6native12_GLOBAL__N_19CustomMaxEEEEE10hipError_tPvRmT0_T1_jT2_SS_T4_T3_P12ihipStream_tbEUlT_E_NS1_11comp_targetILNS1_3genE5ELNS1_11target_archE942ELNS1_3gpuE9ELNS1_3repE0EEENS1_30default_config_static_selectorELNS0_4arch9wavefront6targetE0EEEvSR_.kd
    .uniform_work_group_size: 1
    .uses_dynamic_stack: false
    .vgpr_count:     0
    .vgpr_spill_count: 0
    .wavefront_size: 32
    .workgroup_processor_mode: 1
  - .args:
      - .offset:         0
        .size:           48
        .value_kind:     by_value
    .group_segment_fixed_size: 0
    .kernarg_segment_align: 8
    .kernarg_segment_size: 48
    .language:       OpenCL C
    .language_version:
      - 2
      - 0
    .max_flat_workgroup_size: 256
    .name:           _ZN7rocprim17ROCPRIM_400000_NS6detail17trampoline_kernelINS0_14default_configENS1_32segmented_reduce_config_selectorIN3c104HalfEEEZNS1_21segmented_reduce_implIS3_PKS6_PS6_PKlS6_N6hipcub16HIPCUB_304000_NS6detail27convert_result_type_wrapperISA_SB_N2at6native12_GLOBAL__N_19CustomMaxEEEEE10hipError_tPvRmT0_T1_jT2_SS_T4_T3_P12ihipStream_tbEUlT_E_NS1_11comp_targetILNS1_3genE10ELNS1_11target_archE1201ELNS1_3gpuE5ELNS1_3repE0EEENS1_30default_config_static_selectorELNS0_4arch9wavefront6targetE0EEEvSR_
    .private_segment_fixed_size: 0
    .sgpr_count:     0
    .sgpr_spill_count: 0
    .symbol:         _ZN7rocprim17ROCPRIM_400000_NS6detail17trampoline_kernelINS0_14default_configENS1_32segmented_reduce_config_selectorIN3c104HalfEEEZNS1_21segmented_reduce_implIS3_PKS6_PS6_PKlS6_N6hipcub16HIPCUB_304000_NS6detail27convert_result_type_wrapperISA_SB_N2at6native12_GLOBAL__N_19CustomMaxEEEEE10hipError_tPvRmT0_T1_jT2_SS_T4_T3_P12ihipStream_tbEUlT_E_NS1_11comp_targetILNS1_3genE10ELNS1_11target_archE1201ELNS1_3gpuE5ELNS1_3repE0EEENS1_30default_config_static_selectorELNS0_4arch9wavefront6targetE0EEEvSR_.kd
    .uniform_work_group_size: 1
    .uses_dynamic_stack: false
    .vgpr_count:     0
    .vgpr_spill_count: 0
    .wavefront_size: 32
    .workgroup_processor_mode: 1
  - .args:
      - .offset:         0
        .size:           48
        .value_kind:     by_value
    .group_segment_fixed_size: 0
    .kernarg_segment_align: 8
    .kernarg_segment_size: 48
    .language:       OpenCL C
    .language_version:
      - 2
      - 0
    .max_flat_workgroup_size: 256
    .name:           _ZN7rocprim17ROCPRIM_400000_NS6detail17trampoline_kernelINS0_14default_configENS1_32segmented_reduce_config_selectorIN3c104HalfEEEZNS1_21segmented_reduce_implIS3_PKS6_PS6_PKlS6_N6hipcub16HIPCUB_304000_NS6detail27convert_result_type_wrapperISA_SB_N2at6native12_GLOBAL__N_19CustomMaxEEEEE10hipError_tPvRmT0_T1_jT2_SS_T4_T3_P12ihipStream_tbEUlT_E_NS1_11comp_targetILNS1_3genE4ELNS1_11target_archE910ELNS1_3gpuE8ELNS1_3repE0EEENS1_30default_config_static_selectorELNS0_4arch9wavefront6targetE0EEEvSR_
    .private_segment_fixed_size: 0
    .sgpr_count:     0
    .sgpr_spill_count: 0
    .symbol:         _ZN7rocprim17ROCPRIM_400000_NS6detail17trampoline_kernelINS0_14default_configENS1_32segmented_reduce_config_selectorIN3c104HalfEEEZNS1_21segmented_reduce_implIS3_PKS6_PS6_PKlS6_N6hipcub16HIPCUB_304000_NS6detail27convert_result_type_wrapperISA_SB_N2at6native12_GLOBAL__N_19CustomMaxEEEEE10hipError_tPvRmT0_T1_jT2_SS_T4_T3_P12ihipStream_tbEUlT_E_NS1_11comp_targetILNS1_3genE4ELNS1_11target_archE910ELNS1_3gpuE8ELNS1_3repE0EEENS1_30default_config_static_selectorELNS0_4arch9wavefront6targetE0EEEvSR_.kd
    .uniform_work_group_size: 1
    .uses_dynamic_stack: false
    .vgpr_count:     0
    .vgpr_spill_count: 0
    .wavefront_size: 32
    .workgroup_processor_mode: 1
  - .args:
      - .offset:         0
        .size:           48
        .value_kind:     by_value
    .group_segment_fixed_size: 0
    .kernarg_segment_align: 8
    .kernarg_segment_size: 48
    .language:       OpenCL C
    .language_version:
      - 2
      - 0
    .max_flat_workgroup_size: 256
    .name:           _ZN7rocprim17ROCPRIM_400000_NS6detail17trampoline_kernelINS0_14default_configENS1_32segmented_reduce_config_selectorIN3c104HalfEEEZNS1_21segmented_reduce_implIS3_PKS6_PS6_PKlS6_N6hipcub16HIPCUB_304000_NS6detail27convert_result_type_wrapperISA_SB_N2at6native12_GLOBAL__N_19CustomMaxEEEEE10hipError_tPvRmT0_T1_jT2_SS_T4_T3_P12ihipStream_tbEUlT_E_NS1_11comp_targetILNS1_3genE3ELNS1_11target_archE908ELNS1_3gpuE7ELNS1_3repE0EEENS1_30default_config_static_selectorELNS0_4arch9wavefront6targetE0EEEvSR_
    .private_segment_fixed_size: 0
    .sgpr_count:     0
    .sgpr_spill_count: 0
    .symbol:         _ZN7rocprim17ROCPRIM_400000_NS6detail17trampoline_kernelINS0_14default_configENS1_32segmented_reduce_config_selectorIN3c104HalfEEEZNS1_21segmented_reduce_implIS3_PKS6_PS6_PKlS6_N6hipcub16HIPCUB_304000_NS6detail27convert_result_type_wrapperISA_SB_N2at6native12_GLOBAL__N_19CustomMaxEEEEE10hipError_tPvRmT0_T1_jT2_SS_T4_T3_P12ihipStream_tbEUlT_E_NS1_11comp_targetILNS1_3genE3ELNS1_11target_archE908ELNS1_3gpuE7ELNS1_3repE0EEENS1_30default_config_static_selectorELNS0_4arch9wavefront6targetE0EEEvSR_.kd
    .uniform_work_group_size: 1
    .uses_dynamic_stack: false
    .vgpr_count:     0
    .vgpr_spill_count: 0
    .wavefront_size: 32
    .workgroup_processor_mode: 1
  - .args:
      - .offset:         0
        .size:           48
        .value_kind:     by_value
    .group_segment_fixed_size: 0
    .kernarg_segment_align: 8
    .kernarg_segment_size: 48
    .language:       OpenCL C
    .language_version:
      - 2
      - 0
    .max_flat_workgroup_size: 256
    .name:           _ZN7rocprim17ROCPRIM_400000_NS6detail17trampoline_kernelINS0_14default_configENS1_32segmented_reduce_config_selectorIN3c104HalfEEEZNS1_21segmented_reduce_implIS3_PKS6_PS6_PKlS6_N6hipcub16HIPCUB_304000_NS6detail27convert_result_type_wrapperISA_SB_N2at6native12_GLOBAL__N_19CustomMaxEEEEE10hipError_tPvRmT0_T1_jT2_SS_T4_T3_P12ihipStream_tbEUlT_E_NS1_11comp_targetILNS1_3genE2ELNS1_11target_archE906ELNS1_3gpuE6ELNS1_3repE0EEENS1_30default_config_static_selectorELNS0_4arch9wavefront6targetE0EEEvSR_
    .private_segment_fixed_size: 0
    .sgpr_count:     0
    .sgpr_spill_count: 0
    .symbol:         _ZN7rocprim17ROCPRIM_400000_NS6detail17trampoline_kernelINS0_14default_configENS1_32segmented_reduce_config_selectorIN3c104HalfEEEZNS1_21segmented_reduce_implIS3_PKS6_PS6_PKlS6_N6hipcub16HIPCUB_304000_NS6detail27convert_result_type_wrapperISA_SB_N2at6native12_GLOBAL__N_19CustomMaxEEEEE10hipError_tPvRmT0_T1_jT2_SS_T4_T3_P12ihipStream_tbEUlT_E_NS1_11comp_targetILNS1_3genE2ELNS1_11target_archE906ELNS1_3gpuE6ELNS1_3repE0EEENS1_30default_config_static_selectorELNS0_4arch9wavefront6targetE0EEEvSR_.kd
    .uniform_work_group_size: 1
    .uses_dynamic_stack: false
    .vgpr_count:     0
    .vgpr_spill_count: 0
    .wavefront_size: 32
    .workgroup_processor_mode: 1
  - .args:
      - .offset:         0
        .size:           48
        .value_kind:     by_value
    .group_segment_fixed_size: 16
    .kernarg_segment_align: 8
    .kernarg_segment_size: 48
    .language:       OpenCL C
    .language_version:
      - 2
      - 0
    .max_flat_workgroup_size: 256
    .name:           _ZN7rocprim17ROCPRIM_400000_NS6detail17trampoline_kernelINS0_14default_configENS1_32segmented_reduce_config_selectorIN3c104HalfEEEZNS1_21segmented_reduce_implIS3_PKS6_PS6_PKlS6_N6hipcub16HIPCUB_304000_NS6detail27convert_result_type_wrapperISA_SB_N2at6native12_GLOBAL__N_19CustomMaxEEEEE10hipError_tPvRmT0_T1_jT2_SS_T4_T3_P12ihipStream_tbEUlT_E_NS1_11comp_targetILNS1_3genE9ELNS1_11target_archE1100ELNS1_3gpuE3ELNS1_3repE0EEENS1_30default_config_static_selectorELNS0_4arch9wavefront6targetE0EEEvSR_
    .private_segment_fixed_size: 0
    .sgpr_count:     36
    .sgpr_spill_count: 0
    .symbol:         _ZN7rocprim17ROCPRIM_400000_NS6detail17trampoline_kernelINS0_14default_configENS1_32segmented_reduce_config_selectorIN3c104HalfEEEZNS1_21segmented_reduce_implIS3_PKS6_PS6_PKlS6_N6hipcub16HIPCUB_304000_NS6detail27convert_result_type_wrapperISA_SB_N2at6native12_GLOBAL__N_19CustomMaxEEEEE10hipError_tPvRmT0_T1_jT2_SS_T4_T3_P12ihipStream_tbEUlT_E_NS1_11comp_targetILNS1_3genE9ELNS1_11target_archE1100ELNS1_3gpuE3ELNS1_3repE0EEENS1_30default_config_static_selectorELNS0_4arch9wavefront6targetE0EEEvSR_.kd
    .uniform_work_group_size: 1
    .uses_dynamic_stack: false
    .vgpr_count:     23
    .vgpr_spill_count: 0
    .wavefront_size: 32
    .workgroup_processor_mode: 1
  - .args:
      - .offset:         0
        .size:           48
        .value_kind:     by_value
    .group_segment_fixed_size: 0
    .kernarg_segment_align: 8
    .kernarg_segment_size: 48
    .language:       OpenCL C
    .language_version:
      - 2
      - 0
    .max_flat_workgroup_size: 256
    .name:           _ZN7rocprim17ROCPRIM_400000_NS6detail17trampoline_kernelINS0_14default_configENS1_32segmented_reduce_config_selectorIN3c104HalfEEEZNS1_21segmented_reduce_implIS3_PKS6_PS6_PKlS6_N6hipcub16HIPCUB_304000_NS6detail27convert_result_type_wrapperISA_SB_N2at6native12_GLOBAL__N_19CustomMaxEEEEE10hipError_tPvRmT0_T1_jT2_SS_T4_T3_P12ihipStream_tbEUlT_E_NS1_11comp_targetILNS1_3genE8ELNS1_11target_archE1030ELNS1_3gpuE2ELNS1_3repE0EEENS1_30default_config_static_selectorELNS0_4arch9wavefront6targetE0EEEvSR_
    .private_segment_fixed_size: 0
    .sgpr_count:     0
    .sgpr_spill_count: 0
    .symbol:         _ZN7rocprim17ROCPRIM_400000_NS6detail17trampoline_kernelINS0_14default_configENS1_32segmented_reduce_config_selectorIN3c104HalfEEEZNS1_21segmented_reduce_implIS3_PKS6_PS6_PKlS6_N6hipcub16HIPCUB_304000_NS6detail27convert_result_type_wrapperISA_SB_N2at6native12_GLOBAL__N_19CustomMaxEEEEE10hipError_tPvRmT0_T1_jT2_SS_T4_T3_P12ihipStream_tbEUlT_E_NS1_11comp_targetILNS1_3genE8ELNS1_11target_archE1030ELNS1_3gpuE2ELNS1_3repE0EEENS1_30default_config_static_selectorELNS0_4arch9wavefront6targetE0EEEvSR_.kd
    .uniform_work_group_size: 1
    .uses_dynamic_stack: false
    .vgpr_count:     0
    .vgpr_spill_count: 0
    .wavefront_size: 32
    .workgroup_processor_mode: 1
  - .args:
      - .offset:         0
        .size:           48
        .value_kind:     by_value
    .group_segment_fixed_size: 0
    .kernarg_segment_align: 8
    .kernarg_segment_size: 48
    .language:       OpenCL C
    .language_version:
      - 2
      - 0
    .max_flat_workgroup_size: 256
    .name:           _ZN7rocprim17ROCPRIM_400000_NS6detail17trampoline_kernelINS0_14default_configENS1_32segmented_reduce_config_selectorIN3c104HalfEEEZNS1_21segmented_reduce_implIS3_PKS6_PS6_PKlS6_N6hipcub16HIPCUB_304000_NS6detail27convert_result_type_wrapperISA_SB_N2at6native12_GLOBAL__N_19CustomSumEEEEE10hipError_tPvRmT0_T1_jT2_SS_T4_T3_P12ihipStream_tbEUlT_E_NS1_11comp_targetILNS1_3genE0ELNS1_11target_archE4294967295ELNS1_3gpuE0ELNS1_3repE0EEENS1_30default_config_static_selectorELNS0_4arch9wavefront6targetE0EEEvSR_
    .private_segment_fixed_size: 0
    .sgpr_count:     0
    .sgpr_spill_count: 0
    .symbol:         _ZN7rocprim17ROCPRIM_400000_NS6detail17trampoline_kernelINS0_14default_configENS1_32segmented_reduce_config_selectorIN3c104HalfEEEZNS1_21segmented_reduce_implIS3_PKS6_PS6_PKlS6_N6hipcub16HIPCUB_304000_NS6detail27convert_result_type_wrapperISA_SB_N2at6native12_GLOBAL__N_19CustomSumEEEEE10hipError_tPvRmT0_T1_jT2_SS_T4_T3_P12ihipStream_tbEUlT_E_NS1_11comp_targetILNS1_3genE0ELNS1_11target_archE4294967295ELNS1_3gpuE0ELNS1_3repE0EEENS1_30default_config_static_selectorELNS0_4arch9wavefront6targetE0EEEvSR_.kd
    .uniform_work_group_size: 1
    .uses_dynamic_stack: false
    .vgpr_count:     0
    .vgpr_spill_count: 0
    .wavefront_size: 32
    .workgroup_processor_mode: 1
  - .args:
      - .offset:         0
        .size:           48
        .value_kind:     by_value
    .group_segment_fixed_size: 0
    .kernarg_segment_align: 8
    .kernarg_segment_size: 48
    .language:       OpenCL C
    .language_version:
      - 2
      - 0
    .max_flat_workgroup_size: 256
    .name:           _ZN7rocprim17ROCPRIM_400000_NS6detail17trampoline_kernelINS0_14default_configENS1_32segmented_reduce_config_selectorIN3c104HalfEEEZNS1_21segmented_reduce_implIS3_PKS6_PS6_PKlS6_N6hipcub16HIPCUB_304000_NS6detail27convert_result_type_wrapperISA_SB_N2at6native12_GLOBAL__N_19CustomSumEEEEE10hipError_tPvRmT0_T1_jT2_SS_T4_T3_P12ihipStream_tbEUlT_E_NS1_11comp_targetILNS1_3genE5ELNS1_11target_archE942ELNS1_3gpuE9ELNS1_3repE0EEENS1_30default_config_static_selectorELNS0_4arch9wavefront6targetE0EEEvSR_
    .private_segment_fixed_size: 0
    .sgpr_count:     0
    .sgpr_spill_count: 0
    .symbol:         _ZN7rocprim17ROCPRIM_400000_NS6detail17trampoline_kernelINS0_14default_configENS1_32segmented_reduce_config_selectorIN3c104HalfEEEZNS1_21segmented_reduce_implIS3_PKS6_PS6_PKlS6_N6hipcub16HIPCUB_304000_NS6detail27convert_result_type_wrapperISA_SB_N2at6native12_GLOBAL__N_19CustomSumEEEEE10hipError_tPvRmT0_T1_jT2_SS_T4_T3_P12ihipStream_tbEUlT_E_NS1_11comp_targetILNS1_3genE5ELNS1_11target_archE942ELNS1_3gpuE9ELNS1_3repE0EEENS1_30default_config_static_selectorELNS0_4arch9wavefront6targetE0EEEvSR_.kd
    .uniform_work_group_size: 1
    .uses_dynamic_stack: false
    .vgpr_count:     0
    .vgpr_spill_count: 0
    .wavefront_size: 32
    .workgroup_processor_mode: 1
  - .args:
      - .offset:         0
        .size:           48
        .value_kind:     by_value
    .group_segment_fixed_size: 0
    .kernarg_segment_align: 8
    .kernarg_segment_size: 48
    .language:       OpenCL C
    .language_version:
      - 2
      - 0
    .max_flat_workgroup_size: 256
    .name:           _ZN7rocprim17ROCPRIM_400000_NS6detail17trampoline_kernelINS0_14default_configENS1_32segmented_reduce_config_selectorIN3c104HalfEEEZNS1_21segmented_reduce_implIS3_PKS6_PS6_PKlS6_N6hipcub16HIPCUB_304000_NS6detail27convert_result_type_wrapperISA_SB_N2at6native12_GLOBAL__N_19CustomSumEEEEE10hipError_tPvRmT0_T1_jT2_SS_T4_T3_P12ihipStream_tbEUlT_E_NS1_11comp_targetILNS1_3genE10ELNS1_11target_archE1201ELNS1_3gpuE5ELNS1_3repE0EEENS1_30default_config_static_selectorELNS0_4arch9wavefront6targetE0EEEvSR_
    .private_segment_fixed_size: 0
    .sgpr_count:     0
    .sgpr_spill_count: 0
    .symbol:         _ZN7rocprim17ROCPRIM_400000_NS6detail17trampoline_kernelINS0_14default_configENS1_32segmented_reduce_config_selectorIN3c104HalfEEEZNS1_21segmented_reduce_implIS3_PKS6_PS6_PKlS6_N6hipcub16HIPCUB_304000_NS6detail27convert_result_type_wrapperISA_SB_N2at6native12_GLOBAL__N_19CustomSumEEEEE10hipError_tPvRmT0_T1_jT2_SS_T4_T3_P12ihipStream_tbEUlT_E_NS1_11comp_targetILNS1_3genE10ELNS1_11target_archE1201ELNS1_3gpuE5ELNS1_3repE0EEENS1_30default_config_static_selectorELNS0_4arch9wavefront6targetE0EEEvSR_.kd
    .uniform_work_group_size: 1
    .uses_dynamic_stack: false
    .vgpr_count:     0
    .vgpr_spill_count: 0
    .wavefront_size: 32
    .workgroup_processor_mode: 1
  - .args:
      - .offset:         0
        .size:           48
        .value_kind:     by_value
    .group_segment_fixed_size: 0
    .kernarg_segment_align: 8
    .kernarg_segment_size: 48
    .language:       OpenCL C
    .language_version:
      - 2
      - 0
    .max_flat_workgroup_size: 256
    .name:           _ZN7rocprim17ROCPRIM_400000_NS6detail17trampoline_kernelINS0_14default_configENS1_32segmented_reduce_config_selectorIN3c104HalfEEEZNS1_21segmented_reduce_implIS3_PKS6_PS6_PKlS6_N6hipcub16HIPCUB_304000_NS6detail27convert_result_type_wrapperISA_SB_N2at6native12_GLOBAL__N_19CustomSumEEEEE10hipError_tPvRmT0_T1_jT2_SS_T4_T3_P12ihipStream_tbEUlT_E_NS1_11comp_targetILNS1_3genE4ELNS1_11target_archE910ELNS1_3gpuE8ELNS1_3repE0EEENS1_30default_config_static_selectorELNS0_4arch9wavefront6targetE0EEEvSR_
    .private_segment_fixed_size: 0
    .sgpr_count:     0
    .sgpr_spill_count: 0
    .symbol:         _ZN7rocprim17ROCPRIM_400000_NS6detail17trampoline_kernelINS0_14default_configENS1_32segmented_reduce_config_selectorIN3c104HalfEEEZNS1_21segmented_reduce_implIS3_PKS6_PS6_PKlS6_N6hipcub16HIPCUB_304000_NS6detail27convert_result_type_wrapperISA_SB_N2at6native12_GLOBAL__N_19CustomSumEEEEE10hipError_tPvRmT0_T1_jT2_SS_T4_T3_P12ihipStream_tbEUlT_E_NS1_11comp_targetILNS1_3genE4ELNS1_11target_archE910ELNS1_3gpuE8ELNS1_3repE0EEENS1_30default_config_static_selectorELNS0_4arch9wavefront6targetE0EEEvSR_.kd
    .uniform_work_group_size: 1
    .uses_dynamic_stack: false
    .vgpr_count:     0
    .vgpr_spill_count: 0
    .wavefront_size: 32
    .workgroup_processor_mode: 1
  - .args:
      - .offset:         0
        .size:           48
        .value_kind:     by_value
    .group_segment_fixed_size: 0
    .kernarg_segment_align: 8
    .kernarg_segment_size: 48
    .language:       OpenCL C
    .language_version:
      - 2
      - 0
    .max_flat_workgroup_size: 256
    .name:           _ZN7rocprim17ROCPRIM_400000_NS6detail17trampoline_kernelINS0_14default_configENS1_32segmented_reduce_config_selectorIN3c104HalfEEEZNS1_21segmented_reduce_implIS3_PKS6_PS6_PKlS6_N6hipcub16HIPCUB_304000_NS6detail27convert_result_type_wrapperISA_SB_N2at6native12_GLOBAL__N_19CustomSumEEEEE10hipError_tPvRmT0_T1_jT2_SS_T4_T3_P12ihipStream_tbEUlT_E_NS1_11comp_targetILNS1_3genE3ELNS1_11target_archE908ELNS1_3gpuE7ELNS1_3repE0EEENS1_30default_config_static_selectorELNS0_4arch9wavefront6targetE0EEEvSR_
    .private_segment_fixed_size: 0
    .sgpr_count:     0
    .sgpr_spill_count: 0
    .symbol:         _ZN7rocprim17ROCPRIM_400000_NS6detail17trampoline_kernelINS0_14default_configENS1_32segmented_reduce_config_selectorIN3c104HalfEEEZNS1_21segmented_reduce_implIS3_PKS6_PS6_PKlS6_N6hipcub16HIPCUB_304000_NS6detail27convert_result_type_wrapperISA_SB_N2at6native12_GLOBAL__N_19CustomSumEEEEE10hipError_tPvRmT0_T1_jT2_SS_T4_T3_P12ihipStream_tbEUlT_E_NS1_11comp_targetILNS1_3genE3ELNS1_11target_archE908ELNS1_3gpuE7ELNS1_3repE0EEENS1_30default_config_static_selectorELNS0_4arch9wavefront6targetE0EEEvSR_.kd
    .uniform_work_group_size: 1
    .uses_dynamic_stack: false
    .vgpr_count:     0
    .vgpr_spill_count: 0
    .wavefront_size: 32
    .workgroup_processor_mode: 1
  - .args:
      - .offset:         0
        .size:           48
        .value_kind:     by_value
    .group_segment_fixed_size: 0
    .kernarg_segment_align: 8
    .kernarg_segment_size: 48
    .language:       OpenCL C
    .language_version:
      - 2
      - 0
    .max_flat_workgroup_size: 256
    .name:           _ZN7rocprim17ROCPRIM_400000_NS6detail17trampoline_kernelINS0_14default_configENS1_32segmented_reduce_config_selectorIN3c104HalfEEEZNS1_21segmented_reduce_implIS3_PKS6_PS6_PKlS6_N6hipcub16HIPCUB_304000_NS6detail27convert_result_type_wrapperISA_SB_N2at6native12_GLOBAL__N_19CustomSumEEEEE10hipError_tPvRmT0_T1_jT2_SS_T4_T3_P12ihipStream_tbEUlT_E_NS1_11comp_targetILNS1_3genE2ELNS1_11target_archE906ELNS1_3gpuE6ELNS1_3repE0EEENS1_30default_config_static_selectorELNS0_4arch9wavefront6targetE0EEEvSR_
    .private_segment_fixed_size: 0
    .sgpr_count:     0
    .sgpr_spill_count: 0
    .symbol:         _ZN7rocprim17ROCPRIM_400000_NS6detail17trampoline_kernelINS0_14default_configENS1_32segmented_reduce_config_selectorIN3c104HalfEEEZNS1_21segmented_reduce_implIS3_PKS6_PS6_PKlS6_N6hipcub16HIPCUB_304000_NS6detail27convert_result_type_wrapperISA_SB_N2at6native12_GLOBAL__N_19CustomSumEEEEE10hipError_tPvRmT0_T1_jT2_SS_T4_T3_P12ihipStream_tbEUlT_E_NS1_11comp_targetILNS1_3genE2ELNS1_11target_archE906ELNS1_3gpuE6ELNS1_3repE0EEENS1_30default_config_static_selectorELNS0_4arch9wavefront6targetE0EEEvSR_.kd
    .uniform_work_group_size: 1
    .uses_dynamic_stack: false
    .vgpr_count:     0
    .vgpr_spill_count: 0
    .wavefront_size: 32
    .workgroup_processor_mode: 1
  - .args:
      - .offset:         0
        .size:           48
        .value_kind:     by_value
    .group_segment_fixed_size: 16
    .kernarg_segment_align: 8
    .kernarg_segment_size: 48
    .language:       OpenCL C
    .language_version:
      - 2
      - 0
    .max_flat_workgroup_size: 256
    .name:           _ZN7rocprim17ROCPRIM_400000_NS6detail17trampoline_kernelINS0_14default_configENS1_32segmented_reduce_config_selectorIN3c104HalfEEEZNS1_21segmented_reduce_implIS3_PKS6_PS6_PKlS6_N6hipcub16HIPCUB_304000_NS6detail27convert_result_type_wrapperISA_SB_N2at6native12_GLOBAL__N_19CustomSumEEEEE10hipError_tPvRmT0_T1_jT2_SS_T4_T3_P12ihipStream_tbEUlT_E_NS1_11comp_targetILNS1_3genE9ELNS1_11target_archE1100ELNS1_3gpuE3ELNS1_3repE0EEENS1_30default_config_static_selectorELNS0_4arch9wavefront6targetE0EEEvSR_
    .private_segment_fixed_size: 0
    .sgpr_count:     31
    .sgpr_spill_count: 0
    .symbol:         _ZN7rocprim17ROCPRIM_400000_NS6detail17trampoline_kernelINS0_14default_configENS1_32segmented_reduce_config_selectorIN3c104HalfEEEZNS1_21segmented_reduce_implIS3_PKS6_PS6_PKlS6_N6hipcub16HIPCUB_304000_NS6detail27convert_result_type_wrapperISA_SB_N2at6native12_GLOBAL__N_19CustomSumEEEEE10hipError_tPvRmT0_T1_jT2_SS_T4_T3_P12ihipStream_tbEUlT_E_NS1_11comp_targetILNS1_3genE9ELNS1_11target_archE1100ELNS1_3gpuE3ELNS1_3repE0EEENS1_30default_config_static_selectorELNS0_4arch9wavefront6targetE0EEEvSR_.kd
    .uniform_work_group_size: 1
    .uses_dynamic_stack: false
    .vgpr_count:     23
    .vgpr_spill_count: 0
    .wavefront_size: 32
    .workgroup_processor_mode: 1
  - .args:
      - .offset:         0
        .size:           48
        .value_kind:     by_value
    .group_segment_fixed_size: 0
    .kernarg_segment_align: 8
    .kernarg_segment_size: 48
    .language:       OpenCL C
    .language_version:
      - 2
      - 0
    .max_flat_workgroup_size: 256
    .name:           _ZN7rocprim17ROCPRIM_400000_NS6detail17trampoline_kernelINS0_14default_configENS1_32segmented_reduce_config_selectorIN3c104HalfEEEZNS1_21segmented_reduce_implIS3_PKS6_PS6_PKlS6_N6hipcub16HIPCUB_304000_NS6detail27convert_result_type_wrapperISA_SB_N2at6native12_GLOBAL__N_19CustomSumEEEEE10hipError_tPvRmT0_T1_jT2_SS_T4_T3_P12ihipStream_tbEUlT_E_NS1_11comp_targetILNS1_3genE8ELNS1_11target_archE1030ELNS1_3gpuE2ELNS1_3repE0EEENS1_30default_config_static_selectorELNS0_4arch9wavefront6targetE0EEEvSR_
    .private_segment_fixed_size: 0
    .sgpr_count:     0
    .sgpr_spill_count: 0
    .symbol:         _ZN7rocprim17ROCPRIM_400000_NS6detail17trampoline_kernelINS0_14default_configENS1_32segmented_reduce_config_selectorIN3c104HalfEEEZNS1_21segmented_reduce_implIS3_PKS6_PS6_PKlS6_N6hipcub16HIPCUB_304000_NS6detail27convert_result_type_wrapperISA_SB_N2at6native12_GLOBAL__N_19CustomSumEEEEE10hipError_tPvRmT0_T1_jT2_SS_T4_T3_P12ihipStream_tbEUlT_E_NS1_11comp_targetILNS1_3genE8ELNS1_11target_archE1030ELNS1_3gpuE2ELNS1_3repE0EEENS1_30default_config_static_selectorELNS0_4arch9wavefront6targetE0EEEvSR_.kd
    .uniform_work_group_size: 1
    .uses_dynamic_stack: false
    .vgpr_count:     0
    .vgpr_spill_count: 0
    .wavefront_size: 32
    .workgroup_processor_mode: 1
  - .args:
      - .address_space:  global
        .offset:         0
        .size:           8
        .value_kind:     global_buffer
      - .address_space:  global
        .offset:         8
        .size:           8
        .value_kind:     global_buffer
      - .offset:         16
        .size:           8
        .value_kind:     by_value
      - .offset:         24
        .size:           1
        .value_kind:     by_value
      - .offset:         26
        .size:           2
        .value_kind:     by_value
      - .offset:         32
        .size:           4
        .value_kind:     hidden_block_count_x
      - .offset:         36
        .size:           4
        .value_kind:     hidden_block_count_y
      - .offset:         40
        .size:           4
        .value_kind:     hidden_block_count_z
      - .offset:         44
        .size:           2
        .value_kind:     hidden_group_size_x
      - .offset:         46
        .size:           2
        .value_kind:     hidden_group_size_y
      - .offset:         48
        .size:           2
        .value_kind:     hidden_group_size_z
      - .offset:         50
        .size:           2
        .value_kind:     hidden_remainder_x
      - .offset:         52
        .size:           2
        .value_kind:     hidden_remainder_y
      - .offset:         54
        .size:           2
        .value_kind:     hidden_remainder_z
      - .offset:         72
        .size:           8
        .value_kind:     hidden_global_offset_x
      - .offset:         80
        .size:           8
        .value_kind:     hidden_global_offset_y
      - .offset:         88
        .size:           8
        .value_kind:     hidden_global_offset_z
      - .offset:         96
        .size:           2
        .value_kind:     hidden_grid_dims
    .group_segment_fixed_size: 0
    .kernarg_segment_align: 8
    .kernarg_segment_size: 288
    .language:       OpenCL C
    .language_version:
      - 2
      - 0
    .max_flat_workgroup_size: 1024
    .name:           _ZN2at6native12_GLOBAL__N_119post_sum_div_kernelIN3c104HalfElEEvPT_PKT0_lbS5_
    .private_segment_fixed_size: 0
    .sgpr_count:     19
    .sgpr_spill_count: 0
    .symbol:         _ZN2at6native12_GLOBAL__N_119post_sum_div_kernelIN3c104HalfElEEvPT_PKT0_lbS5_.kd
    .uniform_work_group_size: 1
    .uses_dynamic_stack: false
    .vgpr_count:     12
    .vgpr_spill_count: 0
    .wavefront_size: 32
    .workgroup_processor_mode: 1
  - .args:
      - .offset:         0
        .size:           48
        .value_kind:     by_value
    .group_segment_fixed_size: 0
    .kernarg_segment_align: 8
    .kernarg_segment_size: 48
    .language:       OpenCL C
    .language_version:
      - 2
      - 0
    .max_flat_workgroup_size: 256
    .name:           _ZN7rocprim17ROCPRIM_400000_NS6detail17trampoline_kernelINS0_14default_configENS1_32segmented_reduce_config_selectorIN3c104HalfEEEZNS1_21segmented_reduce_implIS3_PKS6_PS6_PKlS6_N6hipcub16HIPCUB_304000_NS6detail27convert_result_type_wrapperISA_SB_N2at6native12_GLOBAL__N_19CustomMinEEEEE10hipError_tPvRmT0_T1_jT2_SS_T4_T3_P12ihipStream_tbEUlT_E_NS1_11comp_targetILNS1_3genE0ELNS1_11target_archE4294967295ELNS1_3gpuE0ELNS1_3repE0EEENS1_30default_config_static_selectorELNS0_4arch9wavefront6targetE0EEEvSR_
    .private_segment_fixed_size: 0
    .sgpr_count:     0
    .sgpr_spill_count: 0
    .symbol:         _ZN7rocprim17ROCPRIM_400000_NS6detail17trampoline_kernelINS0_14default_configENS1_32segmented_reduce_config_selectorIN3c104HalfEEEZNS1_21segmented_reduce_implIS3_PKS6_PS6_PKlS6_N6hipcub16HIPCUB_304000_NS6detail27convert_result_type_wrapperISA_SB_N2at6native12_GLOBAL__N_19CustomMinEEEEE10hipError_tPvRmT0_T1_jT2_SS_T4_T3_P12ihipStream_tbEUlT_E_NS1_11comp_targetILNS1_3genE0ELNS1_11target_archE4294967295ELNS1_3gpuE0ELNS1_3repE0EEENS1_30default_config_static_selectorELNS0_4arch9wavefront6targetE0EEEvSR_.kd
    .uniform_work_group_size: 1
    .uses_dynamic_stack: false
    .vgpr_count:     0
    .vgpr_spill_count: 0
    .wavefront_size: 32
    .workgroup_processor_mode: 1
  - .args:
      - .offset:         0
        .size:           48
        .value_kind:     by_value
    .group_segment_fixed_size: 0
    .kernarg_segment_align: 8
    .kernarg_segment_size: 48
    .language:       OpenCL C
    .language_version:
      - 2
      - 0
    .max_flat_workgroup_size: 256
    .name:           _ZN7rocprim17ROCPRIM_400000_NS6detail17trampoline_kernelINS0_14default_configENS1_32segmented_reduce_config_selectorIN3c104HalfEEEZNS1_21segmented_reduce_implIS3_PKS6_PS6_PKlS6_N6hipcub16HIPCUB_304000_NS6detail27convert_result_type_wrapperISA_SB_N2at6native12_GLOBAL__N_19CustomMinEEEEE10hipError_tPvRmT0_T1_jT2_SS_T4_T3_P12ihipStream_tbEUlT_E_NS1_11comp_targetILNS1_3genE5ELNS1_11target_archE942ELNS1_3gpuE9ELNS1_3repE0EEENS1_30default_config_static_selectorELNS0_4arch9wavefront6targetE0EEEvSR_
    .private_segment_fixed_size: 0
    .sgpr_count:     0
    .sgpr_spill_count: 0
    .symbol:         _ZN7rocprim17ROCPRIM_400000_NS6detail17trampoline_kernelINS0_14default_configENS1_32segmented_reduce_config_selectorIN3c104HalfEEEZNS1_21segmented_reduce_implIS3_PKS6_PS6_PKlS6_N6hipcub16HIPCUB_304000_NS6detail27convert_result_type_wrapperISA_SB_N2at6native12_GLOBAL__N_19CustomMinEEEEE10hipError_tPvRmT0_T1_jT2_SS_T4_T3_P12ihipStream_tbEUlT_E_NS1_11comp_targetILNS1_3genE5ELNS1_11target_archE942ELNS1_3gpuE9ELNS1_3repE0EEENS1_30default_config_static_selectorELNS0_4arch9wavefront6targetE0EEEvSR_.kd
    .uniform_work_group_size: 1
    .uses_dynamic_stack: false
    .vgpr_count:     0
    .vgpr_spill_count: 0
    .wavefront_size: 32
    .workgroup_processor_mode: 1
  - .args:
      - .offset:         0
        .size:           48
        .value_kind:     by_value
    .group_segment_fixed_size: 0
    .kernarg_segment_align: 8
    .kernarg_segment_size: 48
    .language:       OpenCL C
    .language_version:
      - 2
      - 0
    .max_flat_workgroup_size: 256
    .name:           _ZN7rocprim17ROCPRIM_400000_NS6detail17trampoline_kernelINS0_14default_configENS1_32segmented_reduce_config_selectorIN3c104HalfEEEZNS1_21segmented_reduce_implIS3_PKS6_PS6_PKlS6_N6hipcub16HIPCUB_304000_NS6detail27convert_result_type_wrapperISA_SB_N2at6native12_GLOBAL__N_19CustomMinEEEEE10hipError_tPvRmT0_T1_jT2_SS_T4_T3_P12ihipStream_tbEUlT_E_NS1_11comp_targetILNS1_3genE10ELNS1_11target_archE1201ELNS1_3gpuE5ELNS1_3repE0EEENS1_30default_config_static_selectorELNS0_4arch9wavefront6targetE0EEEvSR_
    .private_segment_fixed_size: 0
    .sgpr_count:     0
    .sgpr_spill_count: 0
    .symbol:         _ZN7rocprim17ROCPRIM_400000_NS6detail17trampoline_kernelINS0_14default_configENS1_32segmented_reduce_config_selectorIN3c104HalfEEEZNS1_21segmented_reduce_implIS3_PKS6_PS6_PKlS6_N6hipcub16HIPCUB_304000_NS6detail27convert_result_type_wrapperISA_SB_N2at6native12_GLOBAL__N_19CustomMinEEEEE10hipError_tPvRmT0_T1_jT2_SS_T4_T3_P12ihipStream_tbEUlT_E_NS1_11comp_targetILNS1_3genE10ELNS1_11target_archE1201ELNS1_3gpuE5ELNS1_3repE0EEENS1_30default_config_static_selectorELNS0_4arch9wavefront6targetE0EEEvSR_.kd
    .uniform_work_group_size: 1
    .uses_dynamic_stack: false
    .vgpr_count:     0
    .vgpr_spill_count: 0
    .wavefront_size: 32
    .workgroup_processor_mode: 1
  - .args:
      - .offset:         0
        .size:           48
        .value_kind:     by_value
    .group_segment_fixed_size: 0
    .kernarg_segment_align: 8
    .kernarg_segment_size: 48
    .language:       OpenCL C
    .language_version:
      - 2
      - 0
    .max_flat_workgroup_size: 256
    .name:           _ZN7rocprim17ROCPRIM_400000_NS6detail17trampoline_kernelINS0_14default_configENS1_32segmented_reduce_config_selectorIN3c104HalfEEEZNS1_21segmented_reduce_implIS3_PKS6_PS6_PKlS6_N6hipcub16HIPCUB_304000_NS6detail27convert_result_type_wrapperISA_SB_N2at6native12_GLOBAL__N_19CustomMinEEEEE10hipError_tPvRmT0_T1_jT2_SS_T4_T3_P12ihipStream_tbEUlT_E_NS1_11comp_targetILNS1_3genE4ELNS1_11target_archE910ELNS1_3gpuE8ELNS1_3repE0EEENS1_30default_config_static_selectorELNS0_4arch9wavefront6targetE0EEEvSR_
    .private_segment_fixed_size: 0
    .sgpr_count:     0
    .sgpr_spill_count: 0
    .symbol:         _ZN7rocprim17ROCPRIM_400000_NS6detail17trampoline_kernelINS0_14default_configENS1_32segmented_reduce_config_selectorIN3c104HalfEEEZNS1_21segmented_reduce_implIS3_PKS6_PS6_PKlS6_N6hipcub16HIPCUB_304000_NS6detail27convert_result_type_wrapperISA_SB_N2at6native12_GLOBAL__N_19CustomMinEEEEE10hipError_tPvRmT0_T1_jT2_SS_T4_T3_P12ihipStream_tbEUlT_E_NS1_11comp_targetILNS1_3genE4ELNS1_11target_archE910ELNS1_3gpuE8ELNS1_3repE0EEENS1_30default_config_static_selectorELNS0_4arch9wavefront6targetE0EEEvSR_.kd
    .uniform_work_group_size: 1
    .uses_dynamic_stack: false
    .vgpr_count:     0
    .vgpr_spill_count: 0
    .wavefront_size: 32
    .workgroup_processor_mode: 1
  - .args:
      - .offset:         0
        .size:           48
        .value_kind:     by_value
    .group_segment_fixed_size: 0
    .kernarg_segment_align: 8
    .kernarg_segment_size: 48
    .language:       OpenCL C
    .language_version:
      - 2
      - 0
    .max_flat_workgroup_size: 256
    .name:           _ZN7rocprim17ROCPRIM_400000_NS6detail17trampoline_kernelINS0_14default_configENS1_32segmented_reduce_config_selectorIN3c104HalfEEEZNS1_21segmented_reduce_implIS3_PKS6_PS6_PKlS6_N6hipcub16HIPCUB_304000_NS6detail27convert_result_type_wrapperISA_SB_N2at6native12_GLOBAL__N_19CustomMinEEEEE10hipError_tPvRmT0_T1_jT2_SS_T4_T3_P12ihipStream_tbEUlT_E_NS1_11comp_targetILNS1_3genE3ELNS1_11target_archE908ELNS1_3gpuE7ELNS1_3repE0EEENS1_30default_config_static_selectorELNS0_4arch9wavefront6targetE0EEEvSR_
    .private_segment_fixed_size: 0
    .sgpr_count:     0
    .sgpr_spill_count: 0
    .symbol:         _ZN7rocprim17ROCPRIM_400000_NS6detail17trampoline_kernelINS0_14default_configENS1_32segmented_reduce_config_selectorIN3c104HalfEEEZNS1_21segmented_reduce_implIS3_PKS6_PS6_PKlS6_N6hipcub16HIPCUB_304000_NS6detail27convert_result_type_wrapperISA_SB_N2at6native12_GLOBAL__N_19CustomMinEEEEE10hipError_tPvRmT0_T1_jT2_SS_T4_T3_P12ihipStream_tbEUlT_E_NS1_11comp_targetILNS1_3genE3ELNS1_11target_archE908ELNS1_3gpuE7ELNS1_3repE0EEENS1_30default_config_static_selectorELNS0_4arch9wavefront6targetE0EEEvSR_.kd
    .uniform_work_group_size: 1
    .uses_dynamic_stack: false
    .vgpr_count:     0
    .vgpr_spill_count: 0
    .wavefront_size: 32
    .workgroup_processor_mode: 1
  - .args:
      - .offset:         0
        .size:           48
        .value_kind:     by_value
    .group_segment_fixed_size: 0
    .kernarg_segment_align: 8
    .kernarg_segment_size: 48
    .language:       OpenCL C
    .language_version:
      - 2
      - 0
    .max_flat_workgroup_size: 256
    .name:           _ZN7rocprim17ROCPRIM_400000_NS6detail17trampoline_kernelINS0_14default_configENS1_32segmented_reduce_config_selectorIN3c104HalfEEEZNS1_21segmented_reduce_implIS3_PKS6_PS6_PKlS6_N6hipcub16HIPCUB_304000_NS6detail27convert_result_type_wrapperISA_SB_N2at6native12_GLOBAL__N_19CustomMinEEEEE10hipError_tPvRmT0_T1_jT2_SS_T4_T3_P12ihipStream_tbEUlT_E_NS1_11comp_targetILNS1_3genE2ELNS1_11target_archE906ELNS1_3gpuE6ELNS1_3repE0EEENS1_30default_config_static_selectorELNS0_4arch9wavefront6targetE0EEEvSR_
    .private_segment_fixed_size: 0
    .sgpr_count:     0
    .sgpr_spill_count: 0
    .symbol:         _ZN7rocprim17ROCPRIM_400000_NS6detail17trampoline_kernelINS0_14default_configENS1_32segmented_reduce_config_selectorIN3c104HalfEEEZNS1_21segmented_reduce_implIS3_PKS6_PS6_PKlS6_N6hipcub16HIPCUB_304000_NS6detail27convert_result_type_wrapperISA_SB_N2at6native12_GLOBAL__N_19CustomMinEEEEE10hipError_tPvRmT0_T1_jT2_SS_T4_T3_P12ihipStream_tbEUlT_E_NS1_11comp_targetILNS1_3genE2ELNS1_11target_archE906ELNS1_3gpuE6ELNS1_3repE0EEENS1_30default_config_static_selectorELNS0_4arch9wavefront6targetE0EEEvSR_.kd
    .uniform_work_group_size: 1
    .uses_dynamic_stack: false
    .vgpr_count:     0
    .vgpr_spill_count: 0
    .wavefront_size: 32
    .workgroup_processor_mode: 1
  - .args:
      - .offset:         0
        .size:           48
        .value_kind:     by_value
    .group_segment_fixed_size: 16
    .kernarg_segment_align: 8
    .kernarg_segment_size: 48
    .language:       OpenCL C
    .language_version:
      - 2
      - 0
    .max_flat_workgroup_size: 256
    .name:           _ZN7rocprim17ROCPRIM_400000_NS6detail17trampoline_kernelINS0_14default_configENS1_32segmented_reduce_config_selectorIN3c104HalfEEEZNS1_21segmented_reduce_implIS3_PKS6_PS6_PKlS6_N6hipcub16HIPCUB_304000_NS6detail27convert_result_type_wrapperISA_SB_N2at6native12_GLOBAL__N_19CustomMinEEEEE10hipError_tPvRmT0_T1_jT2_SS_T4_T3_P12ihipStream_tbEUlT_E_NS1_11comp_targetILNS1_3genE9ELNS1_11target_archE1100ELNS1_3gpuE3ELNS1_3repE0EEENS1_30default_config_static_selectorELNS0_4arch9wavefront6targetE0EEEvSR_
    .private_segment_fixed_size: 0
    .sgpr_count:     36
    .sgpr_spill_count: 0
    .symbol:         _ZN7rocprim17ROCPRIM_400000_NS6detail17trampoline_kernelINS0_14default_configENS1_32segmented_reduce_config_selectorIN3c104HalfEEEZNS1_21segmented_reduce_implIS3_PKS6_PS6_PKlS6_N6hipcub16HIPCUB_304000_NS6detail27convert_result_type_wrapperISA_SB_N2at6native12_GLOBAL__N_19CustomMinEEEEE10hipError_tPvRmT0_T1_jT2_SS_T4_T3_P12ihipStream_tbEUlT_E_NS1_11comp_targetILNS1_3genE9ELNS1_11target_archE1100ELNS1_3gpuE3ELNS1_3repE0EEENS1_30default_config_static_selectorELNS0_4arch9wavefront6targetE0EEEvSR_.kd
    .uniform_work_group_size: 1
    .uses_dynamic_stack: false
    .vgpr_count:     23
    .vgpr_spill_count: 0
    .wavefront_size: 32
    .workgroup_processor_mode: 1
  - .args:
      - .offset:         0
        .size:           48
        .value_kind:     by_value
    .group_segment_fixed_size: 0
    .kernarg_segment_align: 8
    .kernarg_segment_size: 48
    .language:       OpenCL C
    .language_version:
      - 2
      - 0
    .max_flat_workgroup_size: 256
    .name:           _ZN7rocprim17ROCPRIM_400000_NS6detail17trampoline_kernelINS0_14default_configENS1_32segmented_reduce_config_selectorIN3c104HalfEEEZNS1_21segmented_reduce_implIS3_PKS6_PS6_PKlS6_N6hipcub16HIPCUB_304000_NS6detail27convert_result_type_wrapperISA_SB_N2at6native12_GLOBAL__N_19CustomMinEEEEE10hipError_tPvRmT0_T1_jT2_SS_T4_T3_P12ihipStream_tbEUlT_E_NS1_11comp_targetILNS1_3genE8ELNS1_11target_archE1030ELNS1_3gpuE2ELNS1_3repE0EEENS1_30default_config_static_selectorELNS0_4arch9wavefront6targetE0EEEvSR_
    .private_segment_fixed_size: 0
    .sgpr_count:     0
    .sgpr_spill_count: 0
    .symbol:         _ZN7rocprim17ROCPRIM_400000_NS6detail17trampoline_kernelINS0_14default_configENS1_32segmented_reduce_config_selectorIN3c104HalfEEEZNS1_21segmented_reduce_implIS3_PKS6_PS6_PKlS6_N6hipcub16HIPCUB_304000_NS6detail27convert_result_type_wrapperISA_SB_N2at6native12_GLOBAL__N_19CustomMinEEEEE10hipError_tPvRmT0_T1_jT2_SS_T4_T3_P12ihipStream_tbEUlT_E_NS1_11comp_targetILNS1_3genE8ELNS1_11target_archE1030ELNS1_3gpuE2ELNS1_3repE0EEENS1_30default_config_static_selectorELNS0_4arch9wavefront6targetE0EEEvSR_.kd
    .uniform_work_group_size: 1
    .uses_dynamic_stack: false
    .vgpr_count:     0
    .vgpr_spill_count: 0
    .wavefront_size: 32
    .workgroup_processor_mode: 1
  - .args:
      - .offset:         0
        .size:           48
        .value_kind:     by_value
    .group_segment_fixed_size: 0
    .kernarg_segment_align: 8
    .kernarg_segment_size: 48
    .language:       OpenCL C
    .language_version:
      - 2
      - 0
    .max_flat_workgroup_size: 256
    .name:           _ZN7rocprim17ROCPRIM_400000_NS6detail17trampoline_kernelINS0_14default_configENS1_32segmented_reduce_config_selectorIN3c104HalfEEEZNS1_21segmented_reduce_implIS3_PKS6_PS6_PKlS6_N6hipcub16HIPCUB_304000_NS6detail27convert_result_type_wrapperISA_SB_N2at6native12_GLOBAL__N_110CustomProdEEEEE10hipError_tPvRmT0_T1_jT2_SS_T4_T3_P12ihipStream_tbEUlT_E_NS1_11comp_targetILNS1_3genE0ELNS1_11target_archE4294967295ELNS1_3gpuE0ELNS1_3repE0EEENS1_30default_config_static_selectorELNS0_4arch9wavefront6targetE0EEEvSR_
    .private_segment_fixed_size: 0
    .sgpr_count:     0
    .sgpr_spill_count: 0
    .symbol:         _ZN7rocprim17ROCPRIM_400000_NS6detail17trampoline_kernelINS0_14default_configENS1_32segmented_reduce_config_selectorIN3c104HalfEEEZNS1_21segmented_reduce_implIS3_PKS6_PS6_PKlS6_N6hipcub16HIPCUB_304000_NS6detail27convert_result_type_wrapperISA_SB_N2at6native12_GLOBAL__N_110CustomProdEEEEE10hipError_tPvRmT0_T1_jT2_SS_T4_T3_P12ihipStream_tbEUlT_E_NS1_11comp_targetILNS1_3genE0ELNS1_11target_archE4294967295ELNS1_3gpuE0ELNS1_3repE0EEENS1_30default_config_static_selectorELNS0_4arch9wavefront6targetE0EEEvSR_.kd
    .uniform_work_group_size: 1
    .uses_dynamic_stack: false
    .vgpr_count:     0
    .vgpr_spill_count: 0
    .wavefront_size: 32
    .workgroup_processor_mode: 1
  - .args:
      - .offset:         0
        .size:           48
        .value_kind:     by_value
    .group_segment_fixed_size: 0
    .kernarg_segment_align: 8
    .kernarg_segment_size: 48
    .language:       OpenCL C
    .language_version:
      - 2
      - 0
    .max_flat_workgroup_size: 256
    .name:           _ZN7rocprim17ROCPRIM_400000_NS6detail17trampoline_kernelINS0_14default_configENS1_32segmented_reduce_config_selectorIN3c104HalfEEEZNS1_21segmented_reduce_implIS3_PKS6_PS6_PKlS6_N6hipcub16HIPCUB_304000_NS6detail27convert_result_type_wrapperISA_SB_N2at6native12_GLOBAL__N_110CustomProdEEEEE10hipError_tPvRmT0_T1_jT2_SS_T4_T3_P12ihipStream_tbEUlT_E_NS1_11comp_targetILNS1_3genE5ELNS1_11target_archE942ELNS1_3gpuE9ELNS1_3repE0EEENS1_30default_config_static_selectorELNS0_4arch9wavefront6targetE0EEEvSR_
    .private_segment_fixed_size: 0
    .sgpr_count:     0
    .sgpr_spill_count: 0
    .symbol:         _ZN7rocprim17ROCPRIM_400000_NS6detail17trampoline_kernelINS0_14default_configENS1_32segmented_reduce_config_selectorIN3c104HalfEEEZNS1_21segmented_reduce_implIS3_PKS6_PS6_PKlS6_N6hipcub16HIPCUB_304000_NS6detail27convert_result_type_wrapperISA_SB_N2at6native12_GLOBAL__N_110CustomProdEEEEE10hipError_tPvRmT0_T1_jT2_SS_T4_T3_P12ihipStream_tbEUlT_E_NS1_11comp_targetILNS1_3genE5ELNS1_11target_archE942ELNS1_3gpuE9ELNS1_3repE0EEENS1_30default_config_static_selectorELNS0_4arch9wavefront6targetE0EEEvSR_.kd
    .uniform_work_group_size: 1
    .uses_dynamic_stack: false
    .vgpr_count:     0
    .vgpr_spill_count: 0
    .wavefront_size: 32
    .workgroup_processor_mode: 1
  - .args:
      - .offset:         0
        .size:           48
        .value_kind:     by_value
    .group_segment_fixed_size: 0
    .kernarg_segment_align: 8
    .kernarg_segment_size: 48
    .language:       OpenCL C
    .language_version:
      - 2
      - 0
    .max_flat_workgroup_size: 256
    .name:           _ZN7rocprim17ROCPRIM_400000_NS6detail17trampoline_kernelINS0_14default_configENS1_32segmented_reduce_config_selectorIN3c104HalfEEEZNS1_21segmented_reduce_implIS3_PKS6_PS6_PKlS6_N6hipcub16HIPCUB_304000_NS6detail27convert_result_type_wrapperISA_SB_N2at6native12_GLOBAL__N_110CustomProdEEEEE10hipError_tPvRmT0_T1_jT2_SS_T4_T3_P12ihipStream_tbEUlT_E_NS1_11comp_targetILNS1_3genE10ELNS1_11target_archE1201ELNS1_3gpuE5ELNS1_3repE0EEENS1_30default_config_static_selectorELNS0_4arch9wavefront6targetE0EEEvSR_
    .private_segment_fixed_size: 0
    .sgpr_count:     0
    .sgpr_spill_count: 0
    .symbol:         _ZN7rocprim17ROCPRIM_400000_NS6detail17trampoline_kernelINS0_14default_configENS1_32segmented_reduce_config_selectorIN3c104HalfEEEZNS1_21segmented_reduce_implIS3_PKS6_PS6_PKlS6_N6hipcub16HIPCUB_304000_NS6detail27convert_result_type_wrapperISA_SB_N2at6native12_GLOBAL__N_110CustomProdEEEEE10hipError_tPvRmT0_T1_jT2_SS_T4_T3_P12ihipStream_tbEUlT_E_NS1_11comp_targetILNS1_3genE10ELNS1_11target_archE1201ELNS1_3gpuE5ELNS1_3repE0EEENS1_30default_config_static_selectorELNS0_4arch9wavefront6targetE0EEEvSR_.kd
    .uniform_work_group_size: 1
    .uses_dynamic_stack: false
    .vgpr_count:     0
    .vgpr_spill_count: 0
    .wavefront_size: 32
    .workgroup_processor_mode: 1
  - .args:
      - .offset:         0
        .size:           48
        .value_kind:     by_value
    .group_segment_fixed_size: 0
    .kernarg_segment_align: 8
    .kernarg_segment_size: 48
    .language:       OpenCL C
    .language_version:
      - 2
      - 0
    .max_flat_workgroup_size: 256
    .name:           _ZN7rocprim17ROCPRIM_400000_NS6detail17trampoline_kernelINS0_14default_configENS1_32segmented_reduce_config_selectorIN3c104HalfEEEZNS1_21segmented_reduce_implIS3_PKS6_PS6_PKlS6_N6hipcub16HIPCUB_304000_NS6detail27convert_result_type_wrapperISA_SB_N2at6native12_GLOBAL__N_110CustomProdEEEEE10hipError_tPvRmT0_T1_jT2_SS_T4_T3_P12ihipStream_tbEUlT_E_NS1_11comp_targetILNS1_3genE4ELNS1_11target_archE910ELNS1_3gpuE8ELNS1_3repE0EEENS1_30default_config_static_selectorELNS0_4arch9wavefront6targetE0EEEvSR_
    .private_segment_fixed_size: 0
    .sgpr_count:     0
    .sgpr_spill_count: 0
    .symbol:         _ZN7rocprim17ROCPRIM_400000_NS6detail17trampoline_kernelINS0_14default_configENS1_32segmented_reduce_config_selectorIN3c104HalfEEEZNS1_21segmented_reduce_implIS3_PKS6_PS6_PKlS6_N6hipcub16HIPCUB_304000_NS6detail27convert_result_type_wrapperISA_SB_N2at6native12_GLOBAL__N_110CustomProdEEEEE10hipError_tPvRmT0_T1_jT2_SS_T4_T3_P12ihipStream_tbEUlT_E_NS1_11comp_targetILNS1_3genE4ELNS1_11target_archE910ELNS1_3gpuE8ELNS1_3repE0EEENS1_30default_config_static_selectorELNS0_4arch9wavefront6targetE0EEEvSR_.kd
    .uniform_work_group_size: 1
    .uses_dynamic_stack: false
    .vgpr_count:     0
    .vgpr_spill_count: 0
    .wavefront_size: 32
    .workgroup_processor_mode: 1
  - .args:
      - .offset:         0
        .size:           48
        .value_kind:     by_value
    .group_segment_fixed_size: 0
    .kernarg_segment_align: 8
    .kernarg_segment_size: 48
    .language:       OpenCL C
    .language_version:
      - 2
      - 0
    .max_flat_workgroup_size: 256
    .name:           _ZN7rocprim17ROCPRIM_400000_NS6detail17trampoline_kernelINS0_14default_configENS1_32segmented_reduce_config_selectorIN3c104HalfEEEZNS1_21segmented_reduce_implIS3_PKS6_PS6_PKlS6_N6hipcub16HIPCUB_304000_NS6detail27convert_result_type_wrapperISA_SB_N2at6native12_GLOBAL__N_110CustomProdEEEEE10hipError_tPvRmT0_T1_jT2_SS_T4_T3_P12ihipStream_tbEUlT_E_NS1_11comp_targetILNS1_3genE3ELNS1_11target_archE908ELNS1_3gpuE7ELNS1_3repE0EEENS1_30default_config_static_selectorELNS0_4arch9wavefront6targetE0EEEvSR_
    .private_segment_fixed_size: 0
    .sgpr_count:     0
    .sgpr_spill_count: 0
    .symbol:         _ZN7rocprim17ROCPRIM_400000_NS6detail17trampoline_kernelINS0_14default_configENS1_32segmented_reduce_config_selectorIN3c104HalfEEEZNS1_21segmented_reduce_implIS3_PKS6_PS6_PKlS6_N6hipcub16HIPCUB_304000_NS6detail27convert_result_type_wrapperISA_SB_N2at6native12_GLOBAL__N_110CustomProdEEEEE10hipError_tPvRmT0_T1_jT2_SS_T4_T3_P12ihipStream_tbEUlT_E_NS1_11comp_targetILNS1_3genE3ELNS1_11target_archE908ELNS1_3gpuE7ELNS1_3repE0EEENS1_30default_config_static_selectorELNS0_4arch9wavefront6targetE0EEEvSR_.kd
    .uniform_work_group_size: 1
    .uses_dynamic_stack: false
    .vgpr_count:     0
    .vgpr_spill_count: 0
    .wavefront_size: 32
    .workgroup_processor_mode: 1
  - .args:
      - .offset:         0
        .size:           48
        .value_kind:     by_value
    .group_segment_fixed_size: 0
    .kernarg_segment_align: 8
    .kernarg_segment_size: 48
    .language:       OpenCL C
    .language_version:
      - 2
      - 0
    .max_flat_workgroup_size: 256
    .name:           _ZN7rocprim17ROCPRIM_400000_NS6detail17trampoline_kernelINS0_14default_configENS1_32segmented_reduce_config_selectorIN3c104HalfEEEZNS1_21segmented_reduce_implIS3_PKS6_PS6_PKlS6_N6hipcub16HIPCUB_304000_NS6detail27convert_result_type_wrapperISA_SB_N2at6native12_GLOBAL__N_110CustomProdEEEEE10hipError_tPvRmT0_T1_jT2_SS_T4_T3_P12ihipStream_tbEUlT_E_NS1_11comp_targetILNS1_3genE2ELNS1_11target_archE906ELNS1_3gpuE6ELNS1_3repE0EEENS1_30default_config_static_selectorELNS0_4arch9wavefront6targetE0EEEvSR_
    .private_segment_fixed_size: 0
    .sgpr_count:     0
    .sgpr_spill_count: 0
    .symbol:         _ZN7rocprim17ROCPRIM_400000_NS6detail17trampoline_kernelINS0_14default_configENS1_32segmented_reduce_config_selectorIN3c104HalfEEEZNS1_21segmented_reduce_implIS3_PKS6_PS6_PKlS6_N6hipcub16HIPCUB_304000_NS6detail27convert_result_type_wrapperISA_SB_N2at6native12_GLOBAL__N_110CustomProdEEEEE10hipError_tPvRmT0_T1_jT2_SS_T4_T3_P12ihipStream_tbEUlT_E_NS1_11comp_targetILNS1_3genE2ELNS1_11target_archE906ELNS1_3gpuE6ELNS1_3repE0EEENS1_30default_config_static_selectorELNS0_4arch9wavefront6targetE0EEEvSR_.kd
    .uniform_work_group_size: 1
    .uses_dynamic_stack: false
    .vgpr_count:     0
    .vgpr_spill_count: 0
    .wavefront_size: 32
    .workgroup_processor_mode: 1
  - .args:
      - .offset:         0
        .size:           48
        .value_kind:     by_value
    .group_segment_fixed_size: 16
    .kernarg_segment_align: 8
    .kernarg_segment_size: 48
    .language:       OpenCL C
    .language_version:
      - 2
      - 0
    .max_flat_workgroup_size: 256
    .name:           _ZN7rocprim17ROCPRIM_400000_NS6detail17trampoline_kernelINS0_14default_configENS1_32segmented_reduce_config_selectorIN3c104HalfEEEZNS1_21segmented_reduce_implIS3_PKS6_PS6_PKlS6_N6hipcub16HIPCUB_304000_NS6detail27convert_result_type_wrapperISA_SB_N2at6native12_GLOBAL__N_110CustomProdEEEEE10hipError_tPvRmT0_T1_jT2_SS_T4_T3_P12ihipStream_tbEUlT_E_NS1_11comp_targetILNS1_3genE9ELNS1_11target_archE1100ELNS1_3gpuE3ELNS1_3repE0EEENS1_30default_config_static_selectorELNS0_4arch9wavefront6targetE0EEEvSR_
    .private_segment_fixed_size: 0
    .sgpr_count:     31
    .sgpr_spill_count: 0
    .symbol:         _ZN7rocprim17ROCPRIM_400000_NS6detail17trampoline_kernelINS0_14default_configENS1_32segmented_reduce_config_selectorIN3c104HalfEEEZNS1_21segmented_reduce_implIS3_PKS6_PS6_PKlS6_N6hipcub16HIPCUB_304000_NS6detail27convert_result_type_wrapperISA_SB_N2at6native12_GLOBAL__N_110CustomProdEEEEE10hipError_tPvRmT0_T1_jT2_SS_T4_T3_P12ihipStream_tbEUlT_E_NS1_11comp_targetILNS1_3genE9ELNS1_11target_archE1100ELNS1_3gpuE3ELNS1_3repE0EEENS1_30default_config_static_selectorELNS0_4arch9wavefront6targetE0EEEvSR_.kd
    .uniform_work_group_size: 1
    .uses_dynamic_stack: false
    .vgpr_count:     23
    .vgpr_spill_count: 0
    .wavefront_size: 32
    .workgroup_processor_mode: 1
  - .args:
      - .offset:         0
        .size:           48
        .value_kind:     by_value
    .group_segment_fixed_size: 0
    .kernarg_segment_align: 8
    .kernarg_segment_size: 48
    .language:       OpenCL C
    .language_version:
      - 2
      - 0
    .max_flat_workgroup_size: 256
    .name:           _ZN7rocprim17ROCPRIM_400000_NS6detail17trampoline_kernelINS0_14default_configENS1_32segmented_reduce_config_selectorIN3c104HalfEEEZNS1_21segmented_reduce_implIS3_PKS6_PS6_PKlS6_N6hipcub16HIPCUB_304000_NS6detail27convert_result_type_wrapperISA_SB_N2at6native12_GLOBAL__N_110CustomProdEEEEE10hipError_tPvRmT0_T1_jT2_SS_T4_T3_P12ihipStream_tbEUlT_E_NS1_11comp_targetILNS1_3genE8ELNS1_11target_archE1030ELNS1_3gpuE2ELNS1_3repE0EEENS1_30default_config_static_selectorELNS0_4arch9wavefront6targetE0EEEvSR_
    .private_segment_fixed_size: 0
    .sgpr_count:     0
    .sgpr_spill_count: 0
    .symbol:         _ZN7rocprim17ROCPRIM_400000_NS6detail17trampoline_kernelINS0_14default_configENS1_32segmented_reduce_config_selectorIN3c104HalfEEEZNS1_21segmented_reduce_implIS3_PKS6_PS6_PKlS6_N6hipcub16HIPCUB_304000_NS6detail27convert_result_type_wrapperISA_SB_N2at6native12_GLOBAL__N_110CustomProdEEEEE10hipError_tPvRmT0_T1_jT2_SS_T4_T3_P12ihipStream_tbEUlT_E_NS1_11comp_targetILNS1_3genE8ELNS1_11target_archE1030ELNS1_3gpuE2ELNS1_3repE0EEENS1_30default_config_static_selectorELNS0_4arch9wavefront6targetE0EEEvSR_.kd
    .uniform_work_group_size: 1
    .uses_dynamic_stack: false
    .vgpr_count:     0
    .vgpr_spill_count: 0
    .wavefront_size: 32
    .workgroup_processor_mode: 1
  - .args:
      - .offset:         0
        .size:           4
        .value_kind:     by_value
      - .address_space:  global
        .offset:         8
        .size:           8
        .value_kind:     global_buffer
      - .address_space:  global
        .offset:         16
        .size:           8
        .value_kind:     global_buffer
      - .address_space:  global
        .offset:         24
        .size:           8
        .value_kind:     global_buffer
      - .address_space:  global
        .offset:         32
        .size:           8
        .value_kind:     global_buffer
      - .offset:         40
        .size:           8
        .value_kind:     by_value
      - .offset:         48
        .size:           8
        .value_kind:     by_value
      - .offset:         56
        .size:           1
        .value_kind:     by_value
      - .offset:         58
        .size:           2
        .value_kind:     by_value
      - .offset:         64
        .size:           8
        .value_kind:     by_value
      - .offset:         72
        .size:           8
        .value_kind:     by_value
      - .offset:         80
        .size:           8
        .value_kind:     by_value
      - .offset:         88
        .size:           8
        .value_kind:     by_value
      - .offset:         96
        .size:           8
        .value_kind:     by_value
      - .offset:         104
        .size:           8
        .value_kind:     by_value
      - .offset:         112
        .size:           8
        .value_kind:     by_value
      - .offset:         120
        .size:           4
        .value_kind:     hidden_block_count_x
      - .offset:         124
        .size:           4
        .value_kind:     hidden_block_count_y
      - .offset:         128
        .size:           4
        .value_kind:     hidden_block_count_z
      - .offset:         132
        .size:           2
        .value_kind:     hidden_group_size_x
      - .offset:         134
        .size:           2
        .value_kind:     hidden_group_size_y
      - .offset:         136
        .size:           2
        .value_kind:     hidden_group_size_z
      - .offset:         138
        .size:           2
        .value_kind:     hidden_remainder_x
      - .offset:         140
        .size:           2
        .value_kind:     hidden_remainder_y
      - .offset:         142
        .size:           2
        .value_kind:     hidden_remainder_z
      - .offset:         160
        .size:           8
        .value_kind:     hidden_global_offset_x
      - .offset:         168
        .size:           8
        .value_kind:     hidden_global_offset_y
      - .offset:         176
        .size:           8
        .value_kind:     hidden_global_offset_z
      - .offset:         184
        .size:           2
        .value_kind:     hidden_grid_dims
    .group_segment_fixed_size: 0
    .kernarg_segment_align: 8
    .kernarg_segment_size: 376
    .language:       OpenCL C
    .language_version:
      - 2
      - 0
    .max_flat_workgroup_size: 1024
    .name:           _ZN2at6native12_GLOBAL__N_129segment_reduce_forward_kernelIN3c108BFloat16ElEEvNS0_13ReductionTypeEPT_PKS6_PKT0_SC_llbS6_lllllll
    .private_segment_fixed_size: 0
    .sgpr_count:     34
    .sgpr_spill_count: 0
    .symbol:         _ZN2at6native12_GLOBAL__N_129segment_reduce_forward_kernelIN3c108BFloat16ElEEvNS0_13ReductionTypeEPT_PKS6_PKT0_SC_llbS6_lllllll.kd
    .uniform_work_group_size: 1
    .uses_dynamic_stack: false
    .vgpr_count:     24
    .vgpr_spill_count: 0
    .wavefront_size: 32
    .workgroup_processor_mode: 1
  - .args:
      - .offset:         0
        .size:           48
        .value_kind:     by_value
    .group_segment_fixed_size: 0
    .kernarg_segment_align: 8
    .kernarg_segment_size: 48
    .language:       OpenCL C
    .language_version:
      - 2
      - 0
    .max_flat_workgroup_size: 256
    .name:           _ZN7rocprim17ROCPRIM_400000_NS6detail17trampoline_kernelINS0_14default_configENS1_32segmented_reduce_config_selectorIN3c108BFloat16EEEZNS1_21segmented_reduce_implIS3_PKS6_PS6_PKlS6_N6hipcub16HIPCUB_304000_NS6detail27convert_result_type_wrapperISA_SB_N2at6native12_GLOBAL__N_19CustomMaxEEEEE10hipError_tPvRmT0_T1_jT2_SS_T4_T3_P12ihipStream_tbEUlT_E_NS1_11comp_targetILNS1_3genE0ELNS1_11target_archE4294967295ELNS1_3gpuE0ELNS1_3repE0EEENS1_30default_config_static_selectorELNS0_4arch9wavefront6targetE0EEEvSR_
    .private_segment_fixed_size: 0
    .sgpr_count:     0
    .sgpr_spill_count: 0
    .symbol:         _ZN7rocprim17ROCPRIM_400000_NS6detail17trampoline_kernelINS0_14default_configENS1_32segmented_reduce_config_selectorIN3c108BFloat16EEEZNS1_21segmented_reduce_implIS3_PKS6_PS6_PKlS6_N6hipcub16HIPCUB_304000_NS6detail27convert_result_type_wrapperISA_SB_N2at6native12_GLOBAL__N_19CustomMaxEEEEE10hipError_tPvRmT0_T1_jT2_SS_T4_T3_P12ihipStream_tbEUlT_E_NS1_11comp_targetILNS1_3genE0ELNS1_11target_archE4294967295ELNS1_3gpuE0ELNS1_3repE0EEENS1_30default_config_static_selectorELNS0_4arch9wavefront6targetE0EEEvSR_.kd
    .uniform_work_group_size: 1
    .uses_dynamic_stack: false
    .vgpr_count:     0
    .vgpr_spill_count: 0
    .wavefront_size: 32
    .workgroup_processor_mode: 1
  - .args:
      - .offset:         0
        .size:           48
        .value_kind:     by_value
    .group_segment_fixed_size: 0
    .kernarg_segment_align: 8
    .kernarg_segment_size: 48
    .language:       OpenCL C
    .language_version:
      - 2
      - 0
    .max_flat_workgroup_size: 256
    .name:           _ZN7rocprim17ROCPRIM_400000_NS6detail17trampoline_kernelINS0_14default_configENS1_32segmented_reduce_config_selectorIN3c108BFloat16EEEZNS1_21segmented_reduce_implIS3_PKS6_PS6_PKlS6_N6hipcub16HIPCUB_304000_NS6detail27convert_result_type_wrapperISA_SB_N2at6native12_GLOBAL__N_19CustomMaxEEEEE10hipError_tPvRmT0_T1_jT2_SS_T4_T3_P12ihipStream_tbEUlT_E_NS1_11comp_targetILNS1_3genE5ELNS1_11target_archE942ELNS1_3gpuE9ELNS1_3repE0EEENS1_30default_config_static_selectorELNS0_4arch9wavefront6targetE0EEEvSR_
    .private_segment_fixed_size: 0
    .sgpr_count:     0
    .sgpr_spill_count: 0
    .symbol:         _ZN7rocprim17ROCPRIM_400000_NS6detail17trampoline_kernelINS0_14default_configENS1_32segmented_reduce_config_selectorIN3c108BFloat16EEEZNS1_21segmented_reduce_implIS3_PKS6_PS6_PKlS6_N6hipcub16HIPCUB_304000_NS6detail27convert_result_type_wrapperISA_SB_N2at6native12_GLOBAL__N_19CustomMaxEEEEE10hipError_tPvRmT0_T1_jT2_SS_T4_T3_P12ihipStream_tbEUlT_E_NS1_11comp_targetILNS1_3genE5ELNS1_11target_archE942ELNS1_3gpuE9ELNS1_3repE0EEENS1_30default_config_static_selectorELNS0_4arch9wavefront6targetE0EEEvSR_.kd
    .uniform_work_group_size: 1
    .uses_dynamic_stack: false
    .vgpr_count:     0
    .vgpr_spill_count: 0
    .wavefront_size: 32
    .workgroup_processor_mode: 1
  - .args:
      - .offset:         0
        .size:           48
        .value_kind:     by_value
    .group_segment_fixed_size: 0
    .kernarg_segment_align: 8
    .kernarg_segment_size: 48
    .language:       OpenCL C
    .language_version:
      - 2
      - 0
    .max_flat_workgroup_size: 256
    .name:           _ZN7rocprim17ROCPRIM_400000_NS6detail17trampoline_kernelINS0_14default_configENS1_32segmented_reduce_config_selectorIN3c108BFloat16EEEZNS1_21segmented_reduce_implIS3_PKS6_PS6_PKlS6_N6hipcub16HIPCUB_304000_NS6detail27convert_result_type_wrapperISA_SB_N2at6native12_GLOBAL__N_19CustomMaxEEEEE10hipError_tPvRmT0_T1_jT2_SS_T4_T3_P12ihipStream_tbEUlT_E_NS1_11comp_targetILNS1_3genE10ELNS1_11target_archE1201ELNS1_3gpuE5ELNS1_3repE0EEENS1_30default_config_static_selectorELNS0_4arch9wavefront6targetE0EEEvSR_
    .private_segment_fixed_size: 0
    .sgpr_count:     0
    .sgpr_spill_count: 0
    .symbol:         _ZN7rocprim17ROCPRIM_400000_NS6detail17trampoline_kernelINS0_14default_configENS1_32segmented_reduce_config_selectorIN3c108BFloat16EEEZNS1_21segmented_reduce_implIS3_PKS6_PS6_PKlS6_N6hipcub16HIPCUB_304000_NS6detail27convert_result_type_wrapperISA_SB_N2at6native12_GLOBAL__N_19CustomMaxEEEEE10hipError_tPvRmT0_T1_jT2_SS_T4_T3_P12ihipStream_tbEUlT_E_NS1_11comp_targetILNS1_3genE10ELNS1_11target_archE1201ELNS1_3gpuE5ELNS1_3repE0EEENS1_30default_config_static_selectorELNS0_4arch9wavefront6targetE0EEEvSR_.kd
    .uniform_work_group_size: 1
    .uses_dynamic_stack: false
    .vgpr_count:     0
    .vgpr_spill_count: 0
    .wavefront_size: 32
    .workgroup_processor_mode: 1
  - .args:
      - .offset:         0
        .size:           48
        .value_kind:     by_value
    .group_segment_fixed_size: 0
    .kernarg_segment_align: 8
    .kernarg_segment_size: 48
    .language:       OpenCL C
    .language_version:
      - 2
      - 0
    .max_flat_workgroup_size: 256
    .name:           _ZN7rocprim17ROCPRIM_400000_NS6detail17trampoline_kernelINS0_14default_configENS1_32segmented_reduce_config_selectorIN3c108BFloat16EEEZNS1_21segmented_reduce_implIS3_PKS6_PS6_PKlS6_N6hipcub16HIPCUB_304000_NS6detail27convert_result_type_wrapperISA_SB_N2at6native12_GLOBAL__N_19CustomMaxEEEEE10hipError_tPvRmT0_T1_jT2_SS_T4_T3_P12ihipStream_tbEUlT_E_NS1_11comp_targetILNS1_3genE4ELNS1_11target_archE910ELNS1_3gpuE8ELNS1_3repE0EEENS1_30default_config_static_selectorELNS0_4arch9wavefront6targetE0EEEvSR_
    .private_segment_fixed_size: 0
    .sgpr_count:     0
    .sgpr_spill_count: 0
    .symbol:         _ZN7rocprim17ROCPRIM_400000_NS6detail17trampoline_kernelINS0_14default_configENS1_32segmented_reduce_config_selectorIN3c108BFloat16EEEZNS1_21segmented_reduce_implIS3_PKS6_PS6_PKlS6_N6hipcub16HIPCUB_304000_NS6detail27convert_result_type_wrapperISA_SB_N2at6native12_GLOBAL__N_19CustomMaxEEEEE10hipError_tPvRmT0_T1_jT2_SS_T4_T3_P12ihipStream_tbEUlT_E_NS1_11comp_targetILNS1_3genE4ELNS1_11target_archE910ELNS1_3gpuE8ELNS1_3repE0EEENS1_30default_config_static_selectorELNS0_4arch9wavefront6targetE0EEEvSR_.kd
    .uniform_work_group_size: 1
    .uses_dynamic_stack: false
    .vgpr_count:     0
    .vgpr_spill_count: 0
    .wavefront_size: 32
    .workgroup_processor_mode: 1
  - .args:
      - .offset:         0
        .size:           48
        .value_kind:     by_value
    .group_segment_fixed_size: 0
    .kernarg_segment_align: 8
    .kernarg_segment_size: 48
    .language:       OpenCL C
    .language_version:
      - 2
      - 0
    .max_flat_workgroup_size: 256
    .name:           _ZN7rocprim17ROCPRIM_400000_NS6detail17trampoline_kernelINS0_14default_configENS1_32segmented_reduce_config_selectorIN3c108BFloat16EEEZNS1_21segmented_reduce_implIS3_PKS6_PS6_PKlS6_N6hipcub16HIPCUB_304000_NS6detail27convert_result_type_wrapperISA_SB_N2at6native12_GLOBAL__N_19CustomMaxEEEEE10hipError_tPvRmT0_T1_jT2_SS_T4_T3_P12ihipStream_tbEUlT_E_NS1_11comp_targetILNS1_3genE3ELNS1_11target_archE908ELNS1_3gpuE7ELNS1_3repE0EEENS1_30default_config_static_selectorELNS0_4arch9wavefront6targetE0EEEvSR_
    .private_segment_fixed_size: 0
    .sgpr_count:     0
    .sgpr_spill_count: 0
    .symbol:         _ZN7rocprim17ROCPRIM_400000_NS6detail17trampoline_kernelINS0_14default_configENS1_32segmented_reduce_config_selectorIN3c108BFloat16EEEZNS1_21segmented_reduce_implIS3_PKS6_PS6_PKlS6_N6hipcub16HIPCUB_304000_NS6detail27convert_result_type_wrapperISA_SB_N2at6native12_GLOBAL__N_19CustomMaxEEEEE10hipError_tPvRmT0_T1_jT2_SS_T4_T3_P12ihipStream_tbEUlT_E_NS1_11comp_targetILNS1_3genE3ELNS1_11target_archE908ELNS1_3gpuE7ELNS1_3repE0EEENS1_30default_config_static_selectorELNS0_4arch9wavefront6targetE0EEEvSR_.kd
    .uniform_work_group_size: 1
    .uses_dynamic_stack: false
    .vgpr_count:     0
    .vgpr_spill_count: 0
    .wavefront_size: 32
    .workgroup_processor_mode: 1
  - .args:
      - .offset:         0
        .size:           48
        .value_kind:     by_value
    .group_segment_fixed_size: 0
    .kernarg_segment_align: 8
    .kernarg_segment_size: 48
    .language:       OpenCL C
    .language_version:
      - 2
      - 0
    .max_flat_workgroup_size: 256
    .name:           _ZN7rocprim17ROCPRIM_400000_NS6detail17trampoline_kernelINS0_14default_configENS1_32segmented_reduce_config_selectorIN3c108BFloat16EEEZNS1_21segmented_reduce_implIS3_PKS6_PS6_PKlS6_N6hipcub16HIPCUB_304000_NS6detail27convert_result_type_wrapperISA_SB_N2at6native12_GLOBAL__N_19CustomMaxEEEEE10hipError_tPvRmT0_T1_jT2_SS_T4_T3_P12ihipStream_tbEUlT_E_NS1_11comp_targetILNS1_3genE2ELNS1_11target_archE906ELNS1_3gpuE6ELNS1_3repE0EEENS1_30default_config_static_selectorELNS0_4arch9wavefront6targetE0EEEvSR_
    .private_segment_fixed_size: 0
    .sgpr_count:     0
    .sgpr_spill_count: 0
    .symbol:         _ZN7rocprim17ROCPRIM_400000_NS6detail17trampoline_kernelINS0_14default_configENS1_32segmented_reduce_config_selectorIN3c108BFloat16EEEZNS1_21segmented_reduce_implIS3_PKS6_PS6_PKlS6_N6hipcub16HIPCUB_304000_NS6detail27convert_result_type_wrapperISA_SB_N2at6native12_GLOBAL__N_19CustomMaxEEEEE10hipError_tPvRmT0_T1_jT2_SS_T4_T3_P12ihipStream_tbEUlT_E_NS1_11comp_targetILNS1_3genE2ELNS1_11target_archE906ELNS1_3gpuE6ELNS1_3repE0EEENS1_30default_config_static_selectorELNS0_4arch9wavefront6targetE0EEEvSR_.kd
    .uniform_work_group_size: 1
    .uses_dynamic_stack: false
    .vgpr_count:     0
    .vgpr_spill_count: 0
    .wavefront_size: 32
    .workgroup_processor_mode: 1
  - .args:
      - .offset:         0
        .size:           48
        .value_kind:     by_value
    .group_segment_fixed_size: 16
    .kernarg_segment_align: 8
    .kernarg_segment_size: 48
    .language:       OpenCL C
    .language_version:
      - 2
      - 0
    .max_flat_workgroup_size: 256
    .name:           _ZN7rocprim17ROCPRIM_400000_NS6detail17trampoline_kernelINS0_14default_configENS1_32segmented_reduce_config_selectorIN3c108BFloat16EEEZNS1_21segmented_reduce_implIS3_PKS6_PS6_PKlS6_N6hipcub16HIPCUB_304000_NS6detail27convert_result_type_wrapperISA_SB_N2at6native12_GLOBAL__N_19CustomMaxEEEEE10hipError_tPvRmT0_T1_jT2_SS_T4_T3_P12ihipStream_tbEUlT_E_NS1_11comp_targetILNS1_3genE9ELNS1_11target_archE1100ELNS1_3gpuE3ELNS1_3repE0EEENS1_30default_config_static_selectorELNS0_4arch9wavefront6targetE0EEEvSR_
    .private_segment_fixed_size: 0
    .sgpr_count:     36
    .sgpr_spill_count: 0
    .symbol:         _ZN7rocprim17ROCPRIM_400000_NS6detail17trampoline_kernelINS0_14default_configENS1_32segmented_reduce_config_selectorIN3c108BFloat16EEEZNS1_21segmented_reduce_implIS3_PKS6_PS6_PKlS6_N6hipcub16HIPCUB_304000_NS6detail27convert_result_type_wrapperISA_SB_N2at6native12_GLOBAL__N_19CustomMaxEEEEE10hipError_tPvRmT0_T1_jT2_SS_T4_T3_P12ihipStream_tbEUlT_E_NS1_11comp_targetILNS1_3genE9ELNS1_11target_archE1100ELNS1_3gpuE3ELNS1_3repE0EEENS1_30default_config_static_selectorELNS0_4arch9wavefront6targetE0EEEvSR_.kd
    .uniform_work_group_size: 1
    .uses_dynamic_stack: false
    .vgpr_count:     24
    .vgpr_spill_count: 0
    .wavefront_size: 32
    .workgroup_processor_mode: 1
  - .args:
      - .offset:         0
        .size:           48
        .value_kind:     by_value
    .group_segment_fixed_size: 0
    .kernarg_segment_align: 8
    .kernarg_segment_size: 48
    .language:       OpenCL C
    .language_version:
      - 2
      - 0
    .max_flat_workgroup_size: 256
    .name:           _ZN7rocprim17ROCPRIM_400000_NS6detail17trampoline_kernelINS0_14default_configENS1_32segmented_reduce_config_selectorIN3c108BFloat16EEEZNS1_21segmented_reduce_implIS3_PKS6_PS6_PKlS6_N6hipcub16HIPCUB_304000_NS6detail27convert_result_type_wrapperISA_SB_N2at6native12_GLOBAL__N_19CustomMaxEEEEE10hipError_tPvRmT0_T1_jT2_SS_T4_T3_P12ihipStream_tbEUlT_E_NS1_11comp_targetILNS1_3genE8ELNS1_11target_archE1030ELNS1_3gpuE2ELNS1_3repE0EEENS1_30default_config_static_selectorELNS0_4arch9wavefront6targetE0EEEvSR_
    .private_segment_fixed_size: 0
    .sgpr_count:     0
    .sgpr_spill_count: 0
    .symbol:         _ZN7rocprim17ROCPRIM_400000_NS6detail17trampoline_kernelINS0_14default_configENS1_32segmented_reduce_config_selectorIN3c108BFloat16EEEZNS1_21segmented_reduce_implIS3_PKS6_PS6_PKlS6_N6hipcub16HIPCUB_304000_NS6detail27convert_result_type_wrapperISA_SB_N2at6native12_GLOBAL__N_19CustomMaxEEEEE10hipError_tPvRmT0_T1_jT2_SS_T4_T3_P12ihipStream_tbEUlT_E_NS1_11comp_targetILNS1_3genE8ELNS1_11target_archE1030ELNS1_3gpuE2ELNS1_3repE0EEENS1_30default_config_static_selectorELNS0_4arch9wavefront6targetE0EEEvSR_.kd
    .uniform_work_group_size: 1
    .uses_dynamic_stack: false
    .vgpr_count:     0
    .vgpr_spill_count: 0
    .wavefront_size: 32
    .workgroup_processor_mode: 1
  - .args:
      - .offset:         0
        .size:           48
        .value_kind:     by_value
    .group_segment_fixed_size: 0
    .kernarg_segment_align: 8
    .kernarg_segment_size: 48
    .language:       OpenCL C
    .language_version:
      - 2
      - 0
    .max_flat_workgroup_size: 256
    .name:           _ZN7rocprim17ROCPRIM_400000_NS6detail17trampoline_kernelINS0_14default_configENS1_32segmented_reduce_config_selectorIN3c108BFloat16EEEZNS1_21segmented_reduce_implIS3_PKS6_PS6_PKlS6_N6hipcub16HIPCUB_304000_NS6detail27convert_result_type_wrapperISA_SB_N2at6native12_GLOBAL__N_19CustomSumEEEEE10hipError_tPvRmT0_T1_jT2_SS_T4_T3_P12ihipStream_tbEUlT_E_NS1_11comp_targetILNS1_3genE0ELNS1_11target_archE4294967295ELNS1_3gpuE0ELNS1_3repE0EEENS1_30default_config_static_selectorELNS0_4arch9wavefront6targetE0EEEvSR_
    .private_segment_fixed_size: 0
    .sgpr_count:     0
    .sgpr_spill_count: 0
    .symbol:         _ZN7rocprim17ROCPRIM_400000_NS6detail17trampoline_kernelINS0_14default_configENS1_32segmented_reduce_config_selectorIN3c108BFloat16EEEZNS1_21segmented_reduce_implIS3_PKS6_PS6_PKlS6_N6hipcub16HIPCUB_304000_NS6detail27convert_result_type_wrapperISA_SB_N2at6native12_GLOBAL__N_19CustomSumEEEEE10hipError_tPvRmT0_T1_jT2_SS_T4_T3_P12ihipStream_tbEUlT_E_NS1_11comp_targetILNS1_3genE0ELNS1_11target_archE4294967295ELNS1_3gpuE0ELNS1_3repE0EEENS1_30default_config_static_selectorELNS0_4arch9wavefront6targetE0EEEvSR_.kd
    .uniform_work_group_size: 1
    .uses_dynamic_stack: false
    .vgpr_count:     0
    .vgpr_spill_count: 0
    .wavefront_size: 32
    .workgroup_processor_mode: 1
  - .args:
      - .offset:         0
        .size:           48
        .value_kind:     by_value
    .group_segment_fixed_size: 0
    .kernarg_segment_align: 8
    .kernarg_segment_size: 48
    .language:       OpenCL C
    .language_version:
      - 2
      - 0
    .max_flat_workgroup_size: 256
    .name:           _ZN7rocprim17ROCPRIM_400000_NS6detail17trampoline_kernelINS0_14default_configENS1_32segmented_reduce_config_selectorIN3c108BFloat16EEEZNS1_21segmented_reduce_implIS3_PKS6_PS6_PKlS6_N6hipcub16HIPCUB_304000_NS6detail27convert_result_type_wrapperISA_SB_N2at6native12_GLOBAL__N_19CustomSumEEEEE10hipError_tPvRmT0_T1_jT2_SS_T4_T3_P12ihipStream_tbEUlT_E_NS1_11comp_targetILNS1_3genE5ELNS1_11target_archE942ELNS1_3gpuE9ELNS1_3repE0EEENS1_30default_config_static_selectorELNS0_4arch9wavefront6targetE0EEEvSR_
    .private_segment_fixed_size: 0
    .sgpr_count:     0
    .sgpr_spill_count: 0
    .symbol:         _ZN7rocprim17ROCPRIM_400000_NS6detail17trampoline_kernelINS0_14default_configENS1_32segmented_reduce_config_selectorIN3c108BFloat16EEEZNS1_21segmented_reduce_implIS3_PKS6_PS6_PKlS6_N6hipcub16HIPCUB_304000_NS6detail27convert_result_type_wrapperISA_SB_N2at6native12_GLOBAL__N_19CustomSumEEEEE10hipError_tPvRmT0_T1_jT2_SS_T4_T3_P12ihipStream_tbEUlT_E_NS1_11comp_targetILNS1_3genE5ELNS1_11target_archE942ELNS1_3gpuE9ELNS1_3repE0EEENS1_30default_config_static_selectorELNS0_4arch9wavefront6targetE0EEEvSR_.kd
    .uniform_work_group_size: 1
    .uses_dynamic_stack: false
    .vgpr_count:     0
    .vgpr_spill_count: 0
    .wavefront_size: 32
    .workgroup_processor_mode: 1
  - .args:
      - .offset:         0
        .size:           48
        .value_kind:     by_value
    .group_segment_fixed_size: 0
    .kernarg_segment_align: 8
    .kernarg_segment_size: 48
    .language:       OpenCL C
    .language_version:
      - 2
      - 0
    .max_flat_workgroup_size: 256
    .name:           _ZN7rocprim17ROCPRIM_400000_NS6detail17trampoline_kernelINS0_14default_configENS1_32segmented_reduce_config_selectorIN3c108BFloat16EEEZNS1_21segmented_reduce_implIS3_PKS6_PS6_PKlS6_N6hipcub16HIPCUB_304000_NS6detail27convert_result_type_wrapperISA_SB_N2at6native12_GLOBAL__N_19CustomSumEEEEE10hipError_tPvRmT0_T1_jT2_SS_T4_T3_P12ihipStream_tbEUlT_E_NS1_11comp_targetILNS1_3genE10ELNS1_11target_archE1201ELNS1_3gpuE5ELNS1_3repE0EEENS1_30default_config_static_selectorELNS0_4arch9wavefront6targetE0EEEvSR_
    .private_segment_fixed_size: 0
    .sgpr_count:     0
    .sgpr_spill_count: 0
    .symbol:         _ZN7rocprim17ROCPRIM_400000_NS6detail17trampoline_kernelINS0_14default_configENS1_32segmented_reduce_config_selectorIN3c108BFloat16EEEZNS1_21segmented_reduce_implIS3_PKS6_PS6_PKlS6_N6hipcub16HIPCUB_304000_NS6detail27convert_result_type_wrapperISA_SB_N2at6native12_GLOBAL__N_19CustomSumEEEEE10hipError_tPvRmT0_T1_jT2_SS_T4_T3_P12ihipStream_tbEUlT_E_NS1_11comp_targetILNS1_3genE10ELNS1_11target_archE1201ELNS1_3gpuE5ELNS1_3repE0EEENS1_30default_config_static_selectorELNS0_4arch9wavefront6targetE0EEEvSR_.kd
    .uniform_work_group_size: 1
    .uses_dynamic_stack: false
    .vgpr_count:     0
    .vgpr_spill_count: 0
    .wavefront_size: 32
    .workgroup_processor_mode: 1
  - .args:
      - .offset:         0
        .size:           48
        .value_kind:     by_value
    .group_segment_fixed_size: 0
    .kernarg_segment_align: 8
    .kernarg_segment_size: 48
    .language:       OpenCL C
    .language_version:
      - 2
      - 0
    .max_flat_workgroup_size: 256
    .name:           _ZN7rocprim17ROCPRIM_400000_NS6detail17trampoline_kernelINS0_14default_configENS1_32segmented_reduce_config_selectorIN3c108BFloat16EEEZNS1_21segmented_reduce_implIS3_PKS6_PS6_PKlS6_N6hipcub16HIPCUB_304000_NS6detail27convert_result_type_wrapperISA_SB_N2at6native12_GLOBAL__N_19CustomSumEEEEE10hipError_tPvRmT0_T1_jT2_SS_T4_T3_P12ihipStream_tbEUlT_E_NS1_11comp_targetILNS1_3genE4ELNS1_11target_archE910ELNS1_3gpuE8ELNS1_3repE0EEENS1_30default_config_static_selectorELNS0_4arch9wavefront6targetE0EEEvSR_
    .private_segment_fixed_size: 0
    .sgpr_count:     0
    .sgpr_spill_count: 0
    .symbol:         _ZN7rocprim17ROCPRIM_400000_NS6detail17trampoline_kernelINS0_14default_configENS1_32segmented_reduce_config_selectorIN3c108BFloat16EEEZNS1_21segmented_reduce_implIS3_PKS6_PS6_PKlS6_N6hipcub16HIPCUB_304000_NS6detail27convert_result_type_wrapperISA_SB_N2at6native12_GLOBAL__N_19CustomSumEEEEE10hipError_tPvRmT0_T1_jT2_SS_T4_T3_P12ihipStream_tbEUlT_E_NS1_11comp_targetILNS1_3genE4ELNS1_11target_archE910ELNS1_3gpuE8ELNS1_3repE0EEENS1_30default_config_static_selectorELNS0_4arch9wavefront6targetE0EEEvSR_.kd
    .uniform_work_group_size: 1
    .uses_dynamic_stack: false
    .vgpr_count:     0
    .vgpr_spill_count: 0
    .wavefront_size: 32
    .workgroup_processor_mode: 1
  - .args:
      - .offset:         0
        .size:           48
        .value_kind:     by_value
    .group_segment_fixed_size: 0
    .kernarg_segment_align: 8
    .kernarg_segment_size: 48
    .language:       OpenCL C
    .language_version:
      - 2
      - 0
    .max_flat_workgroup_size: 256
    .name:           _ZN7rocprim17ROCPRIM_400000_NS6detail17trampoline_kernelINS0_14default_configENS1_32segmented_reduce_config_selectorIN3c108BFloat16EEEZNS1_21segmented_reduce_implIS3_PKS6_PS6_PKlS6_N6hipcub16HIPCUB_304000_NS6detail27convert_result_type_wrapperISA_SB_N2at6native12_GLOBAL__N_19CustomSumEEEEE10hipError_tPvRmT0_T1_jT2_SS_T4_T3_P12ihipStream_tbEUlT_E_NS1_11comp_targetILNS1_3genE3ELNS1_11target_archE908ELNS1_3gpuE7ELNS1_3repE0EEENS1_30default_config_static_selectorELNS0_4arch9wavefront6targetE0EEEvSR_
    .private_segment_fixed_size: 0
    .sgpr_count:     0
    .sgpr_spill_count: 0
    .symbol:         _ZN7rocprim17ROCPRIM_400000_NS6detail17trampoline_kernelINS0_14default_configENS1_32segmented_reduce_config_selectorIN3c108BFloat16EEEZNS1_21segmented_reduce_implIS3_PKS6_PS6_PKlS6_N6hipcub16HIPCUB_304000_NS6detail27convert_result_type_wrapperISA_SB_N2at6native12_GLOBAL__N_19CustomSumEEEEE10hipError_tPvRmT0_T1_jT2_SS_T4_T3_P12ihipStream_tbEUlT_E_NS1_11comp_targetILNS1_3genE3ELNS1_11target_archE908ELNS1_3gpuE7ELNS1_3repE0EEENS1_30default_config_static_selectorELNS0_4arch9wavefront6targetE0EEEvSR_.kd
    .uniform_work_group_size: 1
    .uses_dynamic_stack: false
    .vgpr_count:     0
    .vgpr_spill_count: 0
    .wavefront_size: 32
    .workgroup_processor_mode: 1
  - .args:
      - .offset:         0
        .size:           48
        .value_kind:     by_value
    .group_segment_fixed_size: 0
    .kernarg_segment_align: 8
    .kernarg_segment_size: 48
    .language:       OpenCL C
    .language_version:
      - 2
      - 0
    .max_flat_workgroup_size: 256
    .name:           _ZN7rocprim17ROCPRIM_400000_NS6detail17trampoline_kernelINS0_14default_configENS1_32segmented_reduce_config_selectorIN3c108BFloat16EEEZNS1_21segmented_reduce_implIS3_PKS6_PS6_PKlS6_N6hipcub16HIPCUB_304000_NS6detail27convert_result_type_wrapperISA_SB_N2at6native12_GLOBAL__N_19CustomSumEEEEE10hipError_tPvRmT0_T1_jT2_SS_T4_T3_P12ihipStream_tbEUlT_E_NS1_11comp_targetILNS1_3genE2ELNS1_11target_archE906ELNS1_3gpuE6ELNS1_3repE0EEENS1_30default_config_static_selectorELNS0_4arch9wavefront6targetE0EEEvSR_
    .private_segment_fixed_size: 0
    .sgpr_count:     0
    .sgpr_spill_count: 0
    .symbol:         _ZN7rocprim17ROCPRIM_400000_NS6detail17trampoline_kernelINS0_14default_configENS1_32segmented_reduce_config_selectorIN3c108BFloat16EEEZNS1_21segmented_reduce_implIS3_PKS6_PS6_PKlS6_N6hipcub16HIPCUB_304000_NS6detail27convert_result_type_wrapperISA_SB_N2at6native12_GLOBAL__N_19CustomSumEEEEE10hipError_tPvRmT0_T1_jT2_SS_T4_T3_P12ihipStream_tbEUlT_E_NS1_11comp_targetILNS1_3genE2ELNS1_11target_archE906ELNS1_3gpuE6ELNS1_3repE0EEENS1_30default_config_static_selectorELNS0_4arch9wavefront6targetE0EEEvSR_.kd
    .uniform_work_group_size: 1
    .uses_dynamic_stack: false
    .vgpr_count:     0
    .vgpr_spill_count: 0
    .wavefront_size: 32
    .workgroup_processor_mode: 1
  - .args:
      - .offset:         0
        .size:           48
        .value_kind:     by_value
    .group_segment_fixed_size: 16
    .kernarg_segment_align: 8
    .kernarg_segment_size: 48
    .language:       OpenCL C
    .language_version:
      - 2
      - 0
    .max_flat_workgroup_size: 256
    .name:           _ZN7rocprim17ROCPRIM_400000_NS6detail17trampoline_kernelINS0_14default_configENS1_32segmented_reduce_config_selectorIN3c108BFloat16EEEZNS1_21segmented_reduce_implIS3_PKS6_PS6_PKlS6_N6hipcub16HIPCUB_304000_NS6detail27convert_result_type_wrapperISA_SB_N2at6native12_GLOBAL__N_19CustomSumEEEEE10hipError_tPvRmT0_T1_jT2_SS_T4_T3_P12ihipStream_tbEUlT_E_NS1_11comp_targetILNS1_3genE9ELNS1_11target_archE1100ELNS1_3gpuE3ELNS1_3repE0EEENS1_30default_config_static_selectorELNS0_4arch9wavefront6targetE0EEEvSR_
    .private_segment_fixed_size: 0
    .sgpr_count:     36
    .sgpr_spill_count: 0
    .symbol:         _ZN7rocprim17ROCPRIM_400000_NS6detail17trampoline_kernelINS0_14default_configENS1_32segmented_reduce_config_selectorIN3c108BFloat16EEEZNS1_21segmented_reduce_implIS3_PKS6_PS6_PKlS6_N6hipcub16HIPCUB_304000_NS6detail27convert_result_type_wrapperISA_SB_N2at6native12_GLOBAL__N_19CustomSumEEEEE10hipError_tPvRmT0_T1_jT2_SS_T4_T3_P12ihipStream_tbEUlT_E_NS1_11comp_targetILNS1_3genE9ELNS1_11target_archE1100ELNS1_3gpuE3ELNS1_3repE0EEENS1_30default_config_static_selectorELNS0_4arch9wavefront6targetE0EEEvSR_.kd
    .uniform_work_group_size: 1
    .uses_dynamic_stack: false
    .vgpr_count:     24
    .vgpr_spill_count: 0
    .wavefront_size: 32
    .workgroup_processor_mode: 1
  - .args:
      - .offset:         0
        .size:           48
        .value_kind:     by_value
    .group_segment_fixed_size: 0
    .kernarg_segment_align: 8
    .kernarg_segment_size: 48
    .language:       OpenCL C
    .language_version:
      - 2
      - 0
    .max_flat_workgroup_size: 256
    .name:           _ZN7rocprim17ROCPRIM_400000_NS6detail17trampoline_kernelINS0_14default_configENS1_32segmented_reduce_config_selectorIN3c108BFloat16EEEZNS1_21segmented_reduce_implIS3_PKS6_PS6_PKlS6_N6hipcub16HIPCUB_304000_NS6detail27convert_result_type_wrapperISA_SB_N2at6native12_GLOBAL__N_19CustomSumEEEEE10hipError_tPvRmT0_T1_jT2_SS_T4_T3_P12ihipStream_tbEUlT_E_NS1_11comp_targetILNS1_3genE8ELNS1_11target_archE1030ELNS1_3gpuE2ELNS1_3repE0EEENS1_30default_config_static_selectorELNS0_4arch9wavefront6targetE0EEEvSR_
    .private_segment_fixed_size: 0
    .sgpr_count:     0
    .sgpr_spill_count: 0
    .symbol:         _ZN7rocprim17ROCPRIM_400000_NS6detail17trampoline_kernelINS0_14default_configENS1_32segmented_reduce_config_selectorIN3c108BFloat16EEEZNS1_21segmented_reduce_implIS3_PKS6_PS6_PKlS6_N6hipcub16HIPCUB_304000_NS6detail27convert_result_type_wrapperISA_SB_N2at6native12_GLOBAL__N_19CustomSumEEEEE10hipError_tPvRmT0_T1_jT2_SS_T4_T3_P12ihipStream_tbEUlT_E_NS1_11comp_targetILNS1_3genE8ELNS1_11target_archE1030ELNS1_3gpuE2ELNS1_3repE0EEENS1_30default_config_static_selectorELNS0_4arch9wavefront6targetE0EEEvSR_.kd
    .uniform_work_group_size: 1
    .uses_dynamic_stack: false
    .vgpr_count:     0
    .vgpr_spill_count: 0
    .wavefront_size: 32
    .workgroup_processor_mode: 1
  - .args:
      - .address_space:  global
        .offset:         0
        .size:           8
        .value_kind:     global_buffer
      - .address_space:  global
        .offset:         8
        .size:           8
        .value_kind:     global_buffer
      - .offset:         16
        .size:           8
        .value_kind:     by_value
      - .offset:         24
        .size:           1
        .value_kind:     by_value
      - .offset:         26
        .size:           2
        .value_kind:     by_value
      - .offset:         32
        .size:           4
        .value_kind:     hidden_block_count_x
      - .offset:         36
        .size:           4
        .value_kind:     hidden_block_count_y
      - .offset:         40
        .size:           4
        .value_kind:     hidden_block_count_z
      - .offset:         44
        .size:           2
        .value_kind:     hidden_group_size_x
      - .offset:         46
        .size:           2
        .value_kind:     hidden_group_size_y
      - .offset:         48
        .size:           2
        .value_kind:     hidden_group_size_z
      - .offset:         50
        .size:           2
        .value_kind:     hidden_remainder_x
      - .offset:         52
        .size:           2
        .value_kind:     hidden_remainder_y
      - .offset:         54
        .size:           2
        .value_kind:     hidden_remainder_z
      - .offset:         72
        .size:           8
        .value_kind:     hidden_global_offset_x
      - .offset:         80
        .size:           8
        .value_kind:     hidden_global_offset_y
      - .offset:         88
        .size:           8
        .value_kind:     hidden_global_offset_z
      - .offset:         96
        .size:           2
        .value_kind:     hidden_grid_dims
    .group_segment_fixed_size: 0
    .kernarg_segment_align: 8
    .kernarg_segment_size: 288
    .language:       OpenCL C
    .language_version:
      - 2
      - 0
    .max_flat_workgroup_size: 1024
    .name:           _ZN2at6native12_GLOBAL__N_119post_sum_div_kernelIN3c108BFloat16ElEEvPT_PKT0_lbS5_
    .private_segment_fixed_size: 0
    .sgpr_count:     19
    .sgpr_spill_count: 0
    .symbol:         _ZN2at6native12_GLOBAL__N_119post_sum_div_kernelIN3c108BFloat16ElEEvPT_PKT0_lbS5_.kd
    .uniform_work_group_size: 1
    .uses_dynamic_stack: false
    .vgpr_count:     13
    .vgpr_spill_count: 0
    .wavefront_size: 32
    .workgroup_processor_mode: 1
  - .args:
      - .offset:         0
        .size:           48
        .value_kind:     by_value
    .group_segment_fixed_size: 0
    .kernarg_segment_align: 8
    .kernarg_segment_size: 48
    .language:       OpenCL C
    .language_version:
      - 2
      - 0
    .max_flat_workgroup_size: 256
    .name:           _ZN7rocprim17ROCPRIM_400000_NS6detail17trampoline_kernelINS0_14default_configENS1_32segmented_reduce_config_selectorIN3c108BFloat16EEEZNS1_21segmented_reduce_implIS3_PKS6_PS6_PKlS6_N6hipcub16HIPCUB_304000_NS6detail27convert_result_type_wrapperISA_SB_N2at6native12_GLOBAL__N_19CustomMinEEEEE10hipError_tPvRmT0_T1_jT2_SS_T4_T3_P12ihipStream_tbEUlT_E_NS1_11comp_targetILNS1_3genE0ELNS1_11target_archE4294967295ELNS1_3gpuE0ELNS1_3repE0EEENS1_30default_config_static_selectorELNS0_4arch9wavefront6targetE0EEEvSR_
    .private_segment_fixed_size: 0
    .sgpr_count:     0
    .sgpr_spill_count: 0
    .symbol:         _ZN7rocprim17ROCPRIM_400000_NS6detail17trampoline_kernelINS0_14default_configENS1_32segmented_reduce_config_selectorIN3c108BFloat16EEEZNS1_21segmented_reduce_implIS3_PKS6_PS6_PKlS6_N6hipcub16HIPCUB_304000_NS6detail27convert_result_type_wrapperISA_SB_N2at6native12_GLOBAL__N_19CustomMinEEEEE10hipError_tPvRmT0_T1_jT2_SS_T4_T3_P12ihipStream_tbEUlT_E_NS1_11comp_targetILNS1_3genE0ELNS1_11target_archE4294967295ELNS1_3gpuE0ELNS1_3repE0EEENS1_30default_config_static_selectorELNS0_4arch9wavefront6targetE0EEEvSR_.kd
    .uniform_work_group_size: 1
    .uses_dynamic_stack: false
    .vgpr_count:     0
    .vgpr_spill_count: 0
    .wavefront_size: 32
    .workgroup_processor_mode: 1
  - .args:
      - .offset:         0
        .size:           48
        .value_kind:     by_value
    .group_segment_fixed_size: 0
    .kernarg_segment_align: 8
    .kernarg_segment_size: 48
    .language:       OpenCL C
    .language_version:
      - 2
      - 0
    .max_flat_workgroup_size: 256
    .name:           _ZN7rocprim17ROCPRIM_400000_NS6detail17trampoline_kernelINS0_14default_configENS1_32segmented_reduce_config_selectorIN3c108BFloat16EEEZNS1_21segmented_reduce_implIS3_PKS6_PS6_PKlS6_N6hipcub16HIPCUB_304000_NS6detail27convert_result_type_wrapperISA_SB_N2at6native12_GLOBAL__N_19CustomMinEEEEE10hipError_tPvRmT0_T1_jT2_SS_T4_T3_P12ihipStream_tbEUlT_E_NS1_11comp_targetILNS1_3genE5ELNS1_11target_archE942ELNS1_3gpuE9ELNS1_3repE0EEENS1_30default_config_static_selectorELNS0_4arch9wavefront6targetE0EEEvSR_
    .private_segment_fixed_size: 0
    .sgpr_count:     0
    .sgpr_spill_count: 0
    .symbol:         _ZN7rocprim17ROCPRIM_400000_NS6detail17trampoline_kernelINS0_14default_configENS1_32segmented_reduce_config_selectorIN3c108BFloat16EEEZNS1_21segmented_reduce_implIS3_PKS6_PS6_PKlS6_N6hipcub16HIPCUB_304000_NS6detail27convert_result_type_wrapperISA_SB_N2at6native12_GLOBAL__N_19CustomMinEEEEE10hipError_tPvRmT0_T1_jT2_SS_T4_T3_P12ihipStream_tbEUlT_E_NS1_11comp_targetILNS1_3genE5ELNS1_11target_archE942ELNS1_3gpuE9ELNS1_3repE0EEENS1_30default_config_static_selectorELNS0_4arch9wavefront6targetE0EEEvSR_.kd
    .uniform_work_group_size: 1
    .uses_dynamic_stack: false
    .vgpr_count:     0
    .vgpr_spill_count: 0
    .wavefront_size: 32
    .workgroup_processor_mode: 1
  - .args:
      - .offset:         0
        .size:           48
        .value_kind:     by_value
    .group_segment_fixed_size: 0
    .kernarg_segment_align: 8
    .kernarg_segment_size: 48
    .language:       OpenCL C
    .language_version:
      - 2
      - 0
    .max_flat_workgroup_size: 256
    .name:           _ZN7rocprim17ROCPRIM_400000_NS6detail17trampoline_kernelINS0_14default_configENS1_32segmented_reduce_config_selectorIN3c108BFloat16EEEZNS1_21segmented_reduce_implIS3_PKS6_PS6_PKlS6_N6hipcub16HIPCUB_304000_NS6detail27convert_result_type_wrapperISA_SB_N2at6native12_GLOBAL__N_19CustomMinEEEEE10hipError_tPvRmT0_T1_jT2_SS_T4_T3_P12ihipStream_tbEUlT_E_NS1_11comp_targetILNS1_3genE10ELNS1_11target_archE1201ELNS1_3gpuE5ELNS1_3repE0EEENS1_30default_config_static_selectorELNS0_4arch9wavefront6targetE0EEEvSR_
    .private_segment_fixed_size: 0
    .sgpr_count:     0
    .sgpr_spill_count: 0
    .symbol:         _ZN7rocprim17ROCPRIM_400000_NS6detail17trampoline_kernelINS0_14default_configENS1_32segmented_reduce_config_selectorIN3c108BFloat16EEEZNS1_21segmented_reduce_implIS3_PKS6_PS6_PKlS6_N6hipcub16HIPCUB_304000_NS6detail27convert_result_type_wrapperISA_SB_N2at6native12_GLOBAL__N_19CustomMinEEEEE10hipError_tPvRmT0_T1_jT2_SS_T4_T3_P12ihipStream_tbEUlT_E_NS1_11comp_targetILNS1_3genE10ELNS1_11target_archE1201ELNS1_3gpuE5ELNS1_3repE0EEENS1_30default_config_static_selectorELNS0_4arch9wavefront6targetE0EEEvSR_.kd
    .uniform_work_group_size: 1
    .uses_dynamic_stack: false
    .vgpr_count:     0
    .vgpr_spill_count: 0
    .wavefront_size: 32
    .workgroup_processor_mode: 1
  - .args:
      - .offset:         0
        .size:           48
        .value_kind:     by_value
    .group_segment_fixed_size: 0
    .kernarg_segment_align: 8
    .kernarg_segment_size: 48
    .language:       OpenCL C
    .language_version:
      - 2
      - 0
    .max_flat_workgroup_size: 256
    .name:           _ZN7rocprim17ROCPRIM_400000_NS6detail17trampoline_kernelINS0_14default_configENS1_32segmented_reduce_config_selectorIN3c108BFloat16EEEZNS1_21segmented_reduce_implIS3_PKS6_PS6_PKlS6_N6hipcub16HIPCUB_304000_NS6detail27convert_result_type_wrapperISA_SB_N2at6native12_GLOBAL__N_19CustomMinEEEEE10hipError_tPvRmT0_T1_jT2_SS_T4_T3_P12ihipStream_tbEUlT_E_NS1_11comp_targetILNS1_3genE4ELNS1_11target_archE910ELNS1_3gpuE8ELNS1_3repE0EEENS1_30default_config_static_selectorELNS0_4arch9wavefront6targetE0EEEvSR_
    .private_segment_fixed_size: 0
    .sgpr_count:     0
    .sgpr_spill_count: 0
    .symbol:         _ZN7rocprim17ROCPRIM_400000_NS6detail17trampoline_kernelINS0_14default_configENS1_32segmented_reduce_config_selectorIN3c108BFloat16EEEZNS1_21segmented_reduce_implIS3_PKS6_PS6_PKlS6_N6hipcub16HIPCUB_304000_NS6detail27convert_result_type_wrapperISA_SB_N2at6native12_GLOBAL__N_19CustomMinEEEEE10hipError_tPvRmT0_T1_jT2_SS_T4_T3_P12ihipStream_tbEUlT_E_NS1_11comp_targetILNS1_3genE4ELNS1_11target_archE910ELNS1_3gpuE8ELNS1_3repE0EEENS1_30default_config_static_selectorELNS0_4arch9wavefront6targetE0EEEvSR_.kd
    .uniform_work_group_size: 1
    .uses_dynamic_stack: false
    .vgpr_count:     0
    .vgpr_spill_count: 0
    .wavefront_size: 32
    .workgroup_processor_mode: 1
  - .args:
      - .offset:         0
        .size:           48
        .value_kind:     by_value
    .group_segment_fixed_size: 0
    .kernarg_segment_align: 8
    .kernarg_segment_size: 48
    .language:       OpenCL C
    .language_version:
      - 2
      - 0
    .max_flat_workgroup_size: 256
    .name:           _ZN7rocprim17ROCPRIM_400000_NS6detail17trampoline_kernelINS0_14default_configENS1_32segmented_reduce_config_selectorIN3c108BFloat16EEEZNS1_21segmented_reduce_implIS3_PKS6_PS6_PKlS6_N6hipcub16HIPCUB_304000_NS6detail27convert_result_type_wrapperISA_SB_N2at6native12_GLOBAL__N_19CustomMinEEEEE10hipError_tPvRmT0_T1_jT2_SS_T4_T3_P12ihipStream_tbEUlT_E_NS1_11comp_targetILNS1_3genE3ELNS1_11target_archE908ELNS1_3gpuE7ELNS1_3repE0EEENS1_30default_config_static_selectorELNS0_4arch9wavefront6targetE0EEEvSR_
    .private_segment_fixed_size: 0
    .sgpr_count:     0
    .sgpr_spill_count: 0
    .symbol:         _ZN7rocprim17ROCPRIM_400000_NS6detail17trampoline_kernelINS0_14default_configENS1_32segmented_reduce_config_selectorIN3c108BFloat16EEEZNS1_21segmented_reduce_implIS3_PKS6_PS6_PKlS6_N6hipcub16HIPCUB_304000_NS6detail27convert_result_type_wrapperISA_SB_N2at6native12_GLOBAL__N_19CustomMinEEEEE10hipError_tPvRmT0_T1_jT2_SS_T4_T3_P12ihipStream_tbEUlT_E_NS1_11comp_targetILNS1_3genE3ELNS1_11target_archE908ELNS1_3gpuE7ELNS1_3repE0EEENS1_30default_config_static_selectorELNS0_4arch9wavefront6targetE0EEEvSR_.kd
    .uniform_work_group_size: 1
    .uses_dynamic_stack: false
    .vgpr_count:     0
    .vgpr_spill_count: 0
    .wavefront_size: 32
    .workgroup_processor_mode: 1
  - .args:
      - .offset:         0
        .size:           48
        .value_kind:     by_value
    .group_segment_fixed_size: 0
    .kernarg_segment_align: 8
    .kernarg_segment_size: 48
    .language:       OpenCL C
    .language_version:
      - 2
      - 0
    .max_flat_workgroup_size: 256
    .name:           _ZN7rocprim17ROCPRIM_400000_NS6detail17trampoline_kernelINS0_14default_configENS1_32segmented_reduce_config_selectorIN3c108BFloat16EEEZNS1_21segmented_reduce_implIS3_PKS6_PS6_PKlS6_N6hipcub16HIPCUB_304000_NS6detail27convert_result_type_wrapperISA_SB_N2at6native12_GLOBAL__N_19CustomMinEEEEE10hipError_tPvRmT0_T1_jT2_SS_T4_T3_P12ihipStream_tbEUlT_E_NS1_11comp_targetILNS1_3genE2ELNS1_11target_archE906ELNS1_3gpuE6ELNS1_3repE0EEENS1_30default_config_static_selectorELNS0_4arch9wavefront6targetE0EEEvSR_
    .private_segment_fixed_size: 0
    .sgpr_count:     0
    .sgpr_spill_count: 0
    .symbol:         _ZN7rocprim17ROCPRIM_400000_NS6detail17trampoline_kernelINS0_14default_configENS1_32segmented_reduce_config_selectorIN3c108BFloat16EEEZNS1_21segmented_reduce_implIS3_PKS6_PS6_PKlS6_N6hipcub16HIPCUB_304000_NS6detail27convert_result_type_wrapperISA_SB_N2at6native12_GLOBAL__N_19CustomMinEEEEE10hipError_tPvRmT0_T1_jT2_SS_T4_T3_P12ihipStream_tbEUlT_E_NS1_11comp_targetILNS1_3genE2ELNS1_11target_archE906ELNS1_3gpuE6ELNS1_3repE0EEENS1_30default_config_static_selectorELNS0_4arch9wavefront6targetE0EEEvSR_.kd
    .uniform_work_group_size: 1
    .uses_dynamic_stack: false
    .vgpr_count:     0
    .vgpr_spill_count: 0
    .wavefront_size: 32
    .workgroup_processor_mode: 1
  - .args:
      - .offset:         0
        .size:           48
        .value_kind:     by_value
    .group_segment_fixed_size: 16
    .kernarg_segment_align: 8
    .kernarg_segment_size: 48
    .language:       OpenCL C
    .language_version:
      - 2
      - 0
    .max_flat_workgroup_size: 256
    .name:           _ZN7rocprim17ROCPRIM_400000_NS6detail17trampoline_kernelINS0_14default_configENS1_32segmented_reduce_config_selectorIN3c108BFloat16EEEZNS1_21segmented_reduce_implIS3_PKS6_PS6_PKlS6_N6hipcub16HIPCUB_304000_NS6detail27convert_result_type_wrapperISA_SB_N2at6native12_GLOBAL__N_19CustomMinEEEEE10hipError_tPvRmT0_T1_jT2_SS_T4_T3_P12ihipStream_tbEUlT_E_NS1_11comp_targetILNS1_3genE9ELNS1_11target_archE1100ELNS1_3gpuE3ELNS1_3repE0EEENS1_30default_config_static_selectorELNS0_4arch9wavefront6targetE0EEEvSR_
    .private_segment_fixed_size: 0
    .sgpr_count:     36
    .sgpr_spill_count: 0
    .symbol:         _ZN7rocprim17ROCPRIM_400000_NS6detail17trampoline_kernelINS0_14default_configENS1_32segmented_reduce_config_selectorIN3c108BFloat16EEEZNS1_21segmented_reduce_implIS3_PKS6_PS6_PKlS6_N6hipcub16HIPCUB_304000_NS6detail27convert_result_type_wrapperISA_SB_N2at6native12_GLOBAL__N_19CustomMinEEEEE10hipError_tPvRmT0_T1_jT2_SS_T4_T3_P12ihipStream_tbEUlT_E_NS1_11comp_targetILNS1_3genE9ELNS1_11target_archE1100ELNS1_3gpuE3ELNS1_3repE0EEENS1_30default_config_static_selectorELNS0_4arch9wavefront6targetE0EEEvSR_.kd
    .uniform_work_group_size: 1
    .uses_dynamic_stack: false
    .vgpr_count:     24
    .vgpr_spill_count: 0
    .wavefront_size: 32
    .workgroup_processor_mode: 1
  - .args:
      - .offset:         0
        .size:           48
        .value_kind:     by_value
    .group_segment_fixed_size: 0
    .kernarg_segment_align: 8
    .kernarg_segment_size: 48
    .language:       OpenCL C
    .language_version:
      - 2
      - 0
    .max_flat_workgroup_size: 256
    .name:           _ZN7rocprim17ROCPRIM_400000_NS6detail17trampoline_kernelINS0_14default_configENS1_32segmented_reduce_config_selectorIN3c108BFloat16EEEZNS1_21segmented_reduce_implIS3_PKS6_PS6_PKlS6_N6hipcub16HIPCUB_304000_NS6detail27convert_result_type_wrapperISA_SB_N2at6native12_GLOBAL__N_19CustomMinEEEEE10hipError_tPvRmT0_T1_jT2_SS_T4_T3_P12ihipStream_tbEUlT_E_NS1_11comp_targetILNS1_3genE8ELNS1_11target_archE1030ELNS1_3gpuE2ELNS1_3repE0EEENS1_30default_config_static_selectorELNS0_4arch9wavefront6targetE0EEEvSR_
    .private_segment_fixed_size: 0
    .sgpr_count:     0
    .sgpr_spill_count: 0
    .symbol:         _ZN7rocprim17ROCPRIM_400000_NS6detail17trampoline_kernelINS0_14default_configENS1_32segmented_reduce_config_selectorIN3c108BFloat16EEEZNS1_21segmented_reduce_implIS3_PKS6_PS6_PKlS6_N6hipcub16HIPCUB_304000_NS6detail27convert_result_type_wrapperISA_SB_N2at6native12_GLOBAL__N_19CustomMinEEEEE10hipError_tPvRmT0_T1_jT2_SS_T4_T3_P12ihipStream_tbEUlT_E_NS1_11comp_targetILNS1_3genE8ELNS1_11target_archE1030ELNS1_3gpuE2ELNS1_3repE0EEENS1_30default_config_static_selectorELNS0_4arch9wavefront6targetE0EEEvSR_.kd
    .uniform_work_group_size: 1
    .uses_dynamic_stack: false
    .vgpr_count:     0
    .vgpr_spill_count: 0
    .wavefront_size: 32
    .workgroup_processor_mode: 1
  - .args:
      - .offset:         0
        .size:           48
        .value_kind:     by_value
    .group_segment_fixed_size: 0
    .kernarg_segment_align: 8
    .kernarg_segment_size: 48
    .language:       OpenCL C
    .language_version:
      - 2
      - 0
    .max_flat_workgroup_size: 256
    .name:           _ZN7rocprim17ROCPRIM_400000_NS6detail17trampoline_kernelINS0_14default_configENS1_32segmented_reduce_config_selectorIN3c108BFloat16EEEZNS1_21segmented_reduce_implIS3_PKS6_PS6_PKlS6_N6hipcub16HIPCUB_304000_NS6detail27convert_result_type_wrapperISA_SB_N2at6native12_GLOBAL__N_110CustomProdEEEEE10hipError_tPvRmT0_T1_jT2_SS_T4_T3_P12ihipStream_tbEUlT_E_NS1_11comp_targetILNS1_3genE0ELNS1_11target_archE4294967295ELNS1_3gpuE0ELNS1_3repE0EEENS1_30default_config_static_selectorELNS0_4arch9wavefront6targetE0EEEvSR_
    .private_segment_fixed_size: 0
    .sgpr_count:     0
    .sgpr_spill_count: 0
    .symbol:         _ZN7rocprim17ROCPRIM_400000_NS6detail17trampoline_kernelINS0_14default_configENS1_32segmented_reduce_config_selectorIN3c108BFloat16EEEZNS1_21segmented_reduce_implIS3_PKS6_PS6_PKlS6_N6hipcub16HIPCUB_304000_NS6detail27convert_result_type_wrapperISA_SB_N2at6native12_GLOBAL__N_110CustomProdEEEEE10hipError_tPvRmT0_T1_jT2_SS_T4_T3_P12ihipStream_tbEUlT_E_NS1_11comp_targetILNS1_3genE0ELNS1_11target_archE4294967295ELNS1_3gpuE0ELNS1_3repE0EEENS1_30default_config_static_selectorELNS0_4arch9wavefront6targetE0EEEvSR_.kd
    .uniform_work_group_size: 1
    .uses_dynamic_stack: false
    .vgpr_count:     0
    .vgpr_spill_count: 0
    .wavefront_size: 32
    .workgroup_processor_mode: 1
  - .args:
      - .offset:         0
        .size:           48
        .value_kind:     by_value
    .group_segment_fixed_size: 0
    .kernarg_segment_align: 8
    .kernarg_segment_size: 48
    .language:       OpenCL C
    .language_version:
      - 2
      - 0
    .max_flat_workgroup_size: 256
    .name:           _ZN7rocprim17ROCPRIM_400000_NS6detail17trampoline_kernelINS0_14default_configENS1_32segmented_reduce_config_selectorIN3c108BFloat16EEEZNS1_21segmented_reduce_implIS3_PKS6_PS6_PKlS6_N6hipcub16HIPCUB_304000_NS6detail27convert_result_type_wrapperISA_SB_N2at6native12_GLOBAL__N_110CustomProdEEEEE10hipError_tPvRmT0_T1_jT2_SS_T4_T3_P12ihipStream_tbEUlT_E_NS1_11comp_targetILNS1_3genE5ELNS1_11target_archE942ELNS1_3gpuE9ELNS1_3repE0EEENS1_30default_config_static_selectorELNS0_4arch9wavefront6targetE0EEEvSR_
    .private_segment_fixed_size: 0
    .sgpr_count:     0
    .sgpr_spill_count: 0
    .symbol:         _ZN7rocprim17ROCPRIM_400000_NS6detail17trampoline_kernelINS0_14default_configENS1_32segmented_reduce_config_selectorIN3c108BFloat16EEEZNS1_21segmented_reduce_implIS3_PKS6_PS6_PKlS6_N6hipcub16HIPCUB_304000_NS6detail27convert_result_type_wrapperISA_SB_N2at6native12_GLOBAL__N_110CustomProdEEEEE10hipError_tPvRmT0_T1_jT2_SS_T4_T3_P12ihipStream_tbEUlT_E_NS1_11comp_targetILNS1_3genE5ELNS1_11target_archE942ELNS1_3gpuE9ELNS1_3repE0EEENS1_30default_config_static_selectorELNS0_4arch9wavefront6targetE0EEEvSR_.kd
    .uniform_work_group_size: 1
    .uses_dynamic_stack: false
    .vgpr_count:     0
    .vgpr_spill_count: 0
    .wavefront_size: 32
    .workgroup_processor_mode: 1
  - .args:
      - .offset:         0
        .size:           48
        .value_kind:     by_value
    .group_segment_fixed_size: 0
    .kernarg_segment_align: 8
    .kernarg_segment_size: 48
    .language:       OpenCL C
    .language_version:
      - 2
      - 0
    .max_flat_workgroup_size: 256
    .name:           _ZN7rocprim17ROCPRIM_400000_NS6detail17trampoline_kernelINS0_14default_configENS1_32segmented_reduce_config_selectorIN3c108BFloat16EEEZNS1_21segmented_reduce_implIS3_PKS6_PS6_PKlS6_N6hipcub16HIPCUB_304000_NS6detail27convert_result_type_wrapperISA_SB_N2at6native12_GLOBAL__N_110CustomProdEEEEE10hipError_tPvRmT0_T1_jT2_SS_T4_T3_P12ihipStream_tbEUlT_E_NS1_11comp_targetILNS1_3genE10ELNS1_11target_archE1201ELNS1_3gpuE5ELNS1_3repE0EEENS1_30default_config_static_selectorELNS0_4arch9wavefront6targetE0EEEvSR_
    .private_segment_fixed_size: 0
    .sgpr_count:     0
    .sgpr_spill_count: 0
    .symbol:         _ZN7rocprim17ROCPRIM_400000_NS6detail17trampoline_kernelINS0_14default_configENS1_32segmented_reduce_config_selectorIN3c108BFloat16EEEZNS1_21segmented_reduce_implIS3_PKS6_PS6_PKlS6_N6hipcub16HIPCUB_304000_NS6detail27convert_result_type_wrapperISA_SB_N2at6native12_GLOBAL__N_110CustomProdEEEEE10hipError_tPvRmT0_T1_jT2_SS_T4_T3_P12ihipStream_tbEUlT_E_NS1_11comp_targetILNS1_3genE10ELNS1_11target_archE1201ELNS1_3gpuE5ELNS1_3repE0EEENS1_30default_config_static_selectorELNS0_4arch9wavefront6targetE0EEEvSR_.kd
    .uniform_work_group_size: 1
    .uses_dynamic_stack: false
    .vgpr_count:     0
    .vgpr_spill_count: 0
    .wavefront_size: 32
    .workgroup_processor_mode: 1
  - .args:
      - .offset:         0
        .size:           48
        .value_kind:     by_value
    .group_segment_fixed_size: 0
    .kernarg_segment_align: 8
    .kernarg_segment_size: 48
    .language:       OpenCL C
    .language_version:
      - 2
      - 0
    .max_flat_workgroup_size: 256
    .name:           _ZN7rocprim17ROCPRIM_400000_NS6detail17trampoline_kernelINS0_14default_configENS1_32segmented_reduce_config_selectorIN3c108BFloat16EEEZNS1_21segmented_reduce_implIS3_PKS6_PS6_PKlS6_N6hipcub16HIPCUB_304000_NS6detail27convert_result_type_wrapperISA_SB_N2at6native12_GLOBAL__N_110CustomProdEEEEE10hipError_tPvRmT0_T1_jT2_SS_T4_T3_P12ihipStream_tbEUlT_E_NS1_11comp_targetILNS1_3genE4ELNS1_11target_archE910ELNS1_3gpuE8ELNS1_3repE0EEENS1_30default_config_static_selectorELNS0_4arch9wavefront6targetE0EEEvSR_
    .private_segment_fixed_size: 0
    .sgpr_count:     0
    .sgpr_spill_count: 0
    .symbol:         _ZN7rocprim17ROCPRIM_400000_NS6detail17trampoline_kernelINS0_14default_configENS1_32segmented_reduce_config_selectorIN3c108BFloat16EEEZNS1_21segmented_reduce_implIS3_PKS6_PS6_PKlS6_N6hipcub16HIPCUB_304000_NS6detail27convert_result_type_wrapperISA_SB_N2at6native12_GLOBAL__N_110CustomProdEEEEE10hipError_tPvRmT0_T1_jT2_SS_T4_T3_P12ihipStream_tbEUlT_E_NS1_11comp_targetILNS1_3genE4ELNS1_11target_archE910ELNS1_3gpuE8ELNS1_3repE0EEENS1_30default_config_static_selectorELNS0_4arch9wavefront6targetE0EEEvSR_.kd
    .uniform_work_group_size: 1
    .uses_dynamic_stack: false
    .vgpr_count:     0
    .vgpr_spill_count: 0
    .wavefront_size: 32
    .workgroup_processor_mode: 1
  - .args:
      - .offset:         0
        .size:           48
        .value_kind:     by_value
    .group_segment_fixed_size: 0
    .kernarg_segment_align: 8
    .kernarg_segment_size: 48
    .language:       OpenCL C
    .language_version:
      - 2
      - 0
    .max_flat_workgroup_size: 256
    .name:           _ZN7rocprim17ROCPRIM_400000_NS6detail17trampoline_kernelINS0_14default_configENS1_32segmented_reduce_config_selectorIN3c108BFloat16EEEZNS1_21segmented_reduce_implIS3_PKS6_PS6_PKlS6_N6hipcub16HIPCUB_304000_NS6detail27convert_result_type_wrapperISA_SB_N2at6native12_GLOBAL__N_110CustomProdEEEEE10hipError_tPvRmT0_T1_jT2_SS_T4_T3_P12ihipStream_tbEUlT_E_NS1_11comp_targetILNS1_3genE3ELNS1_11target_archE908ELNS1_3gpuE7ELNS1_3repE0EEENS1_30default_config_static_selectorELNS0_4arch9wavefront6targetE0EEEvSR_
    .private_segment_fixed_size: 0
    .sgpr_count:     0
    .sgpr_spill_count: 0
    .symbol:         _ZN7rocprim17ROCPRIM_400000_NS6detail17trampoline_kernelINS0_14default_configENS1_32segmented_reduce_config_selectorIN3c108BFloat16EEEZNS1_21segmented_reduce_implIS3_PKS6_PS6_PKlS6_N6hipcub16HIPCUB_304000_NS6detail27convert_result_type_wrapperISA_SB_N2at6native12_GLOBAL__N_110CustomProdEEEEE10hipError_tPvRmT0_T1_jT2_SS_T4_T3_P12ihipStream_tbEUlT_E_NS1_11comp_targetILNS1_3genE3ELNS1_11target_archE908ELNS1_3gpuE7ELNS1_3repE0EEENS1_30default_config_static_selectorELNS0_4arch9wavefront6targetE0EEEvSR_.kd
    .uniform_work_group_size: 1
    .uses_dynamic_stack: false
    .vgpr_count:     0
    .vgpr_spill_count: 0
    .wavefront_size: 32
    .workgroup_processor_mode: 1
  - .args:
      - .offset:         0
        .size:           48
        .value_kind:     by_value
    .group_segment_fixed_size: 0
    .kernarg_segment_align: 8
    .kernarg_segment_size: 48
    .language:       OpenCL C
    .language_version:
      - 2
      - 0
    .max_flat_workgroup_size: 256
    .name:           _ZN7rocprim17ROCPRIM_400000_NS6detail17trampoline_kernelINS0_14default_configENS1_32segmented_reduce_config_selectorIN3c108BFloat16EEEZNS1_21segmented_reduce_implIS3_PKS6_PS6_PKlS6_N6hipcub16HIPCUB_304000_NS6detail27convert_result_type_wrapperISA_SB_N2at6native12_GLOBAL__N_110CustomProdEEEEE10hipError_tPvRmT0_T1_jT2_SS_T4_T3_P12ihipStream_tbEUlT_E_NS1_11comp_targetILNS1_3genE2ELNS1_11target_archE906ELNS1_3gpuE6ELNS1_3repE0EEENS1_30default_config_static_selectorELNS0_4arch9wavefront6targetE0EEEvSR_
    .private_segment_fixed_size: 0
    .sgpr_count:     0
    .sgpr_spill_count: 0
    .symbol:         _ZN7rocprim17ROCPRIM_400000_NS6detail17trampoline_kernelINS0_14default_configENS1_32segmented_reduce_config_selectorIN3c108BFloat16EEEZNS1_21segmented_reduce_implIS3_PKS6_PS6_PKlS6_N6hipcub16HIPCUB_304000_NS6detail27convert_result_type_wrapperISA_SB_N2at6native12_GLOBAL__N_110CustomProdEEEEE10hipError_tPvRmT0_T1_jT2_SS_T4_T3_P12ihipStream_tbEUlT_E_NS1_11comp_targetILNS1_3genE2ELNS1_11target_archE906ELNS1_3gpuE6ELNS1_3repE0EEENS1_30default_config_static_selectorELNS0_4arch9wavefront6targetE0EEEvSR_.kd
    .uniform_work_group_size: 1
    .uses_dynamic_stack: false
    .vgpr_count:     0
    .vgpr_spill_count: 0
    .wavefront_size: 32
    .workgroup_processor_mode: 1
  - .args:
      - .offset:         0
        .size:           48
        .value_kind:     by_value
    .group_segment_fixed_size: 16
    .kernarg_segment_align: 8
    .kernarg_segment_size: 48
    .language:       OpenCL C
    .language_version:
      - 2
      - 0
    .max_flat_workgroup_size: 256
    .name:           _ZN7rocprim17ROCPRIM_400000_NS6detail17trampoline_kernelINS0_14default_configENS1_32segmented_reduce_config_selectorIN3c108BFloat16EEEZNS1_21segmented_reduce_implIS3_PKS6_PS6_PKlS6_N6hipcub16HIPCUB_304000_NS6detail27convert_result_type_wrapperISA_SB_N2at6native12_GLOBAL__N_110CustomProdEEEEE10hipError_tPvRmT0_T1_jT2_SS_T4_T3_P12ihipStream_tbEUlT_E_NS1_11comp_targetILNS1_3genE9ELNS1_11target_archE1100ELNS1_3gpuE3ELNS1_3repE0EEENS1_30default_config_static_selectorELNS0_4arch9wavefront6targetE0EEEvSR_
    .private_segment_fixed_size: 0
    .sgpr_count:     36
    .sgpr_spill_count: 0
    .symbol:         _ZN7rocprim17ROCPRIM_400000_NS6detail17trampoline_kernelINS0_14default_configENS1_32segmented_reduce_config_selectorIN3c108BFloat16EEEZNS1_21segmented_reduce_implIS3_PKS6_PS6_PKlS6_N6hipcub16HIPCUB_304000_NS6detail27convert_result_type_wrapperISA_SB_N2at6native12_GLOBAL__N_110CustomProdEEEEE10hipError_tPvRmT0_T1_jT2_SS_T4_T3_P12ihipStream_tbEUlT_E_NS1_11comp_targetILNS1_3genE9ELNS1_11target_archE1100ELNS1_3gpuE3ELNS1_3repE0EEENS1_30default_config_static_selectorELNS0_4arch9wavefront6targetE0EEEvSR_.kd
    .uniform_work_group_size: 1
    .uses_dynamic_stack: false
    .vgpr_count:     24
    .vgpr_spill_count: 0
    .wavefront_size: 32
    .workgroup_processor_mode: 1
  - .args:
      - .offset:         0
        .size:           48
        .value_kind:     by_value
    .group_segment_fixed_size: 0
    .kernarg_segment_align: 8
    .kernarg_segment_size: 48
    .language:       OpenCL C
    .language_version:
      - 2
      - 0
    .max_flat_workgroup_size: 256
    .name:           _ZN7rocprim17ROCPRIM_400000_NS6detail17trampoline_kernelINS0_14default_configENS1_32segmented_reduce_config_selectorIN3c108BFloat16EEEZNS1_21segmented_reduce_implIS3_PKS6_PS6_PKlS6_N6hipcub16HIPCUB_304000_NS6detail27convert_result_type_wrapperISA_SB_N2at6native12_GLOBAL__N_110CustomProdEEEEE10hipError_tPvRmT0_T1_jT2_SS_T4_T3_P12ihipStream_tbEUlT_E_NS1_11comp_targetILNS1_3genE8ELNS1_11target_archE1030ELNS1_3gpuE2ELNS1_3repE0EEENS1_30default_config_static_selectorELNS0_4arch9wavefront6targetE0EEEvSR_
    .private_segment_fixed_size: 0
    .sgpr_count:     0
    .sgpr_spill_count: 0
    .symbol:         _ZN7rocprim17ROCPRIM_400000_NS6detail17trampoline_kernelINS0_14default_configENS1_32segmented_reduce_config_selectorIN3c108BFloat16EEEZNS1_21segmented_reduce_implIS3_PKS6_PS6_PKlS6_N6hipcub16HIPCUB_304000_NS6detail27convert_result_type_wrapperISA_SB_N2at6native12_GLOBAL__N_110CustomProdEEEEE10hipError_tPvRmT0_T1_jT2_SS_T4_T3_P12ihipStream_tbEUlT_E_NS1_11comp_targetILNS1_3genE8ELNS1_11target_archE1030ELNS1_3gpuE2ELNS1_3repE0EEENS1_30default_config_static_selectorELNS0_4arch9wavefront6targetE0EEEvSR_.kd
    .uniform_work_group_size: 1
    .uses_dynamic_stack: false
    .vgpr_count:     0
    .vgpr_spill_count: 0
    .wavefront_size: 32
    .workgroup_processor_mode: 1
amdhsa.target:   amdgcn-amd-amdhsa--gfx1100
amdhsa.version:
  - 1
  - 2
...

	.end_amdgpu_metadata
